;; amdgpu-corpus repo=ROCm/rocBLAS kind=compiled arch=gfx906 opt=O3
	.amdgcn_target "amdgcn-amd-amdhsa--gfx906"
	.amdhsa_code_object_version 6
	.section	.text._ZL28rocblas_dot_batched_4_kernelIiLi32ELi4ELb0EDF16_DF16_PKDF16_EviT5_lT_lS2_lS3_liPT4_,"axG",@progbits,_ZL28rocblas_dot_batched_4_kernelIiLi32ELi4ELb0EDF16_DF16_PKDF16_EviT5_lT_lS2_lS3_liPT4_,comdat
	.globl	_ZL28rocblas_dot_batched_4_kernelIiLi32ELi4ELb0EDF16_DF16_PKDF16_EviT5_lT_lS2_lS3_liPT4_ ; -- Begin function _ZL28rocblas_dot_batched_4_kernelIiLi32ELi4ELb0EDF16_DF16_PKDF16_EviT5_lT_lS2_lS3_liPT4_
	.p2align	8
	.type	_ZL28rocblas_dot_batched_4_kernelIiLi32ELi4ELb0EDF16_DF16_PKDF16_EviT5_lT_lS2_lS3_liPT4_,@function
_ZL28rocblas_dot_batched_4_kernelIiLi32ELi4ELb0EDF16_DF16_PKDF16_EviT5_lT_lS2_lS3_liPT4_: ; @_ZL28rocblas_dot_batched_4_kernelIiLi32ELi4ELb0EDF16_DF16_PKDF16_EviT5_lT_lS2_lS3_liPT4_
; %bb.0:
	s_load_dword s0, s[4:5], 0x48
	v_lshl_add_u32 v1, s6, 2, v1
	s_waitcnt lgkmcnt(0)
	v_cmp_gt_u32_e32 vcc, s0, v1
	s_and_saveexec_b64 s[0:1], vcc
	s_cbranch_execz .LBB0_7
; %bb.1:
	s_load_dword s12, s[4:5], 0x0
	s_load_dwordx2 s[6:7], s[4:5], 0x50
	v_mov_b32_e32 v2, 0
	v_mov_b32_e32 v7, v2
	s_waitcnt lgkmcnt(0)
	v_cmp_gt_i32_e32 vcc, s12, v0
	s_and_saveexec_b64 s[8:9], vcc
	s_cbranch_execz .LBB0_5
; %bb.2:
	s_load_dwordx4 s[0:3], s[4:5], 0x20
	s_load_dwordx4 s[16:19], s[4:5], 0x8
	s_load_dword s10, s[4:5], 0x18
	s_load_dwordx2 s[14:15], s[4:5], 0x30
	s_waitcnt lgkmcnt(0)
	v_mad_u64_u32 v[3:4], s[20:21], s0, v1, 0
	s_load_dword s0, s[4:5], 0x38
	s_load_dwordx2 s[20:21], s[4:5], 0x40
	v_mad_i64_i32 v[5:6], s[4:5], s10, v0, 0
	s_ashr_i32 s11, s10, 31
	v_mad_u64_u32 v[7:8], s[4:5], s1, v1, v[4:5]
	v_lshlrev_b64 v[5:6], 1, v[5:6]
	s_waitcnt lgkmcnt(0)
	s_ashr_i32 s1, s0, 31
	v_mov_b32_e32 v4, v7
	v_lshlrev_b64 v[3:4], 1, v[3:4]
	s_lshl_b64 s[4:5], s[18:19], 1
	v_add_co_u32_e32 v11, vcc, v5, v3
	s_add_u32 s13, s16, s4
	v_addc_co_u32_e32 v4, vcc, v6, v4, vcc
	s_addc_u32 s16, s17, s5
	v_mad_u64_u32 v[5:6], s[4:5], s20, v1, 0
	v_mad_i64_i32 v[7:8], s[4:5], s0, v0, 0
	v_mov_b32_e32 v3, v6
	v_mad_u64_u32 v[9:10], s[4:5], s21, v1, v[3:4]
	v_mov_b32_e32 v12, s16
	v_add_co_u32_e32 v3, vcc, s13, v11
	v_mov_b32_e32 v6, v9
	v_lshlrev_b64 v[7:8], 1, v[7:8]
	v_lshlrev_b64 v[5:6], 1, v[5:6]
	v_addc_co_u32_e32 v4, vcc, v12, v4, vcc
	s_lshl_b64 s[4:5], s[10:11], 6
	s_lshl_b64 s[10:11], s[14:15], 1
	v_add_co_u32_e32 v5, vcc, v7, v5
	s_add_u32 s2, s2, s10
	v_addc_co_u32_e32 v6, vcc, v8, v6, vcc
	s_addc_u32 s3, s3, s11
	v_mov_b32_e32 v7, s3
	v_add_co_u32_e32 v5, vcc, s2, v5
	v_addc_co_u32_e32 v6, vcc, v7, v6, vcc
	s_lshl_b64 s[2:3], s[0:1], 6
	v_mov_b32_e32 v7, 0
	s_mov_b64 s[10:11], 0
	v_mov_b32_e32 v8, v0
.LBB0_3:                                ; =>This Inner Loop Header: Depth=1
	global_load_ushort v9, v[3:4], off
	global_load_ushort v10, v[5:6], off
	v_mov_b32_e32 v12, s3
	v_add_co_u32_e32 v5, vcc, s2, v5
	v_add_u32_e32 v8, 32, v8
	v_addc_co_u32_e32 v6, vcc, v6, v12, vcc
	v_mov_b32_e32 v11, s5
	v_add_co_u32_e64 v3, s[0:1], s4, v3
	v_cmp_le_i32_e32 vcc, s12, v8
	v_addc_co_u32_e64 v4, s[0:1], v4, v11, s[0:1]
	s_or_b64 s[10:11], vcc, s[10:11]
	s_waitcnt vmcnt(0)
	v_fma_f16 v7, v9, v10, v7
	s_andn2_b64 exec, exec, s[10:11]
	s_cbranch_execnz .LBB0_3
; %bb.4:
	s_or_b64 exec, exec, s[10:11]
.LBB0_5:
	s_or_b64 exec, exec, s[8:9]
	v_mbcnt_lo_u32_b32 v3, -1, 0
	v_mbcnt_hi_u32_b32 v3, -1, v3
	v_and_b32_e32 v4, 63, v3
	v_cmp_gt_u32_e32 vcc, 48, v4
	v_cndmask_b32_e64 v6, 0, 16, vcc
	v_and_b32_e32 v5, 0xffff, v7
	v_add_lshl_u32 v6, v6, v3, 2
	ds_bpermute_b32 v5, v6, v5
	v_cmp_gt_u32_e32 vcc, 56, v4
	s_mov_b32 s0, 0xffff0000
	s_waitcnt lgkmcnt(0)
	s_barrier
	v_add_f16_e32 v6, v7, v5
	v_cndmask_b32_e64 v7, 0, 8, vcc
	v_and_or_b32 v5, v5, s0, v6
	v_add_lshl_u32 v7, v7, v3, 2
	ds_bpermute_b32 v5, v7, v5
	v_cmp_gt_u32_e32 vcc, 60, v4
	v_cndmask_b32_e64 v7, 0, 4, vcc
	v_add_lshl_u32 v7, v7, v3, 2
	v_cmp_gt_u32_e32 vcc, 62, v4
	s_waitcnt lgkmcnt(0)
	v_add_f16_e32 v6, v6, v5
	v_and_or_b32 v5, v5, s0, v6
	ds_bpermute_b32 v5, v7, v5
	v_cndmask_b32_e64 v7, 0, 2, vcc
	v_add_lshl_u32 v7, v7, v3, 2
	v_cmp_ne_u32_e32 vcc, 63, v4
	v_addc_co_u32_e32 v4, vcc, 0, v3, vcc
	s_waitcnt lgkmcnt(0)
	v_add_f16_e32 v6, v6, v5
	v_and_or_b32 v5, v5, s0, v6
	ds_bpermute_b32 v5, v7, v5
	v_lshlrev_b32_e32 v4, 2, v4
	v_cmp_eq_u32_e32 vcc, 0, v0
	s_waitcnt lgkmcnt(0)
	v_add_f16_e32 v3, v6, v5
	v_and_or_b32 v5, v5, s0, v3
	ds_bpermute_b32 v4, v4, v5
	s_and_b64 exec, exec, vcc
	s_cbranch_execz .LBB0_7
; %bb.6:
	v_lshlrev_b64 v[0:1], 1, v[1:2]
	v_mov_b32_e32 v2, s7
	v_add_co_u32_e32 v0, vcc, s6, v0
	v_addc_co_u32_e32 v1, vcc, v2, v1, vcc
	s_waitcnt lgkmcnt(0)
	v_add_f16_e32 v2, v3, v4
	global_store_short v[0:1], v2, off
.LBB0_7:
	s_endpgm
	.section	.rodata,"a",@progbits
	.p2align	6, 0x0
	.amdhsa_kernel _ZL28rocblas_dot_batched_4_kernelIiLi32ELi4ELb0EDF16_DF16_PKDF16_EviT5_lT_lS2_lS3_liPT4_
		.amdhsa_group_segment_fixed_size 0
		.amdhsa_private_segment_fixed_size 0
		.amdhsa_kernarg_size 88
		.amdhsa_user_sgpr_count 6
		.amdhsa_user_sgpr_private_segment_buffer 1
		.amdhsa_user_sgpr_dispatch_ptr 0
		.amdhsa_user_sgpr_queue_ptr 0
		.amdhsa_user_sgpr_kernarg_segment_ptr 1
		.amdhsa_user_sgpr_dispatch_id 0
		.amdhsa_user_sgpr_flat_scratch_init 0
		.amdhsa_user_sgpr_private_segment_size 0
		.amdhsa_uses_dynamic_stack 0
		.amdhsa_system_sgpr_private_segment_wavefront_offset 0
		.amdhsa_system_sgpr_workgroup_id_x 1
		.amdhsa_system_sgpr_workgroup_id_y 0
		.amdhsa_system_sgpr_workgroup_id_z 0
		.amdhsa_system_sgpr_workgroup_info 0
		.amdhsa_system_vgpr_workitem_id 1
		.amdhsa_next_free_vgpr 13
		.amdhsa_next_free_sgpr 22
		.amdhsa_reserve_vcc 1
		.amdhsa_reserve_flat_scratch 0
		.amdhsa_float_round_mode_32 0
		.amdhsa_float_round_mode_16_64 0
		.amdhsa_float_denorm_mode_32 3
		.amdhsa_float_denorm_mode_16_64 3
		.amdhsa_dx10_clamp 1
		.amdhsa_ieee_mode 1
		.amdhsa_fp16_overflow 0
		.amdhsa_exception_fp_ieee_invalid_op 0
		.amdhsa_exception_fp_denorm_src 0
		.amdhsa_exception_fp_ieee_div_zero 0
		.amdhsa_exception_fp_ieee_overflow 0
		.amdhsa_exception_fp_ieee_underflow 0
		.amdhsa_exception_fp_ieee_inexact 0
		.amdhsa_exception_int_div_zero 0
	.end_amdhsa_kernel
	.section	.text._ZL28rocblas_dot_batched_4_kernelIiLi32ELi4ELb0EDF16_DF16_PKDF16_EviT5_lT_lS2_lS3_liPT4_,"axG",@progbits,_ZL28rocblas_dot_batched_4_kernelIiLi32ELi4ELb0EDF16_DF16_PKDF16_EviT5_lT_lS2_lS3_liPT4_,comdat
.Lfunc_end0:
	.size	_ZL28rocblas_dot_batched_4_kernelIiLi32ELi4ELb0EDF16_DF16_PKDF16_EviT5_lT_lS2_lS3_liPT4_, .Lfunc_end0-_ZL28rocblas_dot_batched_4_kernelIiLi32ELi4ELb0EDF16_DF16_PKDF16_EviT5_lT_lS2_lS3_liPT4_
                                        ; -- End function
	.set _ZL28rocblas_dot_batched_4_kernelIiLi32ELi4ELb0EDF16_DF16_PKDF16_EviT5_lT_lS2_lS3_liPT4_.num_vgpr, 13
	.set _ZL28rocblas_dot_batched_4_kernelIiLi32ELi4ELb0EDF16_DF16_PKDF16_EviT5_lT_lS2_lS3_liPT4_.num_agpr, 0
	.set _ZL28rocblas_dot_batched_4_kernelIiLi32ELi4ELb0EDF16_DF16_PKDF16_EviT5_lT_lS2_lS3_liPT4_.numbered_sgpr, 22
	.set _ZL28rocblas_dot_batched_4_kernelIiLi32ELi4ELb0EDF16_DF16_PKDF16_EviT5_lT_lS2_lS3_liPT4_.num_named_barrier, 0
	.set _ZL28rocblas_dot_batched_4_kernelIiLi32ELi4ELb0EDF16_DF16_PKDF16_EviT5_lT_lS2_lS3_liPT4_.private_seg_size, 0
	.set _ZL28rocblas_dot_batched_4_kernelIiLi32ELi4ELb0EDF16_DF16_PKDF16_EviT5_lT_lS2_lS3_liPT4_.uses_vcc, 1
	.set _ZL28rocblas_dot_batched_4_kernelIiLi32ELi4ELb0EDF16_DF16_PKDF16_EviT5_lT_lS2_lS3_liPT4_.uses_flat_scratch, 0
	.set _ZL28rocblas_dot_batched_4_kernelIiLi32ELi4ELb0EDF16_DF16_PKDF16_EviT5_lT_lS2_lS3_liPT4_.has_dyn_sized_stack, 0
	.set _ZL28rocblas_dot_batched_4_kernelIiLi32ELi4ELb0EDF16_DF16_PKDF16_EviT5_lT_lS2_lS3_liPT4_.has_recursion, 0
	.set _ZL28rocblas_dot_batched_4_kernelIiLi32ELi4ELb0EDF16_DF16_PKDF16_EviT5_lT_lS2_lS3_liPT4_.has_indirect_call, 0
	.section	.AMDGPU.csdata,"",@progbits
; Kernel info:
; codeLenInByte = 688
; TotalNumSgprs: 26
; NumVgprs: 13
; ScratchSize: 0
; MemoryBound: 0
; FloatMode: 240
; IeeeMode: 1
; LDSByteSize: 0 bytes/workgroup (compile time only)
; SGPRBlocks: 3
; VGPRBlocks: 3
; NumSGPRsForWavesPerEU: 26
; NumVGPRsForWavesPerEU: 13
; Occupancy: 10
; WaveLimiterHint : 0
; COMPUTE_PGM_RSRC2:SCRATCH_EN: 0
; COMPUTE_PGM_RSRC2:USER_SGPR: 6
; COMPUTE_PGM_RSRC2:TRAP_HANDLER: 0
; COMPUTE_PGM_RSRC2:TGID_X_EN: 1
; COMPUTE_PGM_RSRC2:TGID_Y_EN: 0
; COMPUTE_PGM_RSRC2:TGID_Z_EN: 0
; COMPUTE_PGM_RSRC2:TIDIG_COMP_CNT: 1
	.section	.text._ZL28rocblas_dot_batched_4_kernelIiLi64ELi4ELb0EDF16_DF16_PKDF16_EviT5_lT_lS2_lS3_liPT4_,"axG",@progbits,_ZL28rocblas_dot_batched_4_kernelIiLi64ELi4ELb0EDF16_DF16_PKDF16_EviT5_lT_lS2_lS3_liPT4_,comdat
	.globl	_ZL28rocblas_dot_batched_4_kernelIiLi64ELi4ELb0EDF16_DF16_PKDF16_EviT5_lT_lS2_lS3_liPT4_ ; -- Begin function _ZL28rocblas_dot_batched_4_kernelIiLi64ELi4ELb0EDF16_DF16_PKDF16_EviT5_lT_lS2_lS3_liPT4_
	.p2align	8
	.type	_ZL28rocblas_dot_batched_4_kernelIiLi64ELi4ELb0EDF16_DF16_PKDF16_EviT5_lT_lS2_lS3_liPT4_,@function
_ZL28rocblas_dot_batched_4_kernelIiLi64ELi4ELb0EDF16_DF16_PKDF16_EviT5_lT_lS2_lS3_liPT4_: ; @_ZL28rocblas_dot_batched_4_kernelIiLi64ELi4ELb0EDF16_DF16_PKDF16_EviT5_lT_lS2_lS3_liPT4_
; %bb.0:
	s_load_dword s0, s[4:5], 0x48
	v_lshl_add_u32 v1, s6, 2, v1
	s_waitcnt lgkmcnt(0)
	v_cmp_gt_u32_e32 vcc, s0, v1
	s_and_saveexec_b64 s[0:1], vcc
	s_cbranch_execz .LBB1_7
; %bb.1:
	s_load_dword s12, s[4:5], 0x0
	s_load_dwordx2 s[6:7], s[4:5], 0x50
	v_mov_b32_e32 v2, 0
	v_mov_b32_e32 v7, v2
	s_waitcnt lgkmcnt(0)
	v_cmp_gt_i32_e32 vcc, s12, v0
	s_and_saveexec_b64 s[8:9], vcc
	s_cbranch_execz .LBB1_5
; %bb.2:
	s_load_dwordx4 s[0:3], s[4:5], 0x20
	s_load_dwordx4 s[16:19], s[4:5], 0x8
	s_load_dword s10, s[4:5], 0x18
	s_load_dwordx2 s[14:15], s[4:5], 0x30
	s_waitcnt lgkmcnt(0)
	v_mad_u64_u32 v[3:4], s[20:21], s0, v1, 0
	s_load_dword s0, s[4:5], 0x38
	s_load_dwordx2 s[20:21], s[4:5], 0x40
	v_mad_i64_i32 v[5:6], s[4:5], s10, v0, 0
	s_ashr_i32 s11, s10, 31
	v_mad_u64_u32 v[7:8], s[4:5], s1, v1, v[4:5]
	v_lshlrev_b64 v[5:6], 1, v[5:6]
	s_waitcnt lgkmcnt(0)
	s_ashr_i32 s1, s0, 31
	v_mov_b32_e32 v4, v7
	v_lshlrev_b64 v[3:4], 1, v[3:4]
	s_lshl_b64 s[4:5], s[18:19], 1
	v_add_co_u32_e32 v11, vcc, v5, v3
	s_add_u32 s13, s16, s4
	v_addc_co_u32_e32 v4, vcc, v6, v4, vcc
	s_addc_u32 s16, s17, s5
	v_mad_u64_u32 v[5:6], s[4:5], s20, v1, 0
	v_mad_i64_i32 v[7:8], s[4:5], s0, v0, 0
	v_mov_b32_e32 v3, v6
	v_mad_u64_u32 v[9:10], s[4:5], s21, v1, v[3:4]
	v_mov_b32_e32 v12, s16
	v_add_co_u32_e32 v3, vcc, s13, v11
	v_mov_b32_e32 v6, v9
	v_lshlrev_b64 v[7:8], 1, v[7:8]
	v_lshlrev_b64 v[5:6], 1, v[5:6]
	v_addc_co_u32_e32 v4, vcc, v12, v4, vcc
	s_lshl_b64 s[4:5], s[10:11], 7
	s_lshl_b64 s[10:11], s[14:15], 1
	v_add_co_u32_e32 v5, vcc, v7, v5
	s_add_u32 s2, s2, s10
	v_addc_co_u32_e32 v6, vcc, v8, v6, vcc
	s_addc_u32 s3, s3, s11
	v_mov_b32_e32 v7, s3
	v_add_co_u32_e32 v5, vcc, s2, v5
	v_addc_co_u32_e32 v6, vcc, v7, v6, vcc
	s_lshl_b64 s[2:3], s[0:1], 7
	v_mov_b32_e32 v7, 0
	s_mov_b64 s[10:11], 0
	v_mov_b32_e32 v8, v0
.LBB1_3:                                ; =>This Inner Loop Header: Depth=1
	global_load_ushort v9, v[3:4], off
	global_load_ushort v10, v[5:6], off
	v_mov_b32_e32 v12, s3
	v_add_co_u32_e32 v5, vcc, s2, v5
	v_add_u32_e32 v8, 64, v8
	v_addc_co_u32_e32 v6, vcc, v6, v12, vcc
	v_mov_b32_e32 v11, s5
	v_add_co_u32_e64 v3, s[0:1], s4, v3
	v_cmp_le_i32_e32 vcc, s12, v8
	v_addc_co_u32_e64 v4, s[0:1], v4, v11, s[0:1]
	s_or_b64 s[10:11], vcc, s[10:11]
	s_waitcnt vmcnt(0)
	v_fma_f16 v7, v9, v10, v7
	s_andn2_b64 exec, exec, s[10:11]
	s_cbranch_execnz .LBB1_3
; %bb.4:
	s_or_b64 exec, exec, s[10:11]
.LBB1_5:
	s_or_b64 exec, exec, s[8:9]
	v_mbcnt_lo_u32_b32 v3, -1, 0
	v_mbcnt_hi_u32_b32 v3, -1, v3
	v_mov_b32_e32 v5, 0x80
	v_and_b32_e32 v4, 0xffff, v7
	v_lshl_or_b32 v5, v3, 2, v5
	ds_bpermute_b32 v4, v5, v4
	v_and_b32_e32 v5, 63, v3
	v_cmp_gt_u32_e32 vcc, 48, v5
	s_mov_b32 s0, 0xffff0000
	s_waitcnt lgkmcnt(0)
	v_add_f16_e32 v6, v7, v4
	v_cndmask_b32_e64 v7, 0, 16, vcc
	v_and_or_b32 v4, v4, s0, v6
	v_add_lshl_u32 v7, v7, v3, 2
	ds_bpermute_b32 v4, v7, v4
	v_cmp_gt_u32_e32 vcc, 56, v5
	v_cndmask_b32_e64 v7, 0, 8, vcc
	v_add_lshl_u32 v7, v7, v3, 2
	v_cmp_gt_u32_e32 vcc, 60, v5
	s_waitcnt lgkmcnt(0)
	v_add_f16_e32 v6, v6, v4
	v_and_or_b32 v4, v4, s0, v6
	ds_bpermute_b32 v4, v7, v4
	v_cndmask_b32_e64 v7, 0, 4, vcc
	v_add_lshl_u32 v7, v7, v3, 2
	v_cmp_gt_u32_e32 vcc, 62, v5
	s_waitcnt lgkmcnt(0)
	s_barrier
	v_add_f16_e32 v6, v6, v4
	v_and_or_b32 v4, v4, s0, v6
	ds_bpermute_b32 v4, v7, v4
	v_cndmask_b32_e64 v7, 0, 2, vcc
	v_add_lshl_u32 v7, v7, v3, 2
	v_cmp_ne_u32_e32 vcc, 63, v5
	v_addc_co_u32_e32 v5, vcc, 0, v3, vcc
	s_waitcnt lgkmcnt(0)
	v_add_f16_e32 v6, v6, v4
	v_and_or_b32 v4, v4, s0, v6
	ds_bpermute_b32 v4, v7, v4
	v_lshlrev_b32_e32 v5, 2, v5
	v_cmp_eq_u32_e32 vcc, 0, v0
	s_waitcnt lgkmcnt(0)
	v_add_f16_e32 v3, v6, v4
	v_and_or_b32 v4, v4, s0, v3
	ds_bpermute_b32 v4, v5, v4
	s_and_b64 exec, exec, vcc
	s_cbranch_execz .LBB1_7
; %bb.6:
	v_lshlrev_b64 v[0:1], 1, v[1:2]
	v_mov_b32_e32 v2, s7
	v_add_co_u32_e32 v0, vcc, s6, v0
	v_addc_co_u32_e32 v1, vcc, v2, v1, vcc
	s_waitcnt lgkmcnt(0)
	v_add_f16_e32 v2, v3, v4
	global_store_short v[0:1], v2, off
.LBB1_7:
	s_endpgm
	.section	.rodata,"a",@progbits
	.p2align	6, 0x0
	.amdhsa_kernel _ZL28rocblas_dot_batched_4_kernelIiLi64ELi4ELb0EDF16_DF16_PKDF16_EviT5_lT_lS2_lS3_liPT4_
		.amdhsa_group_segment_fixed_size 0
		.amdhsa_private_segment_fixed_size 0
		.amdhsa_kernarg_size 88
		.amdhsa_user_sgpr_count 6
		.amdhsa_user_sgpr_private_segment_buffer 1
		.amdhsa_user_sgpr_dispatch_ptr 0
		.amdhsa_user_sgpr_queue_ptr 0
		.amdhsa_user_sgpr_kernarg_segment_ptr 1
		.amdhsa_user_sgpr_dispatch_id 0
		.amdhsa_user_sgpr_flat_scratch_init 0
		.amdhsa_user_sgpr_private_segment_size 0
		.amdhsa_uses_dynamic_stack 0
		.amdhsa_system_sgpr_private_segment_wavefront_offset 0
		.amdhsa_system_sgpr_workgroup_id_x 1
		.amdhsa_system_sgpr_workgroup_id_y 0
		.amdhsa_system_sgpr_workgroup_id_z 0
		.amdhsa_system_sgpr_workgroup_info 0
		.amdhsa_system_vgpr_workitem_id 1
		.amdhsa_next_free_vgpr 13
		.amdhsa_next_free_sgpr 22
		.amdhsa_reserve_vcc 1
		.amdhsa_reserve_flat_scratch 0
		.amdhsa_float_round_mode_32 0
		.amdhsa_float_round_mode_16_64 0
		.amdhsa_float_denorm_mode_32 3
		.amdhsa_float_denorm_mode_16_64 3
		.amdhsa_dx10_clamp 1
		.amdhsa_ieee_mode 1
		.amdhsa_fp16_overflow 0
		.amdhsa_exception_fp_ieee_invalid_op 0
		.amdhsa_exception_fp_denorm_src 0
		.amdhsa_exception_fp_ieee_div_zero 0
		.amdhsa_exception_fp_ieee_overflow 0
		.amdhsa_exception_fp_ieee_underflow 0
		.amdhsa_exception_fp_ieee_inexact 0
		.amdhsa_exception_int_div_zero 0
	.end_amdhsa_kernel
	.section	.text._ZL28rocblas_dot_batched_4_kernelIiLi64ELi4ELb0EDF16_DF16_PKDF16_EviT5_lT_lS2_lS3_liPT4_,"axG",@progbits,_ZL28rocblas_dot_batched_4_kernelIiLi64ELi4ELb0EDF16_DF16_PKDF16_EviT5_lT_lS2_lS3_liPT4_,comdat
.Lfunc_end1:
	.size	_ZL28rocblas_dot_batched_4_kernelIiLi64ELi4ELb0EDF16_DF16_PKDF16_EviT5_lT_lS2_lS3_liPT4_, .Lfunc_end1-_ZL28rocblas_dot_batched_4_kernelIiLi64ELi4ELb0EDF16_DF16_PKDF16_EviT5_lT_lS2_lS3_liPT4_
                                        ; -- End function
	.set _ZL28rocblas_dot_batched_4_kernelIiLi64ELi4ELb0EDF16_DF16_PKDF16_EviT5_lT_lS2_lS3_liPT4_.num_vgpr, 13
	.set _ZL28rocblas_dot_batched_4_kernelIiLi64ELi4ELb0EDF16_DF16_PKDF16_EviT5_lT_lS2_lS3_liPT4_.num_agpr, 0
	.set _ZL28rocblas_dot_batched_4_kernelIiLi64ELi4ELb0EDF16_DF16_PKDF16_EviT5_lT_lS2_lS3_liPT4_.numbered_sgpr, 22
	.set _ZL28rocblas_dot_batched_4_kernelIiLi64ELi4ELb0EDF16_DF16_PKDF16_EviT5_lT_lS2_lS3_liPT4_.num_named_barrier, 0
	.set _ZL28rocblas_dot_batched_4_kernelIiLi64ELi4ELb0EDF16_DF16_PKDF16_EviT5_lT_lS2_lS3_liPT4_.private_seg_size, 0
	.set _ZL28rocblas_dot_batched_4_kernelIiLi64ELi4ELb0EDF16_DF16_PKDF16_EviT5_lT_lS2_lS3_liPT4_.uses_vcc, 1
	.set _ZL28rocblas_dot_batched_4_kernelIiLi64ELi4ELb0EDF16_DF16_PKDF16_EviT5_lT_lS2_lS3_liPT4_.uses_flat_scratch, 0
	.set _ZL28rocblas_dot_batched_4_kernelIiLi64ELi4ELb0EDF16_DF16_PKDF16_EviT5_lT_lS2_lS3_liPT4_.has_dyn_sized_stack, 0
	.set _ZL28rocblas_dot_batched_4_kernelIiLi64ELi4ELb0EDF16_DF16_PKDF16_EviT5_lT_lS2_lS3_liPT4_.has_recursion, 0
	.set _ZL28rocblas_dot_batched_4_kernelIiLi64ELi4ELb0EDF16_DF16_PKDF16_EviT5_lT_lS2_lS3_liPT4_.has_indirect_call, 0
	.section	.AMDGPU.csdata,"",@progbits
; Kernel info:
; codeLenInByte = 728
; TotalNumSgprs: 26
; NumVgprs: 13
; ScratchSize: 0
; MemoryBound: 0
; FloatMode: 240
; IeeeMode: 1
; LDSByteSize: 0 bytes/workgroup (compile time only)
; SGPRBlocks: 3
; VGPRBlocks: 3
; NumSGPRsForWavesPerEU: 26
; NumVGPRsForWavesPerEU: 13
; Occupancy: 10
; WaveLimiterHint : 0
; COMPUTE_PGM_RSRC2:SCRATCH_EN: 0
; COMPUTE_PGM_RSRC2:USER_SGPR: 6
; COMPUTE_PGM_RSRC2:TRAP_HANDLER: 0
; COMPUTE_PGM_RSRC2:TGID_X_EN: 1
; COMPUTE_PGM_RSRC2:TGID_Y_EN: 0
; COMPUTE_PGM_RSRC2:TGID_Z_EN: 0
; COMPUTE_PGM_RSRC2:TIDIG_COMP_CNT: 1
	.section	.text._ZL26rocblas_dot_kernel_inc1by2ILb1ELi1024ELi32ELb0EDF16_PKDF16_DF16_EviT4_llS2_lliPT5_PT3_,"axG",@progbits,_ZL26rocblas_dot_kernel_inc1by2ILb1ELi1024ELi32ELb0EDF16_PKDF16_DF16_EviT4_llS2_lliPT5_PT3_,comdat
	.globl	_ZL26rocblas_dot_kernel_inc1by2ILb1ELi1024ELi32ELb0EDF16_PKDF16_DF16_EviT4_llS2_lliPT5_PT3_ ; -- Begin function _ZL26rocblas_dot_kernel_inc1by2ILb1ELi1024ELi32ELb0EDF16_PKDF16_DF16_EviT4_llS2_lliPT5_PT3_
	.p2align	8
	.type	_ZL26rocblas_dot_kernel_inc1by2ILb1ELi1024ELi32ELb0EDF16_PKDF16_DF16_EviT4_llS2_lliPT5_PT3_,@function
_ZL26rocblas_dot_kernel_inc1by2ILb1ELi1024ELi32ELb0EDF16_PKDF16_DF16_EviT4_llS2_lliPT5_PT3_: ; @_ZL26rocblas_dot_kernel_inc1by2ILb1ELi1024ELi32ELb0EDF16_PKDF16_DF16_EviT4_llS2_lliPT5_PT3_
; %bb.0:
	s_mov_b32 s2, s7
	s_load_dword s24, s[4:5], 0x0
	s_load_dwordx2 s[18:19], s[4:5], 0x8
	s_load_dwordx4 s[12:15], s[4:5], 0x10
	s_load_dwordx2 s[16:17], s[4:5], 0x20
	s_load_dwordx2 s[6:7], s[4:5], 0x48
	s_load_dwordx4 s[8:11], s[4:5], 0x28
	v_lshlrev_b32_e32 v6, 1, v0
	s_waitcnt lgkmcnt(0)
	s_mul_i32 s0, s15, s2
	s_mul_hi_u32 s1, s14, s2
	s_add_i32 s15, s1, s0
	s_mul_i32 s0, s11, s2
	s_mul_hi_u32 s1, s10, s2
	s_add_i32 s4, s24, -1
	s_mov_b32 s3, 0
	s_mul_i32 s14, s14, s2
	s_add_i32 s11, s1, s0
	s_mul_i32 s10, s10, s2
	v_cmp_gt_i32_e32 vcc, s4, v6
	v_mov_b32_e32 v5, 0
	s_and_saveexec_b64 s[20:21], vcc
	s_cbranch_execz .LBB2_4
; %bb.1:
	s_lshl_b64 s[0:1], s[10:11], 1
	s_lshl_b64 s[22:23], s[8:9], 1
	s_add_u32 s5, s16, s22
	s_addc_u32 s22, s17, s23
	s_add_u32 s0, s5, s0
	v_lshlrev_b32_e32 v3, 2, v0
	s_addc_u32 s1, s22, s1
	v_mov_b32_e32 v2, s1
	v_add_co_u32_e32 v1, vcc, s0, v3
	s_lshl_b64 s[0:1], s[14:15], 1
	s_lshl_b64 s[22:23], s[12:13], 1
	s_add_u32 s5, s18, s22
	s_addc_u32 s22, s19, s23
	s_add_u32 s0, s5, s0
	v_addc_co_u32_e32 v2, vcc, 0, v2, vcc
	s_addc_u32 s1, s22, s1
	v_mov_b32_e32 v4, s1
	v_add_co_u32_e32 v3, vcc, s0, v3
	v_mov_b32_e32 v5, 0
	v_addc_co_u32_e32 v4, vcc, 0, v4, vcc
	s_mov_b64 s[22:23], 0
	s_mov_b32 s5, s3
.LBB2_2:                                ; =>This Inner Loop Header: Depth=1
	global_load_dword v7, v[1:2], off
	global_load_dword v8, v[3:4], off
	s_add_i32 s25, s5, 1
	v_add_u32_e32 v6, 0x800, v6
	s_cmp_gt_u32 s5, 30
	v_add_co_u32_e32 v1, vcc, 0x1000, v1
	v_cmp_le_i32_e64 s[0:1], s4, v6
	s_cselect_b64 s[26:27], -1, 0
	v_addc_co_u32_e32 v2, vcc, 0, v2, vcc
	s_or_b64 s[0:1], s[26:27], s[0:1]
	v_add_co_u32_e32 v3, vcc, 0x1000, v3
	s_and_b64 s[0:1], exec, s[0:1]
	s_mov_b32 s5, s25
	v_addc_co_u32_e32 v4, vcc, 0, v4, vcc
	s_or_b64 s[22:23], s[0:1], s[22:23]
	s_waitcnt vmcnt(0)
	v_pk_mul_f16 v7, v7, v8
	v_add_f16_e32 v5, v5, v7
	v_add_f16_sdwa v5, v5, v7 dst_sel:DWORD dst_unused:UNUSED_PAD src0_sel:DWORD src1_sel:WORD_1
	s_andn2_b64 exec, exec, s[22:23]
	s_cbranch_execnz .LBB2_2
; %bb.3:
	s_or_b64 exec, exec, s[22:23]
.LBB2_4:
	s_or_b64 exec, exec, s[20:21]
	s_bitcmp1_b32 s24, 0
	s_cselect_b64 s[0:1], -1, 0
	v_cmp_eq_u32_e32 vcc, s4, v6
	s_and_b64 s[20:21], s[0:1], vcc
	s_and_saveexec_b64 s[0:1], s[20:21]
	s_cbranch_execz .LBB2_6
; %bb.5:
	s_lshl_b64 s[14:15], s[14:15], 1
	s_add_u32 s5, s18, s14
	s_addc_u32 s14, s19, s15
	s_lshl_b64 s[12:13], s[12:13], 1
	s_add_u32 s12, s5, s12
	s_addc_u32 s13, s14, s13
	;; [unrolled: 3-line block ×3, first 2 shown]
	s_lshl_b64 s[8:9], s[8:9], 1
	s_add_u32 s11, s5, s8
	s_mov_b32 s5, 0
	s_addc_u32 s10, s10, s9
	s_lshl_b64 s[4:5], s[4:5], 1
	s_add_u32 s8, s12, s4
	s_addc_u32 s9, s13, s5
	s_add_u32 s4, s11, s4
	v_mov_b32_e32 v1, 0
	s_addc_u32 s5, s10, s5
	global_load_ushort v2, v1, s[4:5]
	global_load_ushort v3, v1, s[8:9]
	s_waitcnt vmcnt(0)
	v_fma_f16 v5, v2, v3, v5
.LBB2_6:
	s_or_b64 exec, exec, s[0:1]
	v_and_b32_e32 v3, 63, v0
	v_cmp_gt_u32_e32 vcc, 64, v0
	v_lshlrev_b32_e32 v1, 1, v3
	s_and_saveexec_b64 s[0:1], vcc
; %bb.7:
	v_mov_b32_e32 v2, 0
	ds_write_b16 v1, v2
; %bb.8:
	s_or_b64 exec, exec, s[0:1]
	v_mbcnt_lo_u32_b32 v2, -1, 0
	v_mbcnt_hi_u32_b32 v6, -1, v2
	v_mov_b32_e32 v4, 0x80
	v_and_b32_e32 v2, 0xffff, v5
	v_lshl_or_b32 v4, v6, 2, v4
	ds_bpermute_b32 v2, v4, v2
	v_and_b32_e32 v7, 63, v6
	v_cmp_gt_u32_e64 s[0:1], 48, v7
	s_mov_b32 s4, 0xffff0000
	s_waitcnt lgkmcnt(0)
	v_add_f16_e32 v4, v5, v2
	v_cndmask_b32_e64 v5, 0, 16, s[0:1]
	v_and_or_b32 v2, v2, s4, v4
	v_add_lshl_u32 v5, v5, v6, 2
	ds_bpermute_b32 v2, v5, v2
	v_cmp_gt_u32_e64 s[0:1], 56, v7
	s_waitcnt lgkmcnt(0)
	s_barrier
	v_add_f16_e32 v4, v4, v2
	v_and_or_b32 v5, v2, s4, v4
	v_cndmask_b32_e64 v2, 0, 8, s[0:1]
	v_add_lshl_u32 v2, v2, v6, 2
	ds_bpermute_b32 v5, v2, v5
	v_cmp_gt_u32_e64 s[0:1], 60, v7
	v_cndmask_b32_e64 v8, 0, 4, s[0:1]
	v_cmp_gt_u32_e64 s[0:1], 62, v7
	s_waitcnt lgkmcnt(0)
	v_add_f16_e32 v9, v4, v5
	v_and_or_b32 v5, v5, s4, v9
	v_add_lshl_u32 v4, v8, v6, 2
	ds_bpermute_b32 v8, v4, v5
	v_cndmask_b32_e64 v5, 0, 2, s[0:1]
	v_add_lshl_u32 v5, v5, v6, 2
	v_cmp_ne_u32_e64 s[0:1], 63, v7
	v_addc_co_u32_e64 v6, s[0:1], 0, v6, s[0:1]
	s_waitcnt lgkmcnt(0)
	v_add_f16_e32 v9, v9, v8
	v_and_or_b32 v8, v8, s4, v9
	ds_bpermute_b32 v8, v5, v8
	v_lshlrev_b32_e32 v6, 2, v6
	v_cmp_eq_u32_e64 s[0:1], 0, v3
	s_waitcnt lgkmcnt(0)
	v_add_f16_e32 v7, v9, v8
	v_and_or_b32 v8, v8, s4, v7
	ds_bpermute_b32 v8, v6, v8
	s_and_saveexec_b64 s[4:5], s[0:1]
	s_cbranch_execz .LBB2_10
; %bb.9:
	s_waitcnt lgkmcnt(0)
	v_add_f16_e32 v3, v7, v8
	v_lshrrev_b32_e32 v7, 5, v0
	v_and_b32_e32 v7, 30, v7
	ds_write_b16 v7, v3
.LBB2_10:
	s_or_b64 exec, exec, s[4:5]
	v_cmp_gt_u32_e64 s[0:1], 16, v0
	v_mov_b32_e32 v3, 0
	s_waitcnt lgkmcnt(0)
	s_barrier
	s_and_saveexec_b64 s[4:5], s[0:1]
	s_cbranch_execnz .LBB2_14
; %bb.11:
	s_or_b64 exec, exec, s[4:5]
	s_and_saveexec_b64 s[0:1], vcc
	s_cbranch_execnz .LBB2_15
.LBB2_12:
	s_or_b64 exec, exec, s[0:1]
	v_cmp_eq_u32_e32 vcc, 0, v0
	s_and_saveexec_b64 s[0:1], vcc
	s_cbranch_execnz .LBB2_16
.LBB2_13:
	s_endpgm
.LBB2_14:
	ds_read_u16 v3, v1
	s_or_b64 exec, exec, s[4:5]
	s_and_saveexec_b64 s[0:1], vcc
	s_cbranch_execz .LBB2_12
.LBB2_15:
	s_waitcnt lgkmcnt(0)
	v_and_b32_e32 v1, 0xffff, v3
	ds_bpermute_b32 v1, v2, v1
	s_mov_b32 s4, 0xffff0000
	s_waitcnt lgkmcnt(0)
	v_add_f16_e32 v2, v3, v1
	v_and_or_b32 v1, v1, s4, v2
	ds_bpermute_b32 v1, v4, v1
	s_waitcnt lgkmcnt(0)
	v_add_f16_e32 v2, v2, v1
	v_and_or_b32 v1, v1, s4, v2
	ds_bpermute_b32 v1, v5, v1
	;; [unrolled: 4-line block ×3, first 2 shown]
	s_waitcnt lgkmcnt(0)
	v_add_f16_e32 v3, v2, v1
	s_or_b64 exec, exec, s[0:1]
	v_cmp_eq_u32_e32 vcc, 0, v0
	s_and_saveexec_b64 s[0:1], vcc
	s_cbranch_execz .LBB2_13
.LBB2_16:
	s_lshl_b64 s[0:1], s[2:3], 1
	s_add_u32 s0, s6, s0
	s_addc_u32 s1, s7, s1
	v_mov_b32_e32 v0, 0
	s_waitcnt lgkmcnt(0)
	global_store_short v0, v3, s[0:1]
	s_endpgm
	.section	.rodata,"a",@progbits
	.p2align	6, 0x0
	.amdhsa_kernel _ZL26rocblas_dot_kernel_inc1by2ILb1ELi1024ELi32ELb0EDF16_PKDF16_DF16_EviT4_llS2_lliPT5_PT3_
		.amdhsa_group_segment_fixed_size 128
		.amdhsa_private_segment_fixed_size 0
		.amdhsa_kernarg_size 80
		.amdhsa_user_sgpr_count 6
		.amdhsa_user_sgpr_private_segment_buffer 1
		.amdhsa_user_sgpr_dispatch_ptr 0
		.amdhsa_user_sgpr_queue_ptr 0
		.amdhsa_user_sgpr_kernarg_segment_ptr 1
		.amdhsa_user_sgpr_dispatch_id 0
		.amdhsa_user_sgpr_flat_scratch_init 0
		.amdhsa_user_sgpr_private_segment_size 0
		.amdhsa_uses_dynamic_stack 0
		.amdhsa_system_sgpr_private_segment_wavefront_offset 0
		.amdhsa_system_sgpr_workgroup_id_x 1
		.amdhsa_system_sgpr_workgroup_id_y 0
		.amdhsa_system_sgpr_workgroup_id_z 1
		.amdhsa_system_sgpr_workgroup_info 0
		.amdhsa_system_vgpr_workitem_id 0
		.amdhsa_next_free_vgpr 10
		.amdhsa_next_free_sgpr 28
		.amdhsa_reserve_vcc 1
		.amdhsa_reserve_flat_scratch 0
		.amdhsa_float_round_mode_32 0
		.amdhsa_float_round_mode_16_64 0
		.amdhsa_float_denorm_mode_32 3
		.amdhsa_float_denorm_mode_16_64 3
		.amdhsa_dx10_clamp 1
		.amdhsa_ieee_mode 1
		.amdhsa_fp16_overflow 0
		.amdhsa_exception_fp_ieee_invalid_op 0
		.amdhsa_exception_fp_denorm_src 0
		.amdhsa_exception_fp_ieee_div_zero 0
		.amdhsa_exception_fp_ieee_overflow 0
		.amdhsa_exception_fp_ieee_underflow 0
		.amdhsa_exception_fp_ieee_inexact 0
		.amdhsa_exception_int_div_zero 0
	.end_amdhsa_kernel
	.section	.text._ZL26rocblas_dot_kernel_inc1by2ILb1ELi1024ELi32ELb0EDF16_PKDF16_DF16_EviT4_llS2_lliPT5_PT3_,"axG",@progbits,_ZL26rocblas_dot_kernel_inc1by2ILb1ELi1024ELi32ELb0EDF16_PKDF16_DF16_EviT4_llS2_lliPT5_PT3_,comdat
.Lfunc_end2:
	.size	_ZL26rocblas_dot_kernel_inc1by2ILb1ELi1024ELi32ELb0EDF16_PKDF16_DF16_EviT4_llS2_lliPT5_PT3_, .Lfunc_end2-_ZL26rocblas_dot_kernel_inc1by2ILb1ELi1024ELi32ELb0EDF16_PKDF16_DF16_EviT4_llS2_lliPT5_PT3_
                                        ; -- End function
	.set _ZL26rocblas_dot_kernel_inc1by2ILb1ELi1024ELi32ELb0EDF16_PKDF16_DF16_EviT4_llS2_lliPT5_PT3_.num_vgpr, 10
	.set _ZL26rocblas_dot_kernel_inc1by2ILb1ELi1024ELi32ELb0EDF16_PKDF16_DF16_EviT4_llS2_lliPT5_PT3_.num_agpr, 0
	.set _ZL26rocblas_dot_kernel_inc1by2ILb1ELi1024ELi32ELb0EDF16_PKDF16_DF16_EviT4_llS2_lliPT5_PT3_.numbered_sgpr, 28
	.set _ZL26rocblas_dot_kernel_inc1by2ILb1ELi1024ELi32ELb0EDF16_PKDF16_DF16_EviT4_llS2_lliPT5_PT3_.num_named_barrier, 0
	.set _ZL26rocblas_dot_kernel_inc1by2ILb1ELi1024ELi32ELb0EDF16_PKDF16_DF16_EviT4_llS2_lliPT5_PT3_.private_seg_size, 0
	.set _ZL26rocblas_dot_kernel_inc1by2ILb1ELi1024ELi32ELb0EDF16_PKDF16_DF16_EviT4_llS2_lliPT5_PT3_.uses_vcc, 1
	.set _ZL26rocblas_dot_kernel_inc1by2ILb1ELi1024ELi32ELb0EDF16_PKDF16_DF16_EviT4_llS2_lliPT5_PT3_.uses_flat_scratch, 0
	.set _ZL26rocblas_dot_kernel_inc1by2ILb1ELi1024ELi32ELb0EDF16_PKDF16_DF16_EviT4_llS2_lliPT5_PT3_.has_dyn_sized_stack, 0
	.set _ZL26rocblas_dot_kernel_inc1by2ILb1ELi1024ELi32ELb0EDF16_PKDF16_DF16_EviT4_llS2_lliPT5_PT3_.has_recursion, 0
	.set _ZL26rocblas_dot_kernel_inc1by2ILb1ELi1024ELi32ELb0EDF16_PKDF16_DF16_EviT4_llS2_lliPT5_PT3_.has_indirect_call, 0
	.section	.AMDGPU.csdata,"",@progbits
; Kernel info:
; codeLenInByte = 1072
; TotalNumSgprs: 32
; NumVgprs: 10
; ScratchSize: 0
; MemoryBound: 0
; FloatMode: 240
; IeeeMode: 1
; LDSByteSize: 128 bytes/workgroup (compile time only)
; SGPRBlocks: 3
; VGPRBlocks: 2
; NumSGPRsForWavesPerEU: 32
; NumVGPRsForWavesPerEU: 10
; Occupancy: 10
; WaveLimiterHint : 0
; COMPUTE_PGM_RSRC2:SCRATCH_EN: 0
; COMPUTE_PGM_RSRC2:USER_SGPR: 6
; COMPUTE_PGM_RSRC2:TRAP_HANDLER: 0
; COMPUTE_PGM_RSRC2:TGID_X_EN: 1
; COMPUTE_PGM_RSRC2:TGID_Y_EN: 0
; COMPUTE_PGM_RSRC2:TGID_Z_EN: 1
; COMPUTE_PGM_RSRC2:TIDIG_COMP_CNT: 0
	.section	.text._ZL18rocblas_dot_kernelIiLb1ELi1024ELi32ELb0EDF16_PKDF16_DF16_EviT5_lT_lS2_lS3_liPT6_PT4_,"axG",@progbits,_ZL18rocblas_dot_kernelIiLb1ELi1024ELi32ELb0EDF16_PKDF16_DF16_EviT5_lT_lS2_lS3_liPT6_PT4_,comdat
	.globl	_ZL18rocblas_dot_kernelIiLb1ELi1024ELi32ELb0EDF16_PKDF16_DF16_EviT5_lT_lS2_lS3_liPT6_PT4_ ; -- Begin function _ZL18rocblas_dot_kernelIiLb1ELi1024ELi32ELb0EDF16_PKDF16_DF16_EviT5_lT_lS2_lS3_liPT6_PT4_
	.p2align	8
	.type	_ZL18rocblas_dot_kernelIiLb1ELi1024ELi32ELb0EDF16_PKDF16_DF16_EviT5_lT_lS2_lS3_liPT6_PT4_,@function
_ZL18rocblas_dot_kernelIiLb1ELi1024ELi32ELb0EDF16_PKDF16_DF16_EviT5_lT_lS2_lS3_liPT6_PT4_: ; @_ZL18rocblas_dot_kernelIiLb1ELi1024ELi32ELb0EDF16_PKDF16_DF16_EviT5_lT_lS2_lS3_liPT6_PT4_
; %bb.0:
	s_load_dword s14, s[4:5], 0x0
	s_load_dwordx2 s[8:9], s[4:5], 0x58
	s_mov_b32 s6, s7
	s_mov_b32 s7, 0
	v_mov_b32_e32 v6, 0
	s_waitcnt lgkmcnt(0)
	v_cmp_gt_i32_e32 vcc, s14, v0
	s_and_saveexec_b64 s[10:11], vcc
	s_cbranch_execz .LBB3_4
; %bb.1:
	s_load_dword s22, s[4:5], 0x38
	s_load_dwordx2 s[12:13], s[4:5], 0x40
	s_load_dword s15, s[4:5], 0x60
	s_load_dwordx4 s[0:3], s[4:5], 0x20
	s_load_dwordx4 s[16:19], s[4:5], 0x8
	s_load_dword s23, s[4:5], 0x18
	s_load_dwordx2 s[20:21], s[4:5], 0x30
	s_waitcnt lgkmcnt(0)
	s_lshl_b32 s15, s15, 10
	s_mul_i32 s1, s1, s6
	s_mul_hi_u32 s24, s0, s6
	v_mad_i64_i32 v[1:2], s[4:5], s23, v0, 0
	s_add_i32 s1, s24, s1
	s_mul_i32 s0, s0, s6
	s_lshl_b64 s[0:1], s[0:1], 1
	s_lshl_b64 s[4:5], s[18:19], 1
	s_add_u32 s4, s16, s4
	s_addc_u32 s5, s17, s5
	v_lshlrev_b64 v[1:2], 1, v[1:2]
	s_add_u32 s0, s4, s0
	s_addc_u32 s1, s5, s1
	v_mov_b32_e32 v3, s1
	v_add_co_u32_e32 v1, vcc, s0, v1
	s_mul_hi_i32 s1, s23, s15
	s_mul_i32 s0, s23, s15
	v_addc_co_u32_e32 v2, vcc, v3, v2, vcc
	s_lshl_b64 s[4:5], s[0:1], 1
	s_mul_i32 s13, s13, s6
	s_mul_hi_u32 s16, s12, s6
	v_mad_i64_i32 v[3:4], s[0:1], s22, v0, 0
	s_add_i32 s1, s16, s13
	s_mul_i32 s0, s12, s6
	s_lshl_b64 s[0:1], s[0:1], 1
	s_lshl_b64 s[12:13], s[20:21], 1
	s_add_u32 s2, s2, s12
	s_addc_u32 s3, s3, s13
	v_lshlrev_b64 v[3:4], 1, v[3:4]
	s_add_u32 s0, s2, s0
	s_addc_u32 s1, s3, s1
	v_mov_b32_e32 v6, s1
	v_add_co_u32_e32 v3, vcc, s0, v3
	s_mul_hi_i32 s1, s22, s15
	s_mul_i32 s0, s22, s15
	s_lshl_b64 s[2:3], s[0:1], 1
	v_or_b32_e32 v5, s15, v0
	v_addc_co_u32_e32 v4, vcc, v6, v4, vcc
	v_mov_b32_e32 v6, 0
	s_mov_b64 s[12:13], 0
	v_mov_b32_e32 v7, s5
	v_mov_b32_e32 v8, s3
	s_mov_b32 s3, s7
.LBB3_2:                                ; =>This Inner Loop Header: Depth=1
	global_load_ushort v9, v[3:4], off
	global_load_ushort v10, v[1:2], off
	v_add_co_u32_e64 v1, s[0:1], s4, v1
	v_addc_co_u32_e64 v2, s[0:1], v2, v7, s[0:1]
	s_add_i32 s5, s3, 1
	v_add_co_u32_e64 v3, s[0:1], s2, v3
	v_addc_co_u32_e64 v4, s[0:1], v4, v8, s[0:1]
	s_cmp_gt_u32 s3, 30
	v_cmp_le_i32_e32 vcc, s14, v5
	s_cselect_b64 s[0:1], -1, 0
	s_or_b64 s[0:1], s[0:1], vcc
	s_and_b64 s[0:1], exec, s[0:1]
	v_add_u32_e32 v5, s15, v5
	s_mov_b32 s3, s5
	s_or_b64 s[12:13], s[0:1], s[12:13]
	s_waitcnt vmcnt(0)
	v_fma_f16 v6, v9, v10, v6
	s_andn2_b64 exec, exec, s[12:13]
	s_cbranch_execnz .LBB3_2
; %bb.3:
	s_or_b64 exec, exec, s[12:13]
.LBB3_4:
	s_or_b64 exec, exec, s[10:11]
	v_and_b32_e32 v3, 63, v0
	v_cmp_gt_u32_e32 vcc, 64, v0
	v_lshlrev_b32_e32 v1, 1, v3
	s_and_saveexec_b64 s[0:1], vcc
; %bb.5:
	v_mov_b32_e32 v2, 0
	ds_write_b16 v1, v2
; %bb.6:
	s_or_b64 exec, exec, s[0:1]
	v_mbcnt_lo_u32_b32 v2, -1, 0
	v_mbcnt_hi_u32_b32 v7, -1, v2
	v_mov_b32_e32 v4, 0x80
	v_and_b32_e32 v2, 0xffff, v6
	v_lshl_or_b32 v4, v7, 2, v4
	ds_bpermute_b32 v2, v4, v2
	v_and_b32_e32 v8, 63, v7
	v_cmp_gt_u32_e64 s[0:1], 48, v8
	s_mov_b32 s2, 0xffff0000
	v_cndmask_b32_e64 v5, 0, 16, s[0:1]
	s_waitcnt lgkmcnt(0)
	v_add_f16_e32 v4, v6, v2
	v_and_or_b32 v2, v2, s2, v4
	v_add_lshl_u32 v5, v5, v7, 2
	ds_bpermute_b32 v2, v5, v2
	v_cmp_gt_u32_e64 s[0:1], 56, v8
	s_waitcnt lgkmcnt(0)
	s_barrier
	v_add_f16_e32 v4, v4, v2
	v_and_or_b32 v5, v2, s2, v4
	v_cndmask_b32_e64 v2, 0, 8, s[0:1]
	v_add_lshl_u32 v2, v2, v7, 2
	ds_bpermute_b32 v5, v2, v5
	v_cmp_gt_u32_e64 s[0:1], 60, v8
	v_cndmask_b32_e64 v6, 0, 4, s[0:1]
	v_cmp_gt_u32_e64 s[0:1], 62, v8
	s_waitcnt lgkmcnt(0)
	v_add_f16_e32 v9, v4, v5
	v_and_or_b32 v5, v5, s2, v9
	v_add_lshl_u32 v4, v6, v7, 2
	ds_bpermute_b32 v6, v4, v5
	v_cndmask_b32_e64 v5, 0, 2, s[0:1]
	v_add_lshl_u32 v5, v5, v7, 2
	v_cmp_ne_u32_e64 s[0:1], 63, v8
	v_addc_co_u32_e64 v8, s[0:1], 0, v7, s[0:1]
	s_waitcnt lgkmcnt(0)
	v_add_f16_e32 v9, v9, v6
	v_and_or_b32 v6, v6, s2, v9
	ds_bpermute_b32 v6, v5, v6
	v_cmp_eq_u32_e64 s[0:1], 0, v3
	s_waitcnt lgkmcnt(0)
	v_add_f16_e32 v7, v9, v6
	v_and_or_b32 v9, v6, s2, v7
	v_lshlrev_b32_e32 v6, 2, v8
	ds_bpermute_b32 v8, v6, v9
	s_and_saveexec_b64 s[2:3], s[0:1]
	s_cbranch_execz .LBB3_8
; %bb.7:
	s_waitcnt lgkmcnt(0)
	v_add_f16_e32 v3, v7, v8
	v_lshrrev_b32_e32 v7, 5, v0
	v_and_b32_e32 v7, 30, v7
	ds_write_b16 v7, v3
.LBB3_8:
	s_or_b64 exec, exec, s[2:3]
	v_cmp_gt_u32_e64 s[0:1], 16, v0
	v_mov_b32_e32 v3, 0
	s_waitcnt lgkmcnt(0)
	s_barrier
	s_and_saveexec_b64 s[2:3], s[0:1]
	s_cbranch_execnz .LBB3_12
; %bb.9:
	s_or_b64 exec, exec, s[2:3]
	s_and_saveexec_b64 s[0:1], vcc
	s_cbranch_execnz .LBB3_13
.LBB3_10:
	s_or_b64 exec, exec, s[0:1]
	v_cmp_eq_u32_e32 vcc, 0, v0
	s_and_saveexec_b64 s[0:1], vcc
	s_cbranch_execnz .LBB3_14
.LBB3_11:
	s_endpgm
.LBB3_12:
	ds_read_u16 v3, v1
	s_or_b64 exec, exec, s[2:3]
	s_and_saveexec_b64 s[0:1], vcc
	s_cbranch_execz .LBB3_10
.LBB3_13:
	s_waitcnt lgkmcnt(0)
	v_and_b32_e32 v1, 0xffff, v3
	ds_bpermute_b32 v1, v2, v1
	s_mov_b32 s2, 0xffff0000
	s_waitcnt lgkmcnt(0)
	v_add_f16_e32 v2, v3, v1
	v_and_or_b32 v1, v1, s2, v2
	ds_bpermute_b32 v1, v4, v1
	s_waitcnt lgkmcnt(0)
	v_add_f16_e32 v2, v2, v1
	v_and_or_b32 v1, v1, s2, v2
	ds_bpermute_b32 v1, v5, v1
	;; [unrolled: 4-line block ×3, first 2 shown]
	s_waitcnt lgkmcnt(0)
	v_add_f16_e32 v3, v2, v1
	s_or_b64 exec, exec, s[0:1]
	v_cmp_eq_u32_e32 vcc, 0, v0
	s_and_saveexec_b64 s[0:1], vcc
	s_cbranch_execz .LBB3_11
.LBB3_14:
	s_lshl_b64 s[0:1], s[6:7], 1
	s_add_u32 s0, s8, s0
	s_addc_u32 s1, s9, s1
	v_mov_b32_e32 v0, 0
	s_waitcnt lgkmcnt(0)
	global_store_short v0, v3, s[0:1]
	s_endpgm
	.section	.rodata,"a",@progbits
	.p2align	6, 0x0
	.amdhsa_kernel _ZL18rocblas_dot_kernelIiLb1ELi1024ELi32ELb0EDF16_PKDF16_DF16_EviT5_lT_lS2_lS3_liPT6_PT4_
		.amdhsa_group_segment_fixed_size 128
		.amdhsa_private_segment_fixed_size 0
		.amdhsa_kernarg_size 352
		.amdhsa_user_sgpr_count 6
		.amdhsa_user_sgpr_private_segment_buffer 1
		.amdhsa_user_sgpr_dispatch_ptr 0
		.amdhsa_user_sgpr_queue_ptr 0
		.amdhsa_user_sgpr_kernarg_segment_ptr 1
		.amdhsa_user_sgpr_dispatch_id 0
		.amdhsa_user_sgpr_flat_scratch_init 0
		.amdhsa_user_sgpr_private_segment_size 0
		.amdhsa_uses_dynamic_stack 0
		.amdhsa_system_sgpr_private_segment_wavefront_offset 0
		.amdhsa_system_sgpr_workgroup_id_x 1
		.amdhsa_system_sgpr_workgroup_id_y 0
		.amdhsa_system_sgpr_workgroup_id_z 1
		.amdhsa_system_sgpr_workgroup_info 0
		.amdhsa_system_vgpr_workitem_id 0
		.amdhsa_next_free_vgpr 11
		.amdhsa_next_free_sgpr 25
		.amdhsa_reserve_vcc 1
		.amdhsa_reserve_flat_scratch 0
		.amdhsa_float_round_mode_32 0
		.amdhsa_float_round_mode_16_64 0
		.amdhsa_float_denorm_mode_32 3
		.amdhsa_float_denorm_mode_16_64 3
		.amdhsa_dx10_clamp 1
		.amdhsa_ieee_mode 1
		.amdhsa_fp16_overflow 0
		.amdhsa_exception_fp_ieee_invalid_op 0
		.amdhsa_exception_fp_denorm_src 0
		.amdhsa_exception_fp_ieee_div_zero 0
		.amdhsa_exception_fp_ieee_overflow 0
		.amdhsa_exception_fp_ieee_underflow 0
		.amdhsa_exception_fp_ieee_inexact 0
		.amdhsa_exception_int_div_zero 0
	.end_amdhsa_kernel
	.section	.text._ZL18rocblas_dot_kernelIiLb1ELi1024ELi32ELb0EDF16_PKDF16_DF16_EviT5_lT_lS2_lS3_liPT6_PT4_,"axG",@progbits,_ZL18rocblas_dot_kernelIiLb1ELi1024ELi32ELb0EDF16_PKDF16_DF16_EviT5_lT_lS2_lS3_liPT6_PT4_,comdat
.Lfunc_end3:
	.size	_ZL18rocblas_dot_kernelIiLb1ELi1024ELi32ELb0EDF16_PKDF16_DF16_EviT5_lT_lS2_lS3_liPT6_PT4_, .Lfunc_end3-_ZL18rocblas_dot_kernelIiLb1ELi1024ELi32ELb0EDF16_PKDF16_DF16_EviT5_lT_lS2_lS3_liPT6_PT4_
                                        ; -- End function
	.set _ZL18rocblas_dot_kernelIiLb1ELi1024ELi32ELb0EDF16_PKDF16_DF16_EviT5_lT_lS2_lS3_liPT6_PT4_.num_vgpr, 11
	.set _ZL18rocblas_dot_kernelIiLb1ELi1024ELi32ELb0EDF16_PKDF16_DF16_EviT5_lT_lS2_lS3_liPT6_PT4_.num_agpr, 0
	.set _ZL18rocblas_dot_kernelIiLb1ELi1024ELi32ELb0EDF16_PKDF16_DF16_EviT5_lT_lS2_lS3_liPT6_PT4_.numbered_sgpr, 25
	.set _ZL18rocblas_dot_kernelIiLb1ELi1024ELi32ELb0EDF16_PKDF16_DF16_EviT5_lT_lS2_lS3_liPT6_PT4_.num_named_barrier, 0
	.set _ZL18rocblas_dot_kernelIiLb1ELi1024ELi32ELb0EDF16_PKDF16_DF16_EviT5_lT_lS2_lS3_liPT6_PT4_.private_seg_size, 0
	.set _ZL18rocblas_dot_kernelIiLb1ELi1024ELi32ELb0EDF16_PKDF16_DF16_EviT5_lT_lS2_lS3_liPT6_PT4_.uses_vcc, 1
	.set _ZL18rocblas_dot_kernelIiLb1ELi1024ELi32ELb0EDF16_PKDF16_DF16_EviT5_lT_lS2_lS3_liPT6_PT4_.uses_flat_scratch, 0
	.set _ZL18rocblas_dot_kernelIiLb1ELi1024ELi32ELb0EDF16_PKDF16_DF16_EviT5_lT_lS2_lS3_liPT6_PT4_.has_dyn_sized_stack, 0
	.set _ZL18rocblas_dot_kernelIiLb1ELi1024ELi32ELb0EDF16_PKDF16_DF16_EviT5_lT_lS2_lS3_liPT6_PT4_.has_recursion, 0
	.set _ZL18rocblas_dot_kernelIiLb1ELi1024ELi32ELb0EDF16_PKDF16_DF16_EviT5_lT_lS2_lS3_liPT6_PT4_.has_indirect_call, 0
	.section	.AMDGPU.csdata,"",@progbits
; Kernel info:
; codeLenInByte = 1016
; TotalNumSgprs: 29
; NumVgprs: 11
; ScratchSize: 0
; MemoryBound: 0
; FloatMode: 240
; IeeeMode: 1
; LDSByteSize: 128 bytes/workgroup (compile time only)
; SGPRBlocks: 3
; VGPRBlocks: 2
; NumSGPRsForWavesPerEU: 29
; NumVGPRsForWavesPerEU: 11
; Occupancy: 10
; WaveLimiterHint : 0
; COMPUTE_PGM_RSRC2:SCRATCH_EN: 0
; COMPUTE_PGM_RSRC2:USER_SGPR: 6
; COMPUTE_PGM_RSRC2:TRAP_HANDLER: 0
; COMPUTE_PGM_RSRC2:TGID_X_EN: 1
; COMPUTE_PGM_RSRC2:TGID_Y_EN: 0
; COMPUTE_PGM_RSRC2:TGID_Z_EN: 1
; COMPUTE_PGM_RSRC2:TIDIG_COMP_CNT: 0
	.section	.text._ZL24rocblas_dot_kernel_magsqIiLb1ELi1024ELi32ELb0EDF16_PKDF16_DF16_EviT5_lT_liPT6_PT4_,"axG",@progbits,_ZL24rocblas_dot_kernel_magsqIiLb1ELi1024ELi32ELb0EDF16_PKDF16_DF16_EviT5_lT_liPT6_PT4_,comdat
	.globl	_ZL24rocblas_dot_kernel_magsqIiLb1ELi1024ELi32ELb0EDF16_PKDF16_DF16_EviT5_lT_liPT6_PT4_ ; -- Begin function _ZL24rocblas_dot_kernel_magsqIiLb1ELi1024ELi32ELb0EDF16_PKDF16_DF16_EviT5_lT_liPT6_PT4_
	.p2align	8
	.type	_ZL24rocblas_dot_kernel_magsqIiLb1ELi1024ELi32ELb0EDF16_PKDF16_DF16_EviT5_lT_liPT6_PT4_,@function
_ZL24rocblas_dot_kernel_magsqIiLb1ELi1024ELi32ELb0EDF16_PKDF16_DF16_EviT5_lT_liPT6_PT4_: ; @_ZL24rocblas_dot_kernel_magsqIiLb1ELi1024ELi32ELb0EDF16_PKDF16_DF16_EviT5_lT_liPT6_PT4_
; %bb.0:
	s_mov_b32 s2, s7
	s_load_dword s12, s[4:5], 0x0
	s_load_dwordx2 s[6:7], s[4:5], 0x38
	s_mov_b32 s3, 0
	v_mov_b32_e32 v3, 0
	s_waitcnt lgkmcnt(0)
	v_cmp_gt_i32_e32 vcc, s12, v0
	s_and_saveexec_b64 s[8:9], vcc
	s_cbranch_execz .LBB4_4
; %bb.1:
	s_load_dword s10, s[4:5], 0x40
	s_load_dwordx2 s[0:1], s[4:5], 0x20
	s_load_dwordx4 s[16:19], s[4:5], 0x8
	s_load_dword s11, s[4:5], 0x18
	s_waitcnt lgkmcnt(0)
	s_lshl_b32 s13, s10, 10
	s_mul_i32 s1, s1, s2
	s_mul_hi_u32 s10, s0, s2
	v_mad_i64_i32 v[1:2], s[4:5], s11, v0, 0
	s_add_i32 s1, s10, s1
	s_mul_i32 s0, s0, s2
	s_lshl_b64 s[0:1], s[0:1], 1
	s_lshl_b64 s[4:5], s[18:19], 1
	s_add_u32 s4, s16, s4
	s_addc_u32 s5, s17, s5
	v_lshlrev_b64 v[1:2], 1, v[1:2]
	s_add_u32 s0, s4, s0
	s_addc_u32 s1, s5, s1
	v_mov_b32_e32 v3, s1
	v_add_co_u32_e32 v1, vcc, s0, v1
	s_mul_hi_i32 s1, s11, s13
	s_mul_i32 s0, s11, s13
	s_lshl_b64 s[4:5], s[0:1], 1
	v_or_b32_e32 v4, s13, v0
	v_addc_co_u32_e32 v2, vcc, v3, v2, vcc
	v_mov_b32_e32 v3, 0
	s_mov_b64 s[10:11], 0
	v_mov_b32_e32 v5, s5
	s_mov_b32 s5, s3
.LBB4_2:                                ; =>This Inner Loop Header: Depth=1
	global_load_ushort v6, v[1:2], off
	s_add_i32 s14, s5, 1
	v_add_co_u32_e64 v1, s[0:1], s4, v1
	v_addc_co_u32_e64 v2, s[0:1], v2, v5, s[0:1]
	s_cmp_gt_u32 s5, 30
	v_cmp_le_i32_e32 vcc, s12, v4
	s_cselect_b64 s[0:1], -1, 0
	s_or_b64 s[0:1], s[0:1], vcc
	s_and_b64 s[0:1], exec, s[0:1]
	v_add_u32_e32 v4, s13, v4
	s_mov_b32 s5, s14
	s_or_b64 s[10:11], s[0:1], s[10:11]
	s_waitcnt vmcnt(0)
	v_fma_f16 v3, v6, v6, v3
	s_andn2_b64 exec, exec, s[10:11]
	s_cbranch_execnz .LBB4_2
; %bb.3:
	s_or_b64 exec, exec, s[10:11]
.LBB4_4:
	s_or_b64 exec, exec, s[8:9]
	v_and_b32_e32 v4, 63, v0
	v_cmp_gt_u32_e32 vcc, 64, v0
	v_lshlrev_b32_e32 v1, 1, v4
	s_and_saveexec_b64 s[0:1], vcc
; %bb.5:
	v_mov_b32_e32 v2, 0
	ds_write_b16 v1, v2
; %bb.6:
	s_or_b64 exec, exec, s[0:1]
	v_mbcnt_lo_u32_b32 v2, -1, 0
	v_mbcnt_hi_u32_b32 v6, -1, v2
	v_mov_b32_e32 v5, 0x80
	v_and_b32_e32 v2, 0xffff, v3
	v_lshl_or_b32 v5, v6, 2, v5
	ds_bpermute_b32 v2, v5, v2
	v_and_b32_e32 v7, 63, v6
	v_cmp_gt_u32_e64 s[0:1], 48, v7
	s_mov_b32 s4, 0xffff0000
	v_cndmask_b32_e64 v5, 0, 16, s[0:1]
	s_waitcnt lgkmcnt(0)
	v_add_f16_e32 v3, v3, v2
	v_and_or_b32 v2, v2, s4, v3
	v_add_lshl_u32 v5, v5, v6, 2
	ds_bpermute_b32 v2, v5, v2
	v_cmp_gt_u32_e64 s[0:1], 56, v7
	s_waitcnt lgkmcnt(0)
	s_barrier
	v_add_f16_e32 v3, v3, v2
	v_and_or_b32 v5, v2, s4, v3
	v_cndmask_b32_e64 v2, 0, 8, s[0:1]
	v_add_lshl_u32 v2, v2, v6, 2
	ds_bpermute_b32 v5, v2, v5
	v_cmp_gt_u32_e64 s[0:1], 60, v7
	v_cndmask_b32_e64 v8, 0, 4, s[0:1]
	v_cmp_gt_u32_e64 s[0:1], 62, v7
	s_waitcnt lgkmcnt(0)
	v_add_f16_e32 v9, v3, v5
	v_and_or_b32 v5, v5, s4, v9
	v_add_lshl_u32 v3, v8, v6, 2
	ds_bpermute_b32 v8, v3, v5
	v_cndmask_b32_e64 v5, 0, 2, s[0:1]
	v_add_lshl_u32 v5, v5, v6, 2
	v_cmp_ne_u32_e64 s[0:1], 63, v7
	v_addc_co_u32_e64 v6, s[0:1], 0, v6, s[0:1]
	s_waitcnt lgkmcnt(0)
	v_add_f16_e32 v9, v9, v8
	v_and_or_b32 v8, v8, s4, v9
	ds_bpermute_b32 v8, v5, v8
	v_lshlrev_b32_e32 v6, 2, v6
	v_cmp_eq_u32_e64 s[0:1], 0, v4
	s_waitcnt lgkmcnt(0)
	v_add_f16_e32 v7, v9, v8
	v_and_or_b32 v8, v8, s4, v7
	ds_bpermute_b32 v8, v6, v8
	s_and_saveexec_b64 s[4:5], s[0:1]
	s_cbranch_execz .LBB4_8
; %bb.7:
	s_waitcnt lgkmcnt(0)
	v_add_f16_e32 v4, v7, v8
	v_lshrrev_b32_e32 v7, 5, v0
	v_and_b32_e32 v7, 30, v7
	ds_write_b16 v7, v4
.LBB4_8:
	s_or_b64 exec, exec, s[4:5]
	v_cmp_gt_u32_e64 s[0:1], 16, v0
	v_mov_b32_e32 v4, 0
	s_waitcnt lgkmcnt(0)
	s_barrier
	s_and_saveexec_b64 s[4:5], s[0:1]
	s_cbranch_execnz .LBB4_12
; %bb.9:
	s_or_b64 exec, exec, s[4:5]
	s_and_saveexec_b64 s[0:1], vcc
	s_cbranch_execnz .LBB4_13
.LBB4_10:
	s_or_b64 exec, exec, s[0:1]
	v_cmp_eq_u32_e32 vcc, 0, v0
	s_and_saveexec_b64 s[0:1], vcc
	s_cbranch_execnz .LBB4_14
.LBB4_11:
	s_endpgm
.LBB4_12:
	ds_read_u16 v4, v1
	s_or_b64 exec, exec, s[4:5]
	s_and_saveexec_b64 s[0:1], vcc
	s_cbranch_execz .LBB4_10
.LBB4_13:
	s_waitcnt lgkmcnt(0)
	v_and_b32_e32 v1, 0xffff, v4
	ds_bpermute_b32 v1, v2, v1
	s_mov_b32 s4, 0xffff0000
	s_waitcnt lgkmcnt(0)
	v_add_f16_e32 v2, v4, v1
	v_and_or_b32 v1, v1, s4, v2
	ds_bpermute_b32 v1, v3, v1
	s_waitcnt lgkmcnt(0)
	v_add_f16_e32 v2, v2, v1
	v_and_or_b32 v1, v1, s4, v2
	ds_bpermute_b32 v1, v5, v1
	;; [unrolled: 4-line block ×3, first 2 shown]
	s_waitcnt lgkmcnt(0)
	v_add_f16_e32 v4, v2, v1
	s_or_b64 exec, exec, s[0:1]
	v_cmp_eq_u32_e32 vcc, 0, v0
	s_and_saveexec_b64 s[0:1], vcc
	s_cbranch_execz .LBB4_11
.LBB4_14:
	s_lshl_b64 s[0:1], s[2:3], 1
	s_add_u32 s0, s6, s0
	s_addc_u32 s1, s7, s1
	v_mov_b32_e32 v0, 0
	s_waitcnt lgkmcnt(0)
	global_store_short v0, v4, s[0:1]
	s_endpgm
	.section	.rodata,"a",@progbits
	.p2align	6, 0x0
	.amdhsa_kernel _ZL24rocblas_dot_kernel_magsqIiLb1ELi1024ELi32ELb0EDF16_PKDF16_DF16_EviT5_lT_liPT6_PT4_
		.amdhsa_group_segment_fixed_size 128
		.amdhsa_private_segment_fixed_size 0
		.amdhsa_kernarg_size 320
		.amdhsa_user_sgpr_count 6
		.amdhsa_user_sgpr_private_segment_buffer 1
		.amdhsa_user_sgpr_dispatch_ptr 0
		.amdhsa_user_sgpr_queue_ptr 0
		.amdhsa_user_sgpr_kernarg_segment_ptr 1
		.amdhsa_user_sgpr_dispatch_id 0
		.amdhsa_user_sgpr_flat_scratch_init 0
		.amdhsa_user_sgpr_private_segment_size 0
		.amdhsa_uses_dynamic_stack 0
		.amdhsa_system_sgpr_private_segment_wavefront_offset 0
		.amdhsa_system_sgpr_workgroup_id_x 1
		.amdhsa_system_sgpr_workgroup_id_y 0
		.amdhsa_system_sgpr_workgroup_id_z 1
		.amdhsa_system_sgpr_workgroup_info 0
		.amdhsa_system_vgpr_workitem_id 0
		.amdhsa_next_free_vgpr 10
		.amdhsa_next_free_sgpr 20
		.amdhsa_reserve_vcc 1
		.amdhsa_reserve_flat_scratch 0
		.amdhsa_float_round_mode_32 0
		.amdhsa_float_round_mode_16_64 0
		.amdhsa_float_denorm_mode_32 3
		.amdhsa_float_denorm_mode_16_64 3
		.amdhsa_dx10_clamp 1
		.amdhsa_ieee_mode 1
		.amdhsa_fp16_overflow 0
		.amdhsa_exception_fp_ieee_invalid_op 0
		.amdhsa_exception_fp_denorm_src 0
		.amdhsa_exception_fp_ieee_div_zero 0
		.amdhsa_exception_fp_ieee_overflow 0
		.amdhsa_exception_fp_ieee_underflow 0
		.amdhsa_exception_fp_ieee_inexact 0
		.amdhsa_exception_int_div_zero 0
	.end_amdhsa_kernel
	.section	.text._ZL24rocblas_dot_kernel_magsqIiLb1ELi1024ELi32ELb0EDF16_PKDF16_DF16_EviT5_lT_liPT6_PT4_,"axG",@progbits,_ZL24rocblas_dot_kernel_magsqIiLb1ELi1024ELi32ELb0EDF16_PKDF16_DF16_EviT5_lT_liPT6_PT4_,comdat
.Lfunc_end4:
	.size	_ZL24rocblas_dot_kernel_magsqIiLb1ELi1024ELi32ELb0EDF16_PKDF16_DF16_EviT5_lT_liPT6_PT4_, .Lfunc_end4-_ZL24rocblas_dot_kernel_magsqIiLb1ELi1024ELi32ELb0EDF16_PKDF16_DF16_EviT5_lT_liPT6_PT4_
                                        ; -- End function
	.set _ZL24rocblas_dot_kernel_magsqIiLb1ELi1024ELi32ELb0EDF16_PKDF16_DF16_EviT5_lT_liPT6_PT4_.num_vgpr, 10
	.set _ZL24rocblas_dot_kernel_magsqIiLb1ELi1024ELi32ELb0EDF16_PKDF16_DF16_EviT5_lT_liPT6_PT4_.num_agpr, 0
	.set _ZL24rocblas_dot_kernel_magsqIiLb1ELi1024ELi32ELb0EDF16_PKDF16_DF16_EviT5_lT_liPT6_PT4_.numbered_sgpr, 20
	.set _ZL24rocblas_dot_kernel_magsqIiLb1ELi1024ELi32ELb0EDF16_PKDF16_DF16_EviT5_lT_liPT6_PT4_.num_named_barrier, 0
	.set _ZL24rocblas_dot_kernel_magsqIiLb1ELi1024ELi32ELb0EDF16_PKDF16_DF16_EviT5_lT_liPT6_PT4_.private_seg_size, 0
	.set _ZL24rocblas_dot_kernel_magsqIiLb1ELi1024ELi32ELb0EDF16_PKDF16_DF16_EviT5_lT_liPT6_PT4_.uses_vcc, 1
	.set _ZL24rocblas_dot_kernel_magsqIiLb1ELi1024ELi32ELb0EDF16_PKDF16_DF16_EviT5_lT_liPT6_PT4_.uses_flat_scratch, 0
	.set _ZL24rocblas_dot_kernel_magsqIiLb1ELi1024ELi32ELb0EDF16_PKDF16_DF16_EviT5_lT_liPT6_PT4_.has_dyn_sized_stack, 0
	.set _ZL24rocblas_dot_kernel_magsqIiLb1ELi1024ELi32ELb0EDF16_PKDF16_DF16_EviT5_lT_liPT6_PT4_.has_recursion, 0
	.set _ZL24rocblas_dot_kernel_magsqIiLb1ELi1024ELi32ELb0EDF16_PKDF16_DF16_EviT5_lT_liPT6_PT4_.has_indirect_call, 0
	.section	.AMDGPU.csdata,"",@progbits
; Kernel info:
; codeLenInByte = 884
; TotalNumSgprs: 24
; NumVgprs: 10
; ScratchSize: 0
; MemoryBound: 0
; FloatMode: 240
; IeeeMode: 1
; LDSByteSize: 128 bytes/workgroup (compile time only)
; SGPRBlocks: 2
; VGPRBlocks: 2
; NumSGPRsForWavesPerEU: 24
; NumVGPRsForWavesPerEU: 10
; Occupancy: 10
; WaveLimiterHint : 0
; COMPUTE_PGM_RSRC2:SCRATCH_EN: 0
; COMPUTE_PGM_RSRC2:USER_SGPR: 6
; COMPUTE_PGM_RSRC2:TRAP_HANDLER: 0
; COMPUTE_PGM_RSRC2:TGID_X_EN: 1
; COMPUTE_PGM_RSRC2:TGID_Y_EN: 0
; COMPUTE_PGM_RSRC2:TGID_Z_EN: 1
; COMPUTE_PGM_RSRC2:TIDIG_COMP_CNT: 0
	.section	.text._ZL23rocblas_dot_kernel_inc1ILb0ELi512ELi8ELb0EDF16_PKDF16_DF16_EviT4_llS2_lliPT5_PT3_,"axG",@progbits,_ZL23rocblas_dot_kernel_inc1ILb0ELi512ELi8ELb0EDF16_PKDF16_DF16_EviT4_llS2_lliPT5_PT3_,comdat
	.globl	_ZL23rocblas_dot_kernel_inc1ILb0ELi512ELi8ELb0EDF16_PKDF16_DF16_EviT4_llS2_lliPT5_PT3_ ; -- Begin function _ZL23rocblas_dot_kernel_inc1ILb0ELi512ELi8ELb0EDF16_PKDF16_DF16_EviT4_llS2_lliPT5_PT3_
	.p2align	8
	.type	_ZL23rocblas_dot_kernel_inc1ILb0ELi512ELi8ELb0EDF16_PKDF16_DF16_EviT4_llS2_lliPT5_PT3_,@function
_ZL23rocblas_dot_kernel_inc1ILb0ELi512ELi8ELb0EDF16_PKDF16_DF16_EviT4_llS2_lliPT5_PT3_: ; @_ZL23rocblas_dot_kernel_inc1ILb0ELi512ELi8ELb0EDF16_PKDF16_DF16_EviT4_llS2_lliPT5_PT3_
; %bb.0:
	s_mov_b32 s2, s7
	s_load_dword s18, s[4:5], 0x50
	s_load_dword s7, s[4:5], 0x0
	s_load_dwordx4 s[8:11], s[4:5], 0x40
	v_lshl_or_b32 v1, s6, 9, v0
	s_mov_b32 s3, 0
	v_mov_b32_e32 v3, 0
	s_waitcnt lgkmcnt(0)
	v_cmp_gt_i32_e32 vcc, s7, v1
	s_and_saveexec_b64 s[12:13], vcc
	s_cbranch_execz .LBB5_4
; %bb.1:
	s_load_dwordx4 s[20:23], s[4:5], 0x10
	s_load_dwordx2 s[0:1], s[4:5], 0x8
	s_load_dwordx2 s[14:15], s[4:5], 0x20
	s_load_dwordx4 s[24:27], s[4:5], 0x28
	v_ashrrev_i32_e32 v2, 31, v1
	s_waitcnt lgkmcnt(0)
	s_mul_i32 s4, s23, s2
	s_mul_hi_u32 s5, s22, s2
	s_add_i32 s5, s5, s4
	s_mul_i32 s4, s22, s2
	s_lshl_b64 s[4:5], s[4:5], 1
	s_add_u32 s4, s0, s4
	s_addc_u32 s5, s1, s5
	s_lshl_b64 s[0:1], s[20:21], 1
	s_add_u32 s19, s4, s0
	s_addc_u32 s21, s5, s1
	s_mul_i32 s0, s27, s2
	s_mul_hi_u32 s1, s26, s2
	s_add_i32 s1, s1, s0
	s_mul_i32 s0, s26, s2
	s_lshl_b64 s[0:1], s[0:1], 1
	s_add_u32 s4, s14, s0
	s_addc_u32 s5, s15, s1
	s_lshl_b64 s[0:1], s[24:25], 1
	s_add_u32 s20, s4, s0
	s_addc_u32 s0, s5, s1
	s_lshl_b32 s4, s18, 9
	s_ashr_i32 s5, s4, 31
	v_add_u32_e32 v4, s4, v1
	v_lshlrev_b64 v[1:2], 1, v[1:2]
	s_lshl_b64 s[14:15], s[4:5], 1
	v_mov_b32_e32 v3, 0
	s_mov_b64 s[16:17], 0
	v_mov_b32_e32 v5, s0
	v_mov_b32_e32 v6, s21
	;; [unrolled: 1-line block ×3, first 2 shown]
	s_mov_b32 s5, s3
.LBB5_2:                                ; =>This Inner Loop Header: Depth=1
	v_add_co_u32_e32 v8, vcc, s20, v1
	v_addc_co_u32_e32 v9, vcc, v5, v2, vcc
	v_add_co_u32_e32 v10, vcc, s19, v1
	v_addc_co_u32_e32 v11, vcc, v6, v2, vcc
	global_load_ushort v12, v[8:9], off
	global_load_ushort v13, v[10:11], off
	s_add_i32 s15, s5, 1
	v_add_co_u32_e64 v1, s[0:1], s14, v1
	v_addc_co_u32_e64 v2, s[0:1], v2, v7, s[0:1]
	s_cmp_gt_u32 s5, 6
	v_cmp_le_i32_e32 vcc, s7, v4
	s_cselect_b64 s[0:1], -1, 0
	s_or_b64 s[0:1], s[0:1], vcc
	s_and_b64 s[0:1], exec, s[0:1]
	v_add_u32_e32 v4, s4, v4
	s_mov_b32 s5, s15
	s_or_b64 s[16:17], s[0:1], s[16:17]
	s_waitcnt vmcnt(0)
	v_fma_f16 v3, v12, v13, v3
	s_andn2_b64 exec, exec, s[16:17]
	s_cbranch_execnz .LBB5_2
; %bb.3:
	s_or_b64 exec, exec, s[16:17]
.LBB5_4:
	s_or_b64 exec, exec, s[12:13]
	v_and_b32_e32 v2, 63, v0
	v_cmp_gt_u32_e32 vcc, 64, v0
	v_lshlrev_b32_e32 v1, 1, v2
	s_and_saveexec_b64 s[0:1], vcc
; %bb.5:
	v_mov_b32_e32 v4, 0
	ds_write_b16 v1, v4
; %bb.6:
	s_or_b64 exec, exec, s[0:1]
	v_mbcnt_lo_u32_b32 v4, -1, 0
	v_mbcnt_hi_u32_b32 v5, -1, v4
	v_mov_b32_e32 v6, 0x80
	v_and_b32_e32 v4, 0xffff, v3
	v_lshl_or_b32 v6, v5, 2, v6
	ds_bpermute_b32 v4, v6, v4
	v_and_b32_e32 v6, 63, v5
	v_cmp_gt_u32_e64 s[0:1], 48, v6
	s_mov_b32 s4, 0xffff0000
	v_cndmask_b32_e64 v7, 0, 16, s[0:1]
	s_waitcnt lgkmcnt(0)
	v_add_f16_e32 v3, v3, v4
	v_and_or_b32 v4, v4, s4, v3
	v_add_lshl_u32 v7, v7, v5, 2
	ds_bpermute_b32 v4, v7, v4
	v_cmp_gt_u32_e64 s[0:1], 56, v6
	v_cndmask_b32_e64 v7, 0, 8, s[0:1]
	v_add_lshl_u32 v7, v7, v5, 2
	v_cmp_gt_u32_e64 s[0:1], 60, v6
	s_waitcnt lgkmcnt(0)
	v_add_f16_e32 v3, v3, v4
	v_and_or_b32 v4, v4, s4, v3
	ds_bpermute_b32 v4, v7, v4
	v_cndmask_b32_e64 v7, 0, 4, s[0:1]
	v_cmp_gt_u32_e64 s[0:1], 62, v6
	s_waitcnt lgkmcnt(0)
	s_barrier
	v_add_f16_e32 v8, v3, v4
	v_and_or_b32 v4, v4, s4, v8
	v_add_lshl_u32 v3, v7, v5, 2
	ds_bpermute_b32 v7, v3, v4
	v_cndmask_b32_e64 v4, 0, 2, s[0:1]
	v_add_lshl_u32 v4, v4, v5, 2
	v_cmp_ne_u32_e64 s[0:1], 63, v6
	v_addc_co_u32_e64 v5, s[0:1], 0, v5, s[0:1]
	s_waitcnt lgkmcnt(0)
	v_add_f16_e32 v8, v8, v7
	v_and_or_b32 v7, v7, s4, v8
	ds_bpermute_b32 v7, v4, v7
	v_lshlrev_b32_e32 v5, 2, v5
	v_cmp_eq_u32_e64 s[0:1], 0, v2
	s_waitcnt lgkmcnt(0)
	v_add_f16_e32 v6, v8, v7
	v_and_or_b32 v7, v7, s4, v6
	ds_bpermute_b32 v7, v5, v7
	s_and_saveexec_b64 s[4:5], s[0:1]
	s_cbranch_execz .LBB5_8
; %bb.7:
	s_waitcnt lgkmcnt(0)
	v_add_f16_e32 v2, v6, v7
	v_lshrrev_b32_e32 v6, 5, v0
	v_and_b32_e32 v6, 14, v6
	ds_write_b16 v6, v2
.LBB5_8:
	s_or_b64 exec, exec, s[4:5]
	v_cmp_gt_u32_e64 s[0:1], 8, v0
	v_mov_b32_e32 v2, 0
	s_waitcnt lgkmcnt(0)
	s_barrier
	s_and_saveexec_b64 s[4:5], s[0:1]
	s_cbranch_execnz .LBB5_12
; %bb.9:
	s_or_b64 exec, exec, s[4:5]
	s_and_saveexec_b64 s[0:1], vcc
	s_cbranch_execnz .LBB5_13
.LBB5_10:
	s_or_b64 exec, exec, s[0:1]
	v_cmp_eq_u32_e32 vcc, 0, v0
	s_and_saveexec_b64 s[0:1], vcc
	s_cbranch_execnz .LBB5_14
.LBB5_11:
	s_endpgm
.LBB5_12:
	ds_read_u16 v2, v1
	s_or_b64 exec, exec, s[4:5]
	s_and_saveexec_b64 s[0:1], vcc
	s_cbranch_execz .LBB5_10
.LBB5_13:
	s_waitcnt lgkmcnt(0)
	v_and_b32_e32 v1, 0xffff, v2
	ds_bpermute_b32 v1, v3, v1
	s_mov_b32 s4, 0xffff0000
	s_waitcnt lgkmcnt(0)
	v_add_f16_e32 v2, v2, v1
	v_and_or_b32 v1, v1, s4, v2
	ds_bpermute_b32 v1, v4, v1
	s_waitcnt lgkmcnt(0)
	v_add_f16_e32 v2, v2, v1
	v_and_or_b32 v1, v1, s4, v2
	ds_bpermute_b32 v1, v5, v1
	s_waitcnt lgkmcnt(0)
	v_add_f16_e32 v2, v2, v1
	s_or_b64 exec, exec, s[0:1]
	v_cmp_eq_u32_e32 vcc, 0, v0
	s_and_saveexec_b64 s[0:1], vcc
	s_cbranch_execz .LBB5_11
.LBB5_14:
	s_cmp_lg_u32 s18, 1
	s_mov_b64 s[0:1], -1
	s_cbranch_scc0 .LBB5_16
; %bb.15:
	s_mul_hi_u32 s1, s18, s2
	s_mul_i32 s0, s18, s2
	s_lshl_b64 s[0:1], s[0:1], 1
	s_mov_b32 s7, 0
	s_add_u32 s4, s8, s0
	s_addc_u32 s5, s9, s1
	s_lshl_b64 s[0:1], s[6:7], 1
	s_add_u32 s0, s4, s0
	s_addc_u32 s1, s5, s1
	v_mov_b32_e32 v0, 0
	s_waitcnt lgkmcnt(0)
	global_store_short v0, v2, s[0:1]
	s_mov_b64 s[0:1], 0
.LBB5_16:
	s_andn2_b64 vcc, exec, s[0:1]
	s_cbranch_vccnz .LBB5_11
; %bb.17:
	s_lshl_b64 s[0:1], s[2:3], 1
	s_add_u32 s0, s10, s0
	s_addc_u32 s1, s11, s1
	v_mov_b32_e32 v0, 0
	s_waitcnt lgkmcnt(0)
	global_store_short v0, v2, s[0:1]
	s_endpgm
	.section	.rodata,"a",@progbits
	.p2align	6, 0x0
	.amdhsa_kernel _ZL23rocblas_dot_kernel_inc1ILb0ELi512ELi8ELb0EDF16_PKDF16_DF16_EviT4_llS2_lliPT5_PT3_
		.amdhsa_group_segment_fixed_size 128
		.amdhsa_private_segment_fixed_size 0
		.amdhsa_kernarg_size 336
		.amdhsa_user_sgpr_count 6
		.amdhsa_user_sgpr_private_segment_buffer 1
		.amdhsa_user_sgpr_dispatch_ptr 0
		.amdhsa_user_sgpr_queue_ptr 0
		.amdhsa_user_sgpr_kernarg_segment_ptr 1
		.amdhsa_user_sgpr_dispatch_id 0
		.amdhsa_user_sgpr_flat_scratch_init 0
		.amdhsa_user_sgpr_private_segment_size 0
		.amdhsa_uses_dynamic_stack 0
		.amdhsa_system_sgpr_private_segment_wavefront_offset 0
		.amdhsa_system_sgpr_workgroup_id_x 1
		.amdhsa_system_sgpr_workgroup_id_y 0
		.amdhsa_system_sgpr_workgroup_id_z 1
		.amdhsa_system_sgpr_workgroup_info 0
		.amdhsa_system_vgpr_workitem_id 0
		.amdhsa_next_free_vgpr 14
		.amdhsa_next_free_sgpr 28
		.amdhsa_reserve_vcc 1
		.amdhsa_reserve_flat_scratch 0
		.amdhsa_float_round_mode_32 0
		.amdhsa_float_round_mode_16_64 0
		.amdhsa_float_denorm_mode_32 3
		.amdhsa_float_denorm_mode_16_64 3
		.amdhsa_dx10_clamp 1
		.amdhsa_ieee_mode 1
		.amdhsa_fp16_overflow 0
		.amdhsa_exception_fp_ieee_invalid_op 0
		.amdhsa_exception_fp_denorm_src 0
		.amdhsa_exception_fp_ieee_div_zero 0
		.amdhsa_exception_fp_ieee_overflow 0
		.amdhsa_exception_fp_ieee_underflow 0
		.amdhsa_exception_fp_ieee_inexact 0
		.amdhsa_exception_int_div_zero 0
	.end_amdhsa_kernel
	.section	.text._ZL23rocblas_dot_kernel_inc1ILb0ELi512ELi8ELb0EDF16_PKDF16_DF16_EviT4_llS2_lliPT5_PT3_,"axG",@progbits,_ZL23rocblas_dot_kernel_inc1ILb0ELi512ELi8ELb0EDF16_PKDF16_DF16_EviT4_llS2_lliPT5_PT3_,comdat
.Lfunc_end5:
	.size	_ZL23rocblas_dot_kernel_inc1ILb0ELi512ELi8ELb0EDF16_PKDF16_DF16_EviT4_llS2_lliPT5_PT3_, .Lfunc_end5-_ZL23rocblas_dot_kernel_inc1ILb0ELi512ELi8ELb0EDF16_PKDF16_DF16_EviT4_llS2_lliPT5_PT3_
                                        ; -- End function
	.set _ZL23rocblas_dot_kernel_inc1ILb0ELi512ELi8ELb0EDF16_PKDF16_DF16_EviT4_llS2_lliPT5_PT3_.num_vgpr, 14
	.set _ZL23rocblas_dot_kernel_inc1ILb0ELi512ELi8ELb0EDF16_PKDF16_DF16_EviT4_llS2_lliPT5_PT3_.num_agpr, 0
	.set _ZL23rocblas_dot_kernel_inc1ILb0ELi512ELi8ELb0EDF16_PKDF16_DF16_EviT4_llS2_lliPT5_PT3_.numbered_sgpr, 28
	.set _ZL23rocblas_dot_kernel_inc1ILb0ELi512ELi8ELb0EDF16_PKDF16_DF16_EviT4_llS2_lliPT5_PT3_.num_named_barrier, 0
	.set _ZL23rocblas_dot_kernel_inc1ILb0ELi512ELi8ELb0EDF16_PKDF16_DF16_EviT4_llS2_lliPT5_PT3_.private_seg_size, 0
	.set _ZL23rocblas_dot_kernel_inc1ILb0ELi512ELi8ELb0EDF16_PKDF16_DF16_EviT4_llS2_lliPT5_PT3_.uses_vcc, 1
	.set _ZL23rocblas_dot_kernel_inc1ILb0ELi512ELi8ELb0EDF16_PKDF16_DF16_EviT4_llS2_lliPT5_PT3_.uses_flat_scratch, 0
	.set _ZL23rocblas_dot_kernel_inc1ILb0ELi512ELi8ELb0EDF16_PKDF16_DF16_EviT4_llS2_lliPT5_PT3_.has_dyn_sized_stack, 0
	.set _ZL23rocblas_dot_kernel_inc1ILb0ELi512ELi8ELb0EDF16_PKDF16_DF16_EviT4_llS2_lliPT5_PT3_.has_recursion, 0
	.set _ZL23rocblas_dot_kernel_inc1ILb0ELi512ELi8ELb0EDF16_PKDF16_DF16_EviT4_llS2_lliPT5_PT3_.has_indirect_call, 0
	.section	.AMDGPU.csdata,"",@progbits
; Kernel info:
; codeLenInByte = 1004
; TotalNumSgprs: 32
; NumVgprs: 14
; ScratchSize: 0
; MemoryBound: 0
; FloatMode: 240
; IeeeMode: 1
; LDSByteSize: 128 bytes/workgroup (compile time only)
; SGPRBlocks: 3
; VGPRBlocks: 3
; NumSGPRsForWavesPerEU: 32
; NumVGPRsForWavesPerEU: 14
; Occupancy: 10
; WaveLimiterHint : 0
; COMPUTE_PGM_RSRC2:SCRATCH_EN: 0
; COMPUTE_PGM_RSRC2:USER_SGPR: 6
; COMPUTE_PGM_RSRC2:TRAP_HANDLER: 0
; COMPUTE_PGM_RSRC2:TGID_X_EN: 1
; COMPUTE_PGM_RSRC2:TGID_Y_EN: 0
; COMPUTE_PGM_RSRC2:TGID_Z_EN: 1
; COMPUTE_PGM_RSRC2:TIDIG_COMP_CNT: 0
	.section	.text._ZL18rocblas_dot_kernelIiLb0ELi512ELi8ELb0EDF16_PKDF16_DF16_EviT5_lT_lS2_lS3_liPT6_PT4_,"axG",@progbits,_ZL18rocblas_dot_kernelIiLb0ELi512ELi8ELb0EDF16_PKDF16_DF16_EviT5_lT_lS2_lS3_liPT6_PT4_,comdat
	.globl	_ZL18rocblas_dot_kernelIiLb0ELi512ELi8ELb0EDF16_PKDF16_DF16_EviT5_lT_lS2_lS3_liPT6_PT4_ ; -- Begin function _ZL18rocblas_dot_kernelIiLb0ELi512ELi8ELb0EDF16_PKDF16_DF16_EviT5_lT_lS2_lS3_liPT6_PT4_
	.p2align	8
	.type	_ZL18rocblas_dot_kernelIiLb0ELi512ELi8ELb0EDF16_PKDF16_DF16_EviT5_lT_lS2_lS3_liPT6_PT4_,@function
_ZL18rocblas_dot_kernelIiLb0ELi512ELi8ELb0EDF16_PKDF16_DF16_EviT5_lT_lS2_lS3_liPT6_PT4_: ; @_ZL18rocblas_dot_kernelIiLb0ELi512ELi8ELb0EDF16_PKDF16_DF16_EviT5_lT_lS2_lS3_liPT6_PT4_
; %bb.0:
	s_mov_b32 s12, s7
	s_load_dword s18, s[4:5], 0x60
	s_load_dword s7, s[4:5], 0x0
	s_load_dwordx4 s[8:11], s[4:5], 0x50
	v_lshl_or_b32 v3, s6, 9, v0
	s_mov_b32 s13, 0
	v_mov_b32_e32 v6, 0
	s_waitcnt lgkmcnt(0)
	v_cmp_gt_i32_e32 vcc, s7, v3
	s_and_saveexec_b64 s[14:15], vcc
	s_cbranch_execz .LBB6_4
; %bb.1:
	s_load_dword s26, s[4:5], 0x18
	s_load_dwordx4 s[20:23], s[4:5], 0x8
	s_load_dwordx4 s[0:3], s[4:5], 0x20
	s_load_dwordx2 s[16:17], s[4:5], 0x30
	s_lshl_b32 s19, s18, 9
	s_waitcnt lgkmcnt(0)
	v_mad_i64_i32 v[1:2], s[24:25], s26, v3, 0
	s_load_dword s27, s[4:5], 0x38
	s_load_dwordx2 s[24:25], s[4:5], 0x40
	s_mul_i32 s1, s1, s12
	s_mul_hi_u32 s4, s0, s12
	s_add_i32 s1, s4, s1
	s_mul_i32 s0, s0, s12
	s_lshl_b64 s[0:1], s[0:1], 1
	s_lshl_b64 s[4:5], s[22:23], 1
	s_add_u32 s4, s20, s4
	s_addc_u32 s5, s21, s5
	v_lshlrev_b64 v[1:2], 1, v[1:2]
	s_add_u32 s0, s4, s0
	s_addc_u32 s1, s5, s1
	v_mov_b32_e32 v4, s1
	v_add_co_u32_e32 v1, vcc, s0, v1
	v_add_u32_e32 v5, s19, v3
	v_addc_co_u32_e32 v2, vcc, v4, v2, vcc
	s_waitcnt lgkmcnt(0)
	v_mad_i64_i32 v[3:4], s[0:1], s27, v3, 0
	s_mul_hi_i32 s1, s26, s19
	s_mul_i32 s0, s26, s19
	s_lshl_b64 s[4:5], s[0:1], 1
	s_mul_i32 s0, s25, s12
	s_mul_hi_u32 s1, s24, s12
	s_add_i32 s1, s1, s0
	s_mul_i32 s0, s24, s12
	s_lshl_b64 s[0:1], s[0:1], 1
	s_lshl_b64 s[16:17], s[16:17], 1
	s_add_u32 s2, s2, s16
	s_addc_u32 s3, s3, s17
	v_lshlrev_b64 v[3:4], 1, v[3:4]
	s_add_u32 s0, s2, s0
	s_addc_u32 s1, s3, s1
	v_mov_b32_e32 v6, s1
	v_add_co_u32_e32 v3, vcc, s0, v3
	s_mul_hi_i32 s1, s27, s19
	s_mul_i32 s0, s27, s19
	s_lshl_b64 s[2:3], s[0:1], 1
	v_addc_co_u32_e32 v4, vcc, v6, v4, vcc
	v_mov_b32_e32 v6, 0
	s_mov_b64 s[16:17], 0
	v_mov_b32_e32 v7, s5
	v_mov_b32_e32 v8, s3
	s_mov_b32 s3, s13
.LBB6_2:                                ; =>This Inner Loop Header: Depth=1
	global_load_ushort v9, v[3:4], off
	global_load_ushort v10, v[1:2], off
	v_add_co_u32_e64 v1, s[0:1], s4, v1
	v_addc_co_u32_e64 v2, s[0:1], v2, v7, s[0:1]
	s_add_i32 s5, s3, 1
	v_add_co_u32_e64 v3, s[0:1], s2, v3
	v_addc_co_u32_e64 v4, s[0:1], v4, v8, s[0:1]
	s_cmp_gt_u32 s3, 6
	v_cmp_le_i32_e32 vcc, s7, v5
	s_cselect_b64 s[0:1], -1, 0
	s_or_b64 s[0:1], s[0:1], vcc
	s_and_b64 s[0:1], exec, s[0:1]
	v_add_u32_e32 v5, s19, v5
	s_mov_b32 s3, s5
	s_or_b64 s[16:17], s[0:1], s[16:17]
	s_waitcnt vmcnt(0)
	v_fma_f16 v6, v9, v10, v6
	s_andn2_b64 exec, exec, s[16:17]
	s_cbranch_execnz .LBB6_2
; %bb.3:
	s_or_b64 exec, exec, s[16:17]
.LBB6_4:
	s_or_b64 exec, exec, s[14:15]
	v_and_b32_e32 v2, 63, v0
	v_cmp_gt_u32_e32 vcc, 64, v0
	v_lshlrev_b32_e32 v1, 1, v2
	s_and_saveexec_b64 s[0:1], vcc
; %bb.5:
	v_mov_b32_e32 v3, 0
	ds_write_b16 v1, v3
; %bb.6:
	s_or_b64 exec, exec, s[0:1]
	v_mbcnt_lo_u32_b32 v3, -1, 0
	v_mbcnt_hi_u32_b32 v5, -1, v3
	v_mov_b32_e32 v4, 0x80
	v_and_b32_e32 v3, 0xffff, v6
	v_lshl_or_b32 v4, v5, 2, v4
	ds_bpermute_b32 v3, v4, v3
	v_and_b32_e32 v7, 63, v5
	v_cmp_gt_u32_e64 s[0:1], 48, v7
	s_mov_b32 s2, 0xffff0000
	s_waitcnt lgkmcnt(0)
	v_add_f16_e32 v4, v6, v3
	v_cndmask_b32_e64 v6, 0, 16, s[0:1]
	v_and_or_b32 v3, v3, s2, v4
	v_add_lshl_u32 v6, v6, v5, 2
	ds_bpermute_b32 v3, v6, v3
	v_cmp_gt_u32_e64 s[0:1], 56, v7
	v_cndmask_b32_e64 v6, 0, 8, s[0:1]
	v_add_lshl_u32 v6, v6, v5, 2
	v_cmp_gt_u32_e64 s[0:1], 60, v7
	s_waitcnt lgkmcnt(0)
	v_add_f16_e32 v4, v4, v3
	v_and_or_b32 v3, v3, s2, v4
	ds_bpermute_b32 v3, v6, v3
	v_cndmask_b32_e64 v6, 0, 4, s[0:1]
	v_cmp_gt_u32_e64 s[0:1], 62, v7
	s_waitcnt lgkmcnt(0)
	s_barrier
	v_add_f16_e32 v8, v4, v3
	v_and_or_b32 v4, v3, s2, v8
	v_add_lshl_u32 v3, v6, v5, 2
	ds_bpermute_b32 v6, v3, v4
	v_cndmask_b32_e64 v4, 0, 2, s[0:1]
	v_add_lshl_u32 v4, v4, v5, 2
	v_cmp_ne_u32_e64 s[0:1], 63, v7
	v_addc_co_u32_e64 v5, s[0:1], 0, v5, s[0:1]
	s_waitcnt lgkmcnt(0)
	v_add_f16_e32 v8, v8, v6
	v_and_or_b32 v6, v6, s2, v8
	ds_bpermute_b32 v9, v4, v6
	v_lshlrev_b32_e32 v5, 2, v5
	v_cmp_eq_u32_e64 s[0:1], 0, v2
	s_waitcnt lgkmcnt(0)
	v_add_f16_e32 v6, v8, v9
	v_and_or_b32 v7, v9, s2, v6
	ds_bpermute_b32 v7, v5, v7
	s_and_saveexec_b64 s[2:3], s[0:1]
	s_cbranch_execz .LBB6_8
; %bb.7:
	s_waitcnt lgkmcnt(0)
	v_add_f16_e32 v2, v6, v7
	v_lshrrev_b32_e32 v6, 5, v0
	v_and_b32_e32 v6, 14, v6
	ds_write_b16 v6, v2
.LBB6_8:
	s_or_b64 exec, exec, s[2:3]
	v_cmp_gt_u32_e64 s[0:1], 8, v0
	v_mov_b32_e32 v2, 0
	s_waitcnt lgkmcnt(0)
	s_barrier
	s_and_saveexec_b64 s[2:3], s[0:1]
	s_cbranch_execnz .LBB6_12
; %bb.9:
	s_or_b64 exec, exec, s[2:3]
	s_and_saveexec_b64 s[0:1], vcc
	s_cbranch_execnz .LBB6_13
.LBB6_10:
	s_or_b64 exec, exec, s[0:1]
	v_cmp_eq_u32_e32 vcc, 0, v0
	s_and_saveexec_b64 s[0:1], vcc
	s_cbranch_execnz .LBB6_14
.LBB6_11:
	s_endpgm
.LBB6_12:
	ds_read_u16 v2, v1
	s_or_b64 exec, exec, s[2:3]
	s_and_saveexec_b64 s[0:1], vcc
	s_cbranch_execz .LBB6_10
.LBB6_13:
	s_waitcnt lgkmcnt(0)
	v_and_b32_e32 v1, 0xffff, v2
	ds_bpermute_b32 v1, v3, v1
	s_mov_b32 s2, 0xffff0000
	s_waitcnt lgkmcnt(0)
	v_add_f16_e32 v2, v2, v1
	v_and_or_b32 v1, v1, s2, v2
	ds_bpermute_b32 v1, v4, v1
	s_waitcnt lgkmcnt(0)
	v_add_f16_e32 v2, v2, v1
	v_and_or_b32 v1, v1, s2, v2
	ds_bpermute_b32 v1, v5, v1
	s_waitcnt lgkmcnt(0)
	v_add_f16_e32 v2, v2, v1
	s_or_b64 exec, exec, s[0:1]
	v_cmp_eq_u32_e32 vcc, 0, v0
	s_and_saveexec_b64 s[0:1], vcc
	s_cbranch_execz .LBB6_11
.LBB6_14:
	s_cmp_lg_u32 s18, 1
	s_mov_b64 s[0:1], -1
	s_cbranch_scc0 .LBB6_16
; %bb.15:
	s_mul_hi_u32 s1, s18, s12
	s_mul_i32 s0, s18, s12
	s_lshl_b64 s[0:1], s[0:1], 1
	s_mov_b32 s7, 0
	s_add_u32 s2, s8, s0
	s_addc_u32 s3, s9, s1
	s_lshl_b64 s[0:1], s[6:7], 1
	s_add_u32 s0, s2, s0
	s_addc_u32 s1, s3, s1
	v_mov_b32_e32 v0, 0
	s_waitcnt lgkmcnt(0)
	global_store_short v0, v2, s[0:1]
	s_mov_b64 s[0:1], 0
.LBB6_16:
	s_andn2_b64 vcc, exec, s[0:1]
	s_cbranch_vccnz .LBB6_11
; %bb.17:
	s_lshl_b64 s[0:1], s[12:13], 1
	s_add_u32 s0, s10, s0
	s_addc_u32 s1, s11, s1
	v_mov_b32_e32 v0, 0
	s_waitcnt lgkmcnt(0)
	global_store_short v0, v2, s[0:1]
	s_endpgm
	.section	.rodata,"a",@progbits
	.p2align	6, 0x0
	.amdhsa_kernel _ZL18rocblas_dot_kernelIiLb0ELi512ELi8ELb0EDF16_PKDF16_DF16_EviT5_lT_lS2_lS3_liPT6_PT4_
		.amdhsa_group_segment_fixed_size 128
		.amdhsa_private_segment_fixed_size 0
		.amdhsa_kernarg_size 352
		.amdhsa_user_sgpr_count 6
		.amdhsa_user_sgpr_private_segment_buffer 1
		.amdhsa_user_sgpr_dispatch_ptr 0
		.amdhsa_user_sgpr_queue_ptr 0
		.amdhsa_user_sgpr_kernarg_segment_ptr 1
		.amdhsa_user_sgpr_dispatch_id 0
		.amdhsa_user_sgpr_flat_scratch_init 0
		.amdhsa_user_sgpr_private_segment_size 0
		.amdhsa_uses_dynamic_stack 0
		.amdhsa_system_sgpr_private_segment_wavefront_offset 0
		.amdhsa_system_sgpr_workgroup_id_x 1
		.amdhsa_system_sgpr_workgroup_id_y 0
		.amdhsa_system_sgpr_workgroup_id_z 1
		.amdhsa_system_sgpr_workgroup_info 0
		.amdhsa_system_vgpr_workitem_id 0
		.amdhsa_next_free_vgpr 11
		.amdhsa_next_free_sgpr 28
		.amdhsa_reserve_vcc 1
		.amdhsa_reserve_flat_scratch 0
		.amdhsa_float_round_mode_32 0
		.amdhsa_float_round_mode_16_64 0
		.amdhsa_float_denorm_mode_32 3
		.amdhsa_float_denorm_mode_16_64 3
		.amdhsa_dx10_clamp 1
		.amdhsa_ieee_mode 1
		.amdhsa_fp16_overflow 0
		.amdhsa_exception_fp_ieee_invalid_op 0
		.amdhsa_exception_fp_denorm_src 0
		.amdhsa_exception_fp_ieee_div_zero 0
		.amdhsa_exception_fp_ieee_overflow 0
		.amdhsa_exception_fp_ieee_underflow 0
		.amdhsa_exception_fp_ieee_inexact 0
		.amdhsa_exception_int_div_zero 0
	.end_amdhsa_kernel
	.section	.text._ZL18rocblas_dot_kernelIiLb0ELi512ELi8ELb0EDF16_PKDF16_DF16_EviT5_lT_lS2_lS3_liPT6_PT4_,"axG",@progbits,_ZL18rocblas_dot_kernelIiLb0ELi512ELi8ELb0EDF16_PKDF16_DF16_EviT5_lT_lS2_lS3_liPT6_PT4_,comdat
.Lfunc_end6:
	.size	_ZL18rocblas_dot_kernelIiLb0ELi512ELi8ELb0EDF16_PKDF16_DF16_EviT5_lT_lS2_lS3_liPT6_PT4_, .Lfunc_end6-_ZL18rocblas_dot_kernelIiLb0ELi512ELi8ELb0EDF16_PKDF16_DF16_EviT5_lT_lS2_lS3_liPT6_PT4_
                                        ; -- End function
	.set _ZL18rocblas_dot_kernelIiLb0ELi512ELi8ELb0EDF16_PKDF16_DF16_EviT5_lT_lS2_lS3_liPT6_PT4_.num_vgpr, 11
	.set _ZL18rocblas_dot_kernelIiLb0ELi512ELi8ELb0EDF16_PKDF16_DF16_EviT5_lT_lS2_lS3_liPT6_PT4_.num_agpr, 0
	.set _ZL18rocblas_dot_kernelIiLb0ELi512ELi8ELb0EDF16_PKDF16_DF16_EviT5_lT_lS2_lS3_liPT6_PT4_.numbered_sgpr, 28
	.set _ZL18rocblas_dot_kernelIiLb0ELi512ELi8ELb0EDF16_PKDF16_DF16_EviT5_lT_lS2_lS3_liPT6_PT4_.num_named_barrier, 0
	.set _ZL18rocblas_dot_kernelIiLb0ELi512ELi8ELb0EDF16_PKDF16_DF16_EviT5_lT_lS2_lS3_liPT6_PT4_.private_seg_size, 0
	.set _ZL18rocblas_dot_kernelIiLb0ELi512ELi8ELb0EDF16_PKDF16_DF16_EviT5_lT_lS2_lS3_liPT6_PT4_.uses_vcc, 1
	.set _ZL18rocblas_dot_kernelIiLb0ELi512ELi8ELb0EDF16_PKDF16_DF16_EviT5_lT_lS2_lS3_liPT6_PT4_.uses_flat_scratch, 0
	.set _ZL18rocblas_dot_kernelIiLb0ELi512ELi8ELb0EDF16_PKDF16_DF16_EviT5_lT_lS2_lS3_liPT6_PT4_.has_dyn_sized_stack, 0
	.set _ZL18rocblas_dot_kernelIiLb0ELi512ELi8ELb0EDF16_PKDF16_DF16_EviT5_lT_lS2_lS3_liPT6_PT4_.has_recursion, 0
	.set _ZL18rocblas_dot_kernelIiLb0ELi512ELi8ELb0EDF16_PKDF16_DF16_EviT5_lT_lS2_lS3_liPT6_PT4_.has_indirect_call, 0
	.section	.AMDGPU.csdata,"",@progbits
; Kernel info:
; codeLenInByte = 1080
; TotalNumSgprs: 32
; NumVgprs: 11
; ScratchSize: 0
; MemoryBound: 0
; FloatMode: 240
; IeeeMode: 1
; LDSByteSize: 128 bytes/workgroup (compile time only)
; SGPRBlocks: 3
; VGPRBlocks: 2
; NumSGPRsForWavesPerEU: 32
; NumVGPRsForWavesPerEU: 11
; Occupancy: 10
; WaveLimiterHint : 0
; COMPUTE_PGM_RSRC2:SCRATCH_EN: 0
; COMPUTE_PGM_RSRC2:USER_SGPR: 6
; COMPUTE_PGM_RSRC2:TRAP_HANDLER: 0
; COMPUTE_PGM_RSRC2:TGID_X_EN: 1
; COMPUTE_PGM_RSRC2:TGID_Y_EN: 0
; COMPUTE_PGM_RSRC2:TGID_Z_EN: 1
; COMPUTE_PGM_RSRC2:TIDIG_COMP_CNT: 0
	.section	.text._ZL24rocblas_dot_kernel_magsqIiLb0ELi512ELi8ELb0EDF16_PKDF16_DF16_EviT5_lT_liPT6_PT4_,"axG",@progbits,_ZL24rocblas_dot_kernel_magsqIiLb0ELi512ELi8ELb0EDF16_PKDF16_DF16_EviT5_lT_liPT6_PT4_,comdat
	.globl	_ZL24rocblas_dot_kernel_magsqIiLb0ELi512ELi8ELb0EDF16_PKDF16_DF16_EviT5_lT_liPT6_PT4_ ; -- Begin function _ZL24rocblas_dot_kernel_magsqIiLb0ELi512ELi8ELb0EDF16_PKDF16_DF16_EviT5_lT_liPT6_PT4_
	.p2align	8
	.type	_ZL24rocblas_dot_kernel_magsqIiLb0ELi512ELi8ELb0EDF16_PKDF16_DF16_EviT5_lT_liPT6_PT4_,@function
_ZL24rocblas_dot_kernel_magsqIiLb0ELi512ELi8ELb0EDF16_PKDF16_DF16_EviT5_lT_liPT6_PT4_: ; @_ZL24rocblas_dot_kernel_magsqIiLb0ELi512ELi8ELb0EDF16_PKDF16_DF16_EviT5_lT_liPT6_PT4_
; %bb.0:
	s_mov_b32 s2, s7
	s_load_dword s7, s[4:5], 0x0
	s_load_dwordx4 s[8:11], s[4:5], 0x30
	s_load_dword s16, s[4:5], 0x40
	v_lshl_or_b32 v1, s6, 9, v0
	s_mov_b32 s3, 0
	s_waitcnt lgkmcnt(0)
	v_cmp_gt_i32_e32 vcc, s7, v1
	v_mov_b32_e32 v3, 0
	s_and_saveexec_b64 s[12:13], vcc
	s_cbranch_execz .LBB7_4
; %bb.1:
	s_load_dword s14, s[4:5], 0x18
	s_load_dwordx4 s[20:23], s[4:5], 0x8
	s_load_dwordx2 s[0:1], s[4:5], 0x20
	s_lshl_b32 s17, s16, 9
	v_add_u32_e32 v4, s17, v1
	s_waitcnt lgkmcnt(0)
	v_mad_i64_i32 v[2:3], s[4:5], s14, v1, 0
	s_mul_i32 s1, s1, s2
	s_mul_hi_u32 s4, s0, s2
	s_add_i32 s1, s4, s1
	s_mul_i32 s0, s0, s2
	s_lshl_b64 s[0:1], s[0:1], 1
	s_lshl_b64 s[4:5], s[22:23], 1
	s_add_u32 s4, s20, s4
	s_addc_u32 s5, s21, s5
	v_lshlrev_b64 v[1:2], 1, v[2:3]
	s_add_u32 s0, s4, s0
	s_addc_u32 s1, s5, s1
	v_mov_b32_e32 v3, s1
	v_add_co_u32_e32 v1, vcc, s0, v1
	s_mul_hi_i32 s1, s14, s17
	s_mul_i32 s0, s14, s17
	s_lshl_b64 s[4:5], s[0:1], 1
	v_addc_co_u32_e32 v2, vcc, v3, v2, vcc
	v_mov_b32_e32 v3, 0
	s_mov_b64 s[14:15], 0
	v_mov_b32_e32 v5, s5
	s_mov_b32 s5, s3
.LBB7_2:                                ; =>This Inner Loop Header: Depth=1
	global_load_ushort v6, v[1:2], off
	s_add_i32 s18, s5, 1
	v_add_co_u32_e64 v1, s[0:1], s4, v1
	v_addc_co_u32_e64 v2, s[0:1], v2, v5, s[0:1]
	s_cmp_gt_u32 s5, 6
	v_cmp_le_i32_e32 vcc, s7, v4
	s_cselect_b64 s[0:1], -1, 0
	s_or_b64 s[0:1], s[0:1], vcc
	s_and_b64 s[0:1], exec, s[0:1]
	v_add_u32_e32 v4, s17, v4
	s_mov_b32 s5, s18
	s_or_b64 s[14:15], s[0:1], s[14:15]
	s_waitcnt vmcnt(0)
	v_fma_f16 v3, v6, v6, v3
	s_andn2_b64 exec, exec, s[14:15]
	s_cbranch_execnz .LBB7_2
; %bb.3:
	s_or_b64 exec, exec, s[14:15]
.LBB7_4:
	s_or_b64 exec, exec, s[12:13]
	v_and_b32_e32 v2, 63, v0
	v_cmp_gt_u32_e32 vcc, 64, v0
	v_lshlrev_b32_e32 v1, 1, v2
	s_and_saveexec_b64 s[0:1], vcc
; %bb.5:
	v_mov_b32_e32 v4, 0
	ds_write_b16 v1, v4
; %bb.6:
	s_or_b64 exec, exec, s[0:1]
	v_mbcnt_lo_u32_b32 v4, -1, 0
	v_mbcnt_hi_u32_b32 v5, -1, v4
	v_mov_b32_e32 v6, 0x80
	v_and_b32_e32 v4, 0xffff, v3
	v_lshl_or_b32 v6, v5, 2, v6
	ds_bpermute_b32 v4, v6, v4
	v_and_b32_e32 v6, 63, v5
	v_cmp_gt_u32_e64 s[0:1], 48, v6
	s_mov_b32 s4, 0xffff0000
	v_cndmask_b32_e64 v7, 0, 16, s[0:1]
	s_waitcnt lgkmcnt(0)
	v_add_f16_e32 v3, v3, v4
	v_and_or_b32 v4, v4, s4, v3
	v_add_lshl_u32 v7, v7, v5, 2
	ds_bpermute_b32 v4, v7, v4
	v_cmp_gt_u32_e64 s[0:1], 56, v6
	v_cndmask_b32_e64 v7, 0, 8, s[0:1]
	v_add_lshl_u32 v7, v7, v5, 2
	v_cmp_gt_u32_e64 s[0:1], 60, v6
	s_waitcnt lgkmcnt(0)
	v_add_f16_e32 v3, v3, v4
	v_and_or_b32 v4, v4, s4, v3
	ds_bpermute_b32 v4, v7, v4
	v_cndmask_b32_e64 v7, 0, 4, s[0:1]
	v_cmp_gt_u32_e64 s[0:1], 62, v6
	s_waitcnt lgkmcnt(0)
	s_barrier
	v_add_f16_e32 v8, v3, v4
	v_and_or_b32 v4, v4, s4, v8
	v_add_lshl_u32 v3, v7, v5, 2
	ds_bpermute_b32 v7, v3, v4
	v_cndmask_b32_e64 v4, 0, 2, s[0:1]
	v_add_lshl_u32 v4, v4, v5, 2
	v_cmp_ne_u32_e64 s[0:1], 63, v6
	v_addc_co_u32_e64 v5, s[0:1], 0, v5, s[0:1]
	s_waitcnt lgkmcnt(0)
	v_add_f16_e32 v8, v8, v7
	v_and_or_b32 v7, v7, s4, v8
	ds_bpermute_b32 v7, v4, v7
	v_lshlrev_b32_e32 v5, 2, v5
	v_cmp_eq_u32_e64 s[0:1], 0, v2
	s_waitcnt lgkmcnt(0)
	v_add_f16_e32 v6, v8, v7
	v_and_or_b32 v7, v7, s4, v6
	ds_bpermute_b32 v7, v5, v7
	s_and_saveexec_b64 s[4:5], s[0:1]
	s_cbranch_execz .LBB7_8
; %bb.7:
	s_waitcnt lgkmcnt(0)
	v_add_f16_e32 v2, v6, v7
	v_lshrrev_b32_e32 v6, 5, v0
	v_and_b32_e32 v6, 14, v6
	ds_write_b16 v6, v2
.LBB7_8:
	s_or_b64 exec, exec, s[4:5]
	v_cmp_gt_u32_e64 s[0:1], 8, v0
	v_mov_b32_e32 v2, 0
	s_waitcnt lgkmcnt(0)
	s_barrier
	s_and_saveexec_b64 s[4:5], s[0:1]
	s_cbranch_execnz .LBB7_12
; %bb.9:
	s_or_b64 exec, exec, s[4:5]
	s_and_saveexec_b64 s[0:1], vcc
	s_cbranch_execnz .LBB7_13
.LBB7_10:
	s_or_b64 exec, exec, s[0:1]
	v_cmp_eq_u32_e32 vcc, 0, v0
	s_and_saveexec_b64 s[0:1], vcc
	s_cbranch_execnz .LBB7_14
.LBB7_11:
	s_endpgm
.LBB7_12:
	ds_read_u16 v2, v1
	s_or_b64 exec, exec, s[4:5]
	s_and_saveexec_b64 s[0:1], vcc
	s_cbranch_execz .LBB7_10
.LBB7_13:
	s_waitcnt lgkmcnt(0)
	v_and_b32_e32 v1, 0xffff, v2
	ds_bpermute_b32 v1, v3, v1
	s_mov_b32 s4, 0xffff0000
	s_waitcnt lgkmcnt(0)
	v_add_f16_e32 v2, v2, v1
	v_and_or_b32 v1, v1, s4, v2
	ds_bpermute_b32 v1, v4, v1
	s_waitcnt lgkmcnt(0)
	v_add_f16_e32 v2, v2, v1
	v_and_or_b32 v1, v1, s4, v2
	ds_bpermute_b32 v1, v5, v1
	s_waitcnt lgkmcnt(0)
	v_add_f16_e32 v2, v2, v1
	s_or_b64 exec, exec, s[0:1]
	v_cmp_eq_u32_e32 vcc, 0, v0
	s_and_saveexec_b64 s[0:1], vcc
	s_cbranch_execz .LBB7_11
.LBB7_14:
	s_cmp_lg_u32 s16, 1
	s_mov_b64 s[0:1], -1
	s_cbranch_scc0 .LBB7_16
; %bb.15:
	s_mul_hi_u32 s1, s16, s2
	s_mul_i32 s0, s16, s2
	s_lshl_b64 s[0:1], s[0:1], 1
	s_mov_b32 s7, 0
	s_add_u32 s4, s8, s0
	s_addc_u32 s5, s9, s1
	s_lshl_b64 s[0:1], s[6:7], 1
	s_add_u32 s0, s4, s0
	s_addc_u32 s1, s5, s1
	v_mov_b32_e32 v0, 0
	s_waitcnt lgkmcnt(0)
	global_store_short v0, v2, s[0:1]
	s_mov_b64 s[0:1], 0
.LBB7_16:
	s_andn2_b64 vcc, exec, s[0:1]
	s_cbranch_vccnz .LBB7_11
; %bb.17:
	s_lshl_b64 s[0:1], s[2:3], 1
	s_add_u32 s0, s10, s0
	s_addc_u32 s1, s11, s1
	v_mov_b32_e32 v0, 0
	s_waitcnt lgkmcnt(0)
	global_store_short v0, v2, s[0:1]
	s_endpgm
	.section	.rodata,"a",@progbits
	.p2align	6, 0x0
	.amdhsa_kernel _ZL24rocblas_dot_kernel_magsqIiLb0ELi512ELi8ELb0EDF16_PKDF16_DF16_EviT5_lT_liPT6_PT4_
		.amdhsa_group_segment_fixed_size 128
		.amdhsa_private_segment_fixed_size 0
		.amdhsa_kernarg_size 320
		.amdhsa_user_sgpr_count 6
		.amdhsa_user_sgpr_private_segment_buffer 1
		.amdhsa_user_sgpr_dispatch_ptr 0
		.amdhsa_user_sgpr_queue_ptr 0
		.amdhsa_user_sgpr_kernarg_segment_ptr 1
		.amdhsa_user_sgpr_dispatch_id 0
		.amdhsa_user_sgpr_flat_scratch_init 0
		.amdhsa_user_sgpr_private_segment_size 0
		.amdhsa_uses_dynamic_stack 0
		.amdhsa_system_sgpr_private_segment_wavefront_offset 0
		.amdhsa_system_sgpr_workgroup_id_x 1
		.amdhsa_system_sgpr_workgroup_id_y 0
		.amdhsa_system_sgpr_workgroup_id_z 1
		.amdhsa_system_sgpr_workgroup_info 0
		.amdhsa_system_vgpr_workitem_id 0
		.amdhsa_next_free_vgpr 9
		.amdhsa_next_free_sgpr 24
		.amdhsa_reserve_vcc 1
		.amdhsa_reserve_flat_scratch 0
		.amdhsa_float_round_mode_32 0
		.amdhsa_float_round_mode_16_64 0
		.amdhsa_float_denorm_mode_32 3
		.amdhsa_float_denorm_mode_16_64 3
		.amdhsa_dx10_clamp 1
		.amdhsa_ieee_mode 1
		.amdhsa_fp16_overflow 0
		.amdhsa_exception_fp_ieee_invalid_op 0
		.amdhsa_exception_fp_denorm_src 0
		.amdhsa_exception_fp_ieee_div_zero 0
		.amdhsa_exception_fp_ieee_overflow 0
		.amdhsa_exception_fp_ieee_underflow 0
		.amdhsa_exception_fp_ieee_inexact 0
		.amdhsa_exception_int_div_zero 0
	.end_amdhsa_kernel
	.section	.text._ZL24rocblas_dot_kernel_magsqIiLb0ELi512ELi8ELb0EDF16_PKDF16_DF16_EviT5_lT_liPT6_PT4_,"axG",@progbits,_ZL24rocblas_dot_kernel_magsqIiLb0ELi512ELi8ELb0EDF16_PKDF16_DF16_EviT5_lT_liPT6_PT4_,comdat
.Lfunc_end7:
	.size	_ZL24rocblas_dot_kernel_magsqIiLb0ELi512ELi8ELb0EDF16_PKDF16_DF16_EviT5_lT_liPT6_PT4_, .Lfunc_end7-_ZL24rocblas_dot_kernel_magsqIiLb0ELi512ELi8ELb0EDF16_PKDF16_DF16_EviT5_lT_liPT6_PT4_
                                        ; -- End function
	.set _ZL24rocblas_dot_kernel_magsqIiLb0ELi512ELi8ELb0EDF16_PKDF16_DF16_EviT5_lT_liPT6_PT4_.num_vgpr, 9
	.set _ZL24rocblas_dot_kernel_magsqIiLb0ELi512ELi8ELb0EDF16_PKDF16_DF16_EviT5_lT_liPT6_PT4_.num_agpr, 0
	.set _ZL24rocblas_dot_kernel_magsqIiLb0ELi512ELi8ELb0EDF16_PKDF16_DF16_EviT5_lT_liPT6_PT4_.numbered_sgpr, 24
	.set _ZL24rocblas_dot_kernel_magsqIiLb0ELi512ELi8ELb0EDF16_PKDF16_DF16_EviT5_lT_liPT6_PT4_.num_named_barrier, 0
	.set _ZL24rocblas_dot_kernel_magsqIiLb0ELi512ELi8ELb0EDF16_PKDF16_DF16_EviT5_lT_liPT6_PT4_.private_seg_size, 0
	.set _ZL24rocblas_dot_kernel_magsqIiLb0ELi512ELi8ELb0EDF16_PKDF16_DF16_EviT5_lT_liPT6_PT4_.uses_vcc, 1
	.set _ZL24rocblas_dot_kernel_magsqIiLb0ELi512ELi8ELb0EDF16_PKDF16_DF16_EviT5_lT_liPT6_PT4_.uses_flat_scratch, 0
	.set _ZL24rocblas_dot_kernel_magsqIiLb0ELi512ELi8ELb0EDF16_PKDF16_DF16_EviT5_lT_liPT6_PT4_.has_dyn_sized_stack, 0
	.set _ZL24rocblas_dot_kernel_magsqIiLb0ELi512ELi8ELb0EDF16_PKDF16_DF16_EviT5_lT_liPT6_PT4_.has_recursion, 0
	.set _ZL24rocblas_dot_kernel_magsqIiLb0ELi512ELi8ELb0EDF16_PKDF16_DF16_EviT5_lT_liPT6_PT4_.has_indirect_call, 0
	.section	.AMDGPU.csdata,"",@progbits
; Kernel info:
; codeLenInByte = 944
; TotalNumSgprs: 28
; NumVgprs: 9
; ScratchSize: 0
; MemoryBound: 0
; FloatMode: 240
; IeeeMode: 1
; LDSByteSize: 128 bytes/workgroup (compile time only)
; SGPRBlocks: 3
; VGPRBlocks: 2
; NumSGPRsForWavesPerEU: 28
; NumVGPRsForWavesPerEU: 9
; Occupancy: 10
; WaveLimiterHint : 0
; COMPUTE_PGM_RSRC2:SCRATCH_EN: 0
; COMPUTE_PGM_RSRC2:USER_SGPR: 6
; COMPUTE_PGM_RSRC2:TRAP_HANDLER: 0
; COMPUTE_PGM_RSRC2:TGID_X_EN: 1
; COMPUTE_PGM_RSRC2:TGID_Y_EN: 0
; COMPUTE_PGM_RSRC2:TGID_Z_EN: 1
; COMPUTE_PGM_RSRC2:TIDIG_COMP_CNT: 0
	.section	.text._ZL28rocblas_dot_batched_4_kernelIiLi32ELi4ELb0Ef16rocblas_bfloat16PKS0_EviT5_lT_lS3_lS4_liPT4_,"axG",@progbits,_ZL28rocblas_dot_batched_4_kernelIiLi32ELi4ELb0Ef16rocblas_bfloat16PKS0_EviT5_lT_lS3_lS4_liPT4_,comdat
	.globl	_ZL28rocblas_dot_batched_4_kernelIiLi32ELi4ELb0Ef16rocblas_bfloat16PKS0_EviT5_lT_lS3_lS4_liPT4_ ; -- Begin function _ZL28rocblas_dot_batched_4_kernelIiLi32ELi4ELb0Ef16rocblas_bfloat16PKS0_EviT5_lT_lS3_lS4_liPT4_
	.p2align	8
	.type	_ZL28rocblas_dot_batched_4_kernelIiLi32ELi4ELb0Ef16rocblas_bfloat16PKS0_EviT5_lT_lS3_lS4_liPT4_,@function
_ZL28rocblas_dot_batched_4_kernelIiLi32ELi4ELb0Ef16rocblas_bfloat16PKS0_EviT5_lT_lS3_lS4_liPT4_: ; @_ZL28rocblas_dot_batched_4_kernelIiLi32ELi4ELb0Ef16rocblas_bfloat16PKS0_EviT5_lT_lS3_lS4_liPT4_
; %bb.0:
	s_load_dword s0, s[4:5], 0x48
	v_lshl_add_u32 v1, s6, 2, v1
	s_waitcnt lgkmcnt(0)
	v_cmp_gt_u32_e32 vcc, s0, v1
	s_and_saveexec_b64 s[0:1], vcc
	s_cbranch_execz .LBB8_11
; %bb.1:
	s_load_dword s12, s[4:5], 0x0
	s_load_dwordx2 s[6:7], s[4:5], 0x50
	v_mov_b32_e32 v2, 0
	v_mov_b32_e32 v7, v2
	s_waitcnt lgkmcnt(0)
	v_cmp_gt_i32_e32 vcc, s12, v0
	s_and_saveexec_b64 s[8:9], vcc
	s_cbranch_execz .LBB8_5
; %bb.2:
	s_load_dwordx4 s[0:3], s[4:5], 0x20
	s_load_dwordx4 s[16:19], s[4:5], 0x8
	s_load_dword s10, s[4:5], 0x18
	s_load_dwordx2 s[14:15], s[4:5], 0x30
	s_waitcnt lgkmcnt(0)
	v_mad_u64_u32 v[3:4], s[20:21], s0, v1, 0
	s_load_dword s0, s[4:5], 0x38
	s_load_dwordx2 s[20:21], s[4:5], 0x40
	v_mad_i64_i32 v[5:6], s[4:5], s10, v0, 0
	s_ashr_i32 s11, s10, 31
	v_mad_u64_u32 v[7:8], s[4:5], s1, v1, v[4:5]
	v_lshlrev_b64 v[5:6], 1, v[5:6]
	s_waitcnt lgkmcnt(0)
	s_ashr_i32 s1, s0, 31
	v_mov_b32_e32 v4, v7
	v_lshlrev_b64 v[3:4], 1, v[3:4]
	s_lshl_b64 s[4:5], s[18:19], 1
	v_add_co_u32_e32 v11, vcc, v5, v3
	s_add_u32 s13, s16, s4
	v_addc_co_u32_e32 v4, vcc, v6, v4, vcc
	s_addc_u32 s16, s17, s5
	v_mad_u64_u32 v[5:6], s[4:5], s20, v1, 0
	v_mad_i64_i32 v[7:8], s[4:5], s0, v0, 0
	v_mov_b32_e32 v3, v6
	v_mad_u64_u32 v[9:10], s[4:5], s21, v1, v[3:4]
	v_mov_b32_e32 v12, s16
	v_add_co_u32_e32 v3, vcc, s13, v11
	v_mov_b32_e32 v6, v9
	v_lshlrev_b64 v[7:8], 1, v[7:8]
	v_lshlrev_b64 v[5:6], 1, v[5:6]
	v_addc_co_u32_e32 v4, vcc, v12, v4, vcc
	s_lshl_b64 s[4:5], s[10:11], 6
	s_lshl_b64 s[10:11], s[14:15], 1
	v_add_co_u32_e32 v5, vcc, v7, v5
	s_add_u32 s2, s2, s10
	v_addc_co_u32_e32 v6, vcc, v8, v6, vcc
	s_addc_u32 s3, s3, s11
	v_mov_b32_e32 v7, s3
	v_add_co_u32_e32 v5, vcc, s2, v5
	v_addc_co_u32_e32 v6, vcc, v7, v6, vcc
	s_lshl_b64 s[2:3], s[0:1], 6
	v_mov_b32_e32 v7, 0
	s_mov_b64 s[10:11], 0
	v_mov_b32_e32 v8, v0
.LBB8_3:                                ; =>This Inner Loop Header: Depth=1
	global_load_ushort v9, v[5:6], off
	global_load_ushort v10, v[3:4], off
	v_mov_b32_e32 v12, s3
	v_add_co_u32_e32 v5, vcc, s2, v5
	v_add_u32_e32 v8, 32, v8
	v_addc_co_u32_e32 v6, vcc, v6, v12, vcc
	v_mov_b32_e32 v11, s5
	v_add_co_u32_e64 v3, s[0:1], s4, v3
	v_cmp_le_i32_e32 vcc, s12, v8
	v_addc_co_u32_e64 v4, s[0:1], v4, v11, s[0:1]
	s_or_b64 s[10:11], vcc, s[10:11]
	s_waitcnt vmcnt(1)
	v_lshlrev_b32_e32 v9, 16, v9
	s_waitcnt vmcnt(0)
	v_lshlrev_b32_e32 v10, 16, v10
	v_fmac_f32_e32 v7, v10, v9
	s_andn2_b64 exec, exec, s[10:11]
	s_cbranch_execnz .LBB8_3
; %bb.4:
	s_or_b64 exec, exec, s[10:11]
.LBB8_5:
	s_or_b64 exec, exec, s[8:9]
	v_mbcnt_lo_u32_b32 v3, -1, 0
	v_mbcnt_hi_u32_b32 v3, -1, v3
	v_and_b32_e32 v4, 63, v3
	v_cmp_gt_u32_e32 vcc, 48, v4
	v_cndmask_b32_e64 v5, 0, 16, vcc
	v_add_lshl_u32 v5, v5, v3, 2
	ds_bpermute_b32 v5, v5, v7
	v_cmp_gt_u32_e32 vcc, 56, v4
	v_cndmask_b32_e64 v6, 0, 8, vcc
	v_add_lshl_u32 v6, v6, v3, 2
	v_cmp_gt_u32_e32 vcc, 60, v4
	s_waitcnt lgkmcnt(0)
	v_add_f32_e32 v5, v7, v5
	ds_bpermute_b32 v6, v6, v5
	v_cndmask_b32_e64 v7, 0, 4, vcc
	v_add_lshl_u32 v7, v7, v3, 2
	v_cmp_gt_u32_e32 vcc, 62, v4
	s_waitcnt lgkmcnt(0)
	v_add_f32_e32 v5, v5, v6
	ds_bpermute_b32 v6, v7, v5
	v_cndmask_b32_e64 v7, 0, 2, vcc
	v_add_lshl_u32 v7, v7, v3, 2
	v_cmp_ne_u32_e32 vcc, 63, v4
	v_addc_co_u32_e32 v4, vcc, 0, v3, vcc
	s_waitcnt lgkmcnt(0)
	v_add_f32_e32 v5, v5, v6
	ds_bpermute_b32 v6, v7, v5
	v_lshlrev_b32_e32 v4, 2, v4
	v_cmp_eq_u32_e32 vcc, 0, v0
	s_waitcnt lgkmcnt(0)
	s_barrier
	v_add_f32_e32 v3, v5, v6
	ds_bpermute_b32 v4, v4, v3
	s_and_b64 exec, exec, vcc
	s_cbranch_execz .LBB8_11
; %bb.6:
	s_waitcnt lgkmcnt(0)
	v_add_f32_e32 v3, v3, v4
	s_mov_b32 s0, 0x7f800000
	v_and_b32_e32 v0, 0x7f800000, v3
	v_cmp_ne_u32_e32 vcc, s0, v0
                                        ; implicit-def: $vgpr0
	s_and_saveexec_b64 s[0:1], vcc
	s_xor_b64 s[0:1], exec, s[0:1]
; %bb.7:
	v_bfe_u32 v0, v3, 16, 1
	s_movk_i32 s2, 0x7fff
	v_add3_u32 v0, v3, v0, s2
                                        ; implicit-def: $vgpr3
; %bb.8:
	s_andn2_saveexec_b64 s[0:1], s[0:1]
; %bb.9:
	v_mov_b32_e32 v0, 0
	v_or_b32_e32 v4, 0x10000, v3
	v_cmp_eq_u32_sdwa vcc, v3, v0 src0_sel:WORD_0 src1_sel:DWORD
	v_cndmask_b32_e32 v0, v4, v3, vcc
; %bb.10:
	s_or_b64 exec, exec, s[0:1]
	v_lshlrev_b64 v[1:2], 1, v[1:2]
	v_mov_b32_e32 v3, s7
	v_add_co_u32_e32 v1, vcc, s6, v1
	v_addc_co_u32_e32 v2, vcc, v3, v2, vcc
	global_store_short_d16_hi v[1:2], v0, off
.LBB8_11:
	s_endpgm
	.section	.rodata,"a",@progbits
	.p2align	6, 0x0
	.amdhsa_kernel _ZL28rocblas_dot_batched_4_kernelIiLi32ELi4ELb0Ef16rocblas_bfloat16PKS0_EviT5_lT_lS3_lS4_liPT4_
		.amdhsa_group_segment_fixed_size 0
		.amdhsa_private_segment_fixed_size 0
		.amdhsa_kernarg_size 88
		.amdhsa_user_sgpr_count 6
		.amdhsa_user_sgpr_private_segment_buffer 1
		.amdhsa_user_sgpr_dispatch_ptr 0
		.amdhsa_user_sgpr_queue_ptr 0
		.amdhsa_user_sgpr_kernarg_segment_ptr 1
		.amdhsa_user_sgpr_dispatch_id 0
		.amdhsa_user_sgpr_flat_scratch_init 0
		.amdhsa_user_sgpr_private_segment_size 0
		.amdhsa_uses_dynamic_stack 0
		.amdhsa_system_sgpr_private_segment_wavefront_offset 0
		.amdhsa_system_sgpr_workgroup_id_x 1
		.amdhsa_system_sgpr_workgroup_id_y 0
		.amdhsa_system_sgpr_workgroup_id_z 0
		.amdhsa_system_sgpr_workgroup_info 0
		.amdhsa_system_vgpr_workitem_id 1
		.amdhsa_next_free_vgpr 13
		.amdhsa_next_free_sgpr 22
		.amdhsa_reserve_vcc 1
		.amdhsa_reserve_flat_scratch 0
		.amdhsa_float_round_mode_32 0
		.amdhsa_float_round_mode_16_64 0
		.amdhsa_float_denorm_mode_32 3
		.amdhsa_float_denorm_mode_16_64 3
		.amdhsa_dx10_clamp 1
		.amdhsa_ieee_mode 1
		.amdhsa_fp16_overflow 0
		.amdhsa_exception_fp_ieee_invalid_op 0
		.amdhsa_exception_fp_denorm_src 0
		.amdhsa_exception_fp_ieee_div_zero 0
		.amdhsa_exception_fp_ieee_overflow 0
		.amdhsa_exception_fp_ieee_underflow 0
		.amdhsa_exception_fp_ieee_inexact 0
		.amdhsa_exception_int_div_zero 0
	.end_amdhsa_kernel
	.section	.text._ZL28rocblas_dot_batched_4_kernelIiLi32ELi4ELb0Ef16rocblas_bfloat16PKS0_EviT5_lT_lS3_lS4_liPT4_,"axG",@progbits,_ZL28rocblas_dot_batched_4_kernelIiLi32ELi4ELb0Ef16rocblas_bfloat16PKS0_EviT5_lT_lS3_lS4_liPT4_,comdat
.Lfunc_end8:
	.size	_ZL28rocblas_dot_batched_4_kernelIiLi32ELi4ELb0Ef16rocblas_bfloat16PKS0_EviT5_lT_lS3_lS4_liPT4_, .Lfunc_end8-_ZL28rocblas_dot_batched_4_kernelIiLi32ELi4ELb0Ef16rocblas_bfloat16PKS0_EviT5_lT_lS3_lS4_liPT4_
                                        ; -- End function
	.set _ZL28rocblas_dot_batched_4_kernelIiLi32ELi4ELb0Ef16rocblas_bfloat16PKS0_EviT5_lT_lS3_lS4_liPT4_.num_vgpr, 13
	.set _ZL28rocblas_dot_batched_4_kernelIiLi32ELi4ELb0Ef16rocblas_bfloat16PKS0_EviT5_lT_lS3_lS4_liPT4_.num_agpr, 0
	.set _ZL28rocblas_dot_batched_4_kernelIiLi32ELi4ELb0Ef16rocblas_bfloat16PKS0_EviT5_lT_lS3_lS4_liPT4_.numbered_sgpr, 22
	.set _ZL28rocblas_dot_batched_4_kernelIiLi32ELi4ELb0Ef16rocblas_bfloat16PKS0_EviT5_lT_lS3_lS4_liPT4_.num_named_barrier, 0
	.set _ZL28rocblas_dot_batched_4_kernelIiLi32ELi4ELb0Ef16rocblas_bfloat16PKS0_EviT5_lT_lS3_lS4_liPT4_.private_seg_size, 0
	.set _ZL28rocblas_dot_batched_4_kernelIiLi32ELi4ELb0Ef16rocblas_bfloat16PKS0_EviT5_lT_lS3_lS4_liPT4_.uses_vcc, 1
	.set _ZL28rocblas_dot_batched_4_kernelIiLi32ELi4ELb0Ef16rocblas_bfloat16PKS0_EviT5_lT_lS3_lS4_liPT4_.uses_flat_scratch, 0
	.set _ZL28rocblas_dot_batched_4_kernelIiLi32ELi4ELb0Ef16rocblas_bfloat16PKS0_EviT5_lT_lS3_lS4_liPT4_.has_dyn_sized_stack, 0
	.set _ZL28rocblas_dot_batched_4_kernelIiLi32ELi4ELb0Ef16rocblas_bfloat16PKS0_EviT5_lT_lS3_lS4_liPT4_.has_recursion, 0
	.set _ZL28rocblas_dot_batched_4_kernelIiLi32ELi4ELb0Ef16rocblas_bfloat16PKS0_EviT5_lT_lS3_lS4_liPT4_.has_indirect_call, 0
	.section	.AMDGPU.csdata,"",@progbits
; Kernel info:
; codeLenInByte = 728
; TotalNumSgprs: 26
; NumVgprs: 13
; ScratchSize: 0
; MemoryBound: 0
; FloatMode: 240
; IeeeMode: 1
; LDSByteSize: 0 bytes/workgroup (compile time only)
; SGPRBlocks: 3
; VGPRBlocks: 3
; NumSGPRsForWavesPerEU: 26
; NumVGPRsForWavesPerEU: 13
; Occupancy: 10
; WaveLimiterHint : 0
; COMPUTE_PGM_RSRC2:SCRATCH_EN: 0
; COMPUTE_PGM_RSRC2:USER_SGPR: 6
; COMPUTE_PGM_RSRC2:TRAP_HANDLER: 0
; COMPUTE_PGM_RSRC2:TGID_X_EN: 1
; COMPUTE_PGM_RSRC2:TGID_Y_EN: 0
; COMPUTE_PGM_RSRC2:TGID_Z_EN: 0
; COMPUTE_PGM_RSRC2:TIDIG_COMP_CNT: 1
	.section	.text._ZL28rocblas_dot_batched_4_kernelIiLi64ELi4ELb0Ef16rocblas_bfloat16PKS0_EviT5_lT_lS3_lS4_liPT4_,"axG",@progbits,_ZL28rocblas_dot_batched_4_kernelIiLi64ELi4ELb0Ef16rocblas_bfloat16PKS0_EviT5_lT_lS3_lS4_liPT4_,comdat
	.globl	_ZL28rocblas_dot_batched_4_kernelIiLi64ELi4ELb0Ef16rocblas_bfloat16PKS0_EviT5_lT_lS3_lS4_liPT4_ ; -- Begin function _ZL28rocblas_dot_batched_4_kernelIiLi64ELi4ELb0Ef16rocblas_bfloat16PKS0_EviT5_lT_lS3_lS4_liPT4_
	.p2align	8
	.type	_ZL28rocblas_dot_batched_4_kernelIiLi64ELi4ELb0Ef16rocblas_bfloat16PKS0_EviT5_lT_lS3_lS4_liPT4_,@function
_ZL28rocblas_dot_batched_4_kernelIiLi64ELi4ELb0Ef16rocblas_bfloat16PKS0_EviT5_lT_lS3_lS4_liPT4_: ; @_ZL28rocblas_dot_batched_4_kernelIiLi64ELi4ELb0Ef16rocblas_bfloat16PKS0_EviT5_lT_lS3_lS4_liPT4_
; %bb.0:
	s_load_dword s0, s[4:5], 0x48
	v_lshl_add_u32 v1, s6, 2, v1
	s_waitcnt lgkmcnt(0)
	v_cmp_gt_u32_e32 vcc, s0, v1
	s_and_saveexec_b64 s[0:1], vcc
	s_cbranch_execz .LBB9_11
; %bb.1:
	s_load_dword s12, s[4:5], 0x0
	s_load_dwordx2 s[6:7], s[4:5], 0x50
	v_mov_b32_e32 v2, 0
	v_mov_b32_e32 v7, v2
	s_waitcnt lgkmcnt(0)
	v_cmp_gt_i32_e32 vcc, s12, v0
	s_and_saveexec_b64 s[8:9], vcc
	s_cbranch_execz .LBB9_5
; %bb.2:
	s_load_dwordx4 s[0:3], s[4:5], 0x20
	s_load_dwordx4 s[16:19], s[4:5], 0x8
	s_load_dword s10, s[4:5], 0x18
	s_load_dwordx2 s[14:15], s[4:5], 0x30
	s_waitcnt lgkmcnt(0)
	v_mad_u64_u32 v[3:4], s[20:21], s0, v1, 0
	s_load_dword s0, s[4:5], 0x38
	s_load_dwordx2 s[20:21], s[4:5], 0x40
	v_mad_i64_i32 v[5:6], s[4:5], s10, v0, 0
	s_ashr_i32 s11, s10, 31
	v_mad_u64_u32 v[7:8], s[4:5], s1, v1, v[4:5]
	v_lshlrev_b64 v[5:6], 1, v[5:6]
	s_waitcnt lgkmcnt(0)
	s_ashr_i32 s1, s0, 31
	v_mov_b32_e32 v4, v7
	v_lshlrev_b64 v[3:4], 1, v[3:4]
	s_lshl_b64 s[4:5], s[18:19], 1
	v_add_co_u32_e32 v11, vcc, v5, v3
	s_add_u32 s13, s16, s4
	v_addc_co_u32_e32 v4, vcc, v6, v4, vcc
	s_addc_u32 s16, s17, s5
	v_mad_u64_u32 v[5:6], s[4:5], s20, v1, 0
	v_mad_i64_i32 v[7:8], s[4:5], s0, v0, 0
	v_mov_b32_e32 v3, v6
	v_mad_u64_u32 v[9:10], s[4:5], s21, v1, v[3:4]
	v_mov_b32_e32 v12, s16
	v_add_co_u32_e32 v3, vcc, s13, v11
	v_mov_b32_e32 v6, v9
	v_lshlrev_b64 v[7:8], 1, v[7:8]
	v_lshlrev_b64 v[5:6], 1, v[5:6]
	v_addc_co_u32_e32 v4, vcc, v12, v4, vcc
	s_lshl_b64 s[4:5], s[10:11], 7
	s_lshl_b64 s[10:11], s[14:15], 1
	v_add_co_u32_e32 v5, vcc, v7, v5
	s_add_u32 s2, s2, s10
	v_addc_co_u32_e32 v6, vcc, v8, v6, vcc
	s_addc_u32 s3, s3, s11
	v_mov_b32_e32 v7, s3
	v_add_co_u32_e32 v5, vcc, s2, v5
	v_addc_co_u32_e32 v6, vcc, v7, v6, vcc
	s_lshl_b64 s[2:3], s[0:1], 7
	v_mov_b32_e32 v7, 0
	s_mov_b64 s[10:11], 0
	v_mov_b32_e32 v8, v0
.LBB9_3:                                ; =>This Inner Loop Header: Depth=1
	global_load_ushort v9, v[5:6], off
	global_load_ushort v10, v[3:4], off
	v_mov_b32_e32 v12, s3
	v_add_co_u32_e32 v5, vcc, s2, v5
	v_add_u32_e32 v8, 64, v8
	v_addc_co_u32_e32 v6, vcc, v6, v12, vcc
	v_mov_b32_e32 v11, s5
	v_add_co_u32_e64 v3, s[0:1], s4, v3
	v_cmp_le_i32_e32 vcc, s12, v8
	v_addc_co_u32_e64 v4, s[0:1], v4, v11, s[0:1]
	s_or_b64 s[10:11], vcc, s[10:11]
	s_waitcnt vmcnt(1)
	v_lshlrev_b32_e32 v9, 16, v9
	s_waitcnt vmcnt(0)
	v_lshlrev_b32_e32 v10, 16, v10
	v_fmac_f32_e32 v7, v10, v9
	s_andn2_b64 exec, exec, s[10:11]
	s_cbranch_execnz .LBB9_3
; %bb.4:
	s_or_b64 exec, exec, s[10:11]
.LBB9_5:
	s_or_b64 exec, exec, s[8:9]
	v_mbcnt_lo_u32_b32 v3, -1, 0
	v_mbcnt_hi_u32_b32 v3, -1, v3
	v_mov_b32_e32 v4, 0x80
	v_lshl_or_b32 v4, v3, 2, v4
	ds_bpermute_b32 v4, v4, v7
	v_and_b32_e32 v5, 63, v3
	v_cmp_gt_u32_e32 vcc, 48, v5
	v_cndmask_b32_e64 v6, 0, 16, vcc
	v_add_lshl_u32 v6, v6, v3, 2
	s_waitcnt lgkmcnt(0)
	v_add_f32_e32 v4, v7, v4
	ds_bpermute_b32 v6, v6, v4
	v_cmp_gt_u32_e32 vcc, 56, v5
	v_cndmask_b32_e64 v7, 0, 8, vcc
	v_add_lshl_u32 v7, v7, v3, 2
	v_cmp_gt_u32_e32 vcc, 60, v5
	s_waitcnt lgkmcnt(0)
	v_add_f32_e32 v4, v4, v6
	ds_bpermute_b32 v6, v7, v4
	v_cndmask_b32_e64 v7, 0, 4, vcc
	v_add_lshl_u32 v7, v7, v3, 2
	v_cmp_gt_u32_e32 vcc, 62, v5
	s_waitcnt lgkmcnt(0)
	v_add_f32_e32 v4, v4, v6
	ds_bpermute_b32 v6, v7, v4
	v_cndmask_b32_e64 v7, 0, 2, vcc
	v_add_lshl_u32 v7, v7, v3, 2
	v_cmp_ne_u32_e32 vcc, 63, v5
	v_addc_co_u32_e32 v5, vcc, 0, v3, vcc
	s_waitcnt lgkmcnt(0)
	v_add_f32_e32 v4, v4, v6
	ds_bpermute_b32 v6, v7, v4
	v_cmp_eq_u32_e32 vcc, 0, v0
	s_waitcnt lgkmcnt(0)
	s_barrier
	v_add_f32_e32 v3, v4, v6
	v_lshlrev_b32_e32 v4, 2, v5
	ds_bpermute_b32 v4, v4, v3
	s_and_b64 exec, exec, vcc
	s_cbranch_execz .LBB9_11
; %bb.6:
	s_waitcnt lgkmcnt(0)
	v_add_f32_e32 v3, v3, v4
	s_mov_b32 s0, 0x7f800000
	v_and_b32_e32 v0, 0x7f800000, v3
	v_cmp_ne_u32_e32 vcc, s0, v0
                                        ; implicit-def: $vgpr0
	s_and_saveexec_b64 s[0:1], vcc
	s_xor_b64 s[0:1], exec, s[0:1]
; %bb.7:
	v_bfe_u32 v0, v3, 16, 1
	s_movk_i32 s2, 0x7fff
	v_add3_u32 v0, v3, v0, s2
                                        ; implicit-def: $vgpr3
; %bb.8:
	s_andn2_saveexec_b64 s[0:1], s[0:1]
; %bb.9:
	v_mov_b32_e32 v0, 0
	v_or_b32_e32 v4, 0x10000, v3
	v_cmp_eq_u32_sdwa vcc, v3, v0 src0_sel:WORD_0 src1_sel:DWORD
	v_cndmask_b32_e32 v0, v4, v3, vcc
; %bb.10:
	s_or_b64 exec, exec, s[0:1]
	v_lshlrev_b64 v[1:2], 1, v[1:2]
	v_mov_b32_e32 v3, s7
	v_add_co_u32_e32 v1, vcc, s6, v1
	v_addc_co_u32_e32 v2, vcc, v3, v2, vcc
	global_store_short_d16_hi v[1:2], v0, off
.LBB9_11:
	s_endpgm
	.section	.rodata,"a",@progbits
	.p2align	6, 0x0
	.amdhsa_kernel _ZL28rocblas_dot_batched_4_kernelIiLi64ELi4ELb0Ef16rocblas_bfloat16PKS0_EviT5_lT_lS3_lS4_liPT4_
		.amdhsa_group_segment_fixed_size 0
		.amdhsa_private_segment_fixed_size 0
		.amdhsa_kernarg_size 88
		.amdhsa_user_sgpr_count 6
		.amdhsa_user_sgpr_private_segment_buffer 1
		.amdhsa_user_sgpr_dispatch_ptr 0
		.amdhsa_user_sgpr_queue_ptr 0
		.amdhsa_user_sgpr_kernarg_segment_ptr 1
		.amdhsa_user_sgpr_dispatch_id 0
		.amdhsa_user_sgpr_flat_scratch_init 0
		.amdhsa_user_sgpr_private_segment_size 0
		.amdhsa_uses_dynamic_stack 0
		.amdhsa_system_sgpr_private_segment_wavefront_offset 0
		.amdhsa_system_sgpr_workgroup_id_x 1
		.amdhsa_system_sgpr_workgroup_id_y 0
		.amdhsa_system_sgpr_workgroup_id_z 0
		.amdhsa_system_sgpr_workgroup_info 0
		.amdhsa_system_vgpr_workitem_id 1
		.amdhsa_next_free_vgpr 13
		.amdhsa_next_free_sgpr 22
		.amdhsa_reserve_vcc 1
		.amdhsa_reserve_flat_scratch 0
		.amdhsa_float_round_mode_32 0
		.amdhsa_float_round_mode_16_64 0
		.amdhsa_float_denorm_mode_32 3
		.amdhsa_float_denorm_mode_16_64 3
		.amdhsa_dx10_clamp 1
		.amdhsa_ieee_mode 1
		.amdhsa_fp16_overflow 0
		.amdhsa_exception_fp_ieee_invalid_op 0
		.amdhsa_exception_fp_denorm_src 0
		.amdhsa_exception_fp_ieee_div_zero 0
		.amdhsa_exception_fp_ieee_overflow 0
		.amdhsa_exception_fp_ieee_underflow 0
		.amdhsa_exception_fp_ieee_inexact 0
		.amdhsa_exception_int_div_zero 0
	.end_amdhsa_kernel
	.section	.text._ZL28rocblas_dot_batched_4_kernelIiLi64ELi4ELb0Ef16rocblas_bfloat16PKS0_EviT5_lT_lS3_lS4_liPT4_,"axG",@progbits,_ZL28rocblas_dot_batched_4_kernelIiLi64ELi4ELb0Ef16rocblas_bfloat16PKS0_EviT5_lT_lS3_lS4_liPT4_,comdat
.Lfunc_end9:
	.size	_ZL28rocblas_dot_batched_4_kernelIiLi64ELi4ELb0Ef16rocblas_bfloat16PKS0_EviT5_lT_lS3_lS4_liPT4_, .Lfunc_end9-_ZL28rocblas_dot_batched_4_kernelIiLi64ELi4ELb0Ef16rocblas_bfloat16PKS0_EviT5_lT_lS3_lS4_liPT4_
                                        ; -- End function
	.set _ZL28rocblas_dot_batched_4_kernelIiLi64ELi4ELb0Ef16rocblas_bfloat16PKS0_EviT5_lT_lS3_lS4_liPT4_.num_vgpr, 13
	.set _ZL28rocblas_dot_batched_4_kernelIiLi64ELi4ELb0Ef16rocblas_bfloat16PKS0_EviT5_lT_lS3_lS4_liPT4_.num_agpr, 0
	.set _ZL28rocblas_dot_batched_4_kernelIiLi64ELi4ELb0Ef16rocblas_bfloat16PKS0_EviT5_lT_lS3_lS4_liPT4_.numbered_sgpr, 22
	.set _ZL28rocblas_dot_batched_4_kernelIiLi64ELi4ELb0Ef16rocblas_bfloat16PKS0_EviT5_lT_lS3_lS4_liPT4_.num_named_barrier, 0
	.set _ZL28rocblas_dot_batched_4_kernelIiLi64ELi4ELb0Ef16rocblas_bfloat16PKS0_EviT5_lT_lS3_lS4_liPT4_.private_seg_size, 0
	.set _ZL28rocblas_dot_batched_4_kernelIiLi64ELi4ELb0Ef16rocblas_bfloat16PKS0_EviT5_lT_lS3_lS4_liPT4_.uses_vcc, 1
	.set _ZL28rocblas_dot_batched_4_kernelIiLi64ELi4ELb0Ef16rocblas_bfloat16PKS0_EviT5_lT_lS3_lS4_liPT4_.uses_flat_scratch, 0
	.set _ZL28rocblas_dot_batched_4_kernelIiLi64ELi4ELb0Ef16rocblas_bfloat16PKS0_EviT5_lT_lS3_lS4_liPT4_.has_dyn_sized_stack, 0
	.set _ZL28rocblas_dot_batched_4_kernelIiLi64ELi4ELb0Ef16rocblas_bfloat16PKS0_EviT5_lT_lS3_lS4_liPT4_.has_recursion, 0
	.set _ZL28rocblas_dot_batched_4_kernelIiLi64ELi4ELb0Ef16rocblas_bfloat16PKS0_EviT5_lT_lS3_lS4_liPT4_.has_indirect_call, 0
	.section	.AMDGPU.csdata,"",@progbits
; Kernel info:
; codeLenInByte = 760
; TotalNumSgprs: 26
; NumVgprs: 13
; ScratchSize: 0
; MemoryBound: 0
; FloatMode: 240
; IeeeMode: 1
; LDSByteSize: 0 bytes/workgroup (compile time only)
; SGPRBlocks: 3
; VGPRBlocks: 3
; NumSGPRsForWavesPerEU: 26
; NumVGPRsForWavesPerEU: 13
; Occupancy: 10
; WaveLimiterHint : 0
; COMPUTE_PGM_RSRC2:SCRATCH_EN: 0
; COMPUTE_PGM_RSRC2:USER_SGPR: 6
; COMPUTE_PGM_RSRC2:TRAP_HANDLER: 0
; COMPUTE_PGM_RSRC2:TGID_X_EN: 1
; COMPUTE_PGM_RSRC2:TGID_Y_EN: 0
; COMPUTE_PGM_RSRC2:TGID_Z_EN: 0
; COMPUTE_PGM_RSRC2:TIDIG_COMP_CNT: 1
	.section	.text._ZL26rocblas_dot_kernel_inc1by2ILb1ELi1024ELi32ELb0E16rocblas_bfloat16PKS0_fEviT4_llS3_lliPT5_PT3_,"axG",@progbits,_ZL26rocblas_dot_kernel_inc1by2ILb1ELi1024ELi32ELb0E16rocblas_bfloat16PKS0_fEviT4_llS3_lliPT5_PT3_,comdat
	.globl	_ZL26rocblas_dot_kernel_inc1by2ILb1ELi1024ELi32ELb0E16rocblas_bfloat16PKS0_fEviT4_llS3_lliPT5_PT3_ ; -- Begin function _ZL26rocblas_dot_kernel_inc1by2ILb1ELi1024ELi32ELb0E16rocblas_bfloat16PKS0_fEviT4_llS3_lliPT5_PT3_
	.p2align	8
	.type	_ZL26rocblas_dot_kernel_inc1by2ILb1ELi1024ELi32ELb0E16rocblas_bfloat16PKS0_fEviT4_llS3_lliPT5_PT3_,@function
_ZL26rocblas_dot_kernel_inc1by2ILb1ELi1024ELi32ELb0E16rocblas_bfloat16PKS0_fEviT4_llS3_lliPT5_PT3_: ; @_ZL26rocblas_dot_kernel_inc1by2ILb1ELi1024ELi32ELb0E16rocblas_bfloat16PKS0_fEviT4_llS3_lliPT5_PT3_
; %bb.0:
	s_mov_b32 s2, s7
	s_load_dword s24, s[4:5], 0x0
	s_load_dwordx2 s[18:19], s[4:5], 0x8
	s_load_dwordx4 s[12:15], s[4:5], 0x10
	s_load_dwordx2 s[16:17], s[4:5], 0x20
	s_load_dwordx2 s[6:7], s[4:5], 0x48
	s_load_dwordx4 s[8:11], s[4:5], 0x28
	v_lshlrev_b32_e32 v6, 1, v0
	s_waitcnt lgkmcnt(0)
	s_mul_i32 s0, s15, s2
	s_mul_hi_u32 s1, s14, s2
	s_add_i32 s15, s1, s0
	s_mul_i32 s0, s11, s2
	s_mul_hi_u32 s1, s10, s2
	s_add_i32 s4, s24, -1
	s_mov_b32 s3, 0
	s_mul_i32 s14, s14, s2
	s_add_i32 s11, s1, s0
	s_mul_i32 s10, s10, s2
	v_cmp_gt_i32_e32 vcc, s4, v6
	v_mov_b32_e32 v5, 0
	s_and_saveexec_b64 s[20:21], vcc
	s_cbranch_execz .LBB10_4
; %bb.1:
	s_lshl_b64 s[0:1], s[10:11], 1
	s_lshl_b64 s[22:23], s[8:9], 1
	s_add_u32 s5, s16, s22
	s_addc_u32 s22, s17, s23
	s_add_u32 s0, s5, s0
	v_lshlrev_b32_e32 v3, 2, v0
	s_addc_u32 s1, s22, s1
	v_mov_b32_e32 v2, s1
	v_add_co_u32_e32 v1, vcc, s0, v3
	s_lshl_b64 s[0:1], s[14:15], 1
	s_lshl_b64 s[22:23], s[12:13], 1
	s_add_u32 s5, s18, s22
	s_addc_u32 s22, s19, s23
	s_add_u32 s0, s5, s0
	v_addc_co_u32_e32 v2, vcc, 0, v2, vcc
	s_addc_u32 s1, s22, s1
	v_mov_b32_e32 v4, s1
	v_add_co_u32_e32 v3, vcc, s0, v3
	v_mov_b32_e32 v5, 0
	v_addc_co_u32_e32 v4, vcc, 0, v4, vcc
	s_mov_b64 s[22:23], 0
	s_mov_b32 s5, s3
.LBB10_2:                               ; =>This Inner Loop Header: Depth=1
	global_load_dword v7, v[1:2], off
	global_load_dword v8, v[3:4], off
	s_add_i32 s25, s5, 1
	v_add_u32_e32 v6, 0x800, v6
	s_cmp_gt_u32 s5, 30
	v_add_co_u32_e32 v1, vcc, 0x1000, v1
	v_cmp_le_i32_e64 s[0:1], s4, v6
	s_cselect_b64 s[26:27], -1, 0
	v_addc_co_u32_e32 v2, vcc, 0, v2, vcc
	s_or_b64 s[0:1], s[26:27], s[0:1]
	v_add_co_u32_e32 v3, vcc, 0x1000, v3
	s_and_b64 s[0:1], exec, s[0:1]
	s_mov_b32 s5, s25
	v_addc_co_u32_e32 v4, vcc, 0, v4, vcc
	s_or_b64 s[22:23], s[0:1], s[22:23]
	s_waitcnt vmcnt(1)
	v_and_b32_e32 v9, 0xffff0000, v7
	v_lshlrev_b32_e32 v7, 16, v7
	s_waitcnt vmcnt(0)
	v_and_b32_e32 v10, 0xffff0000, v8
	v_lshlrev_b32_e32 v8, 16, v8
	v_fmac_f32_e32 v5, v7, v8
	v_fmac_f32_e32 v5, v9, v10
	s_andn2_b64 exec, exec, s[22:23]
	s_cbranch_execnz .LBB10_2
; %bb.3:
	s_or_b64 exec, exec, s[22:23]
.LBB10_4:
	s_or_b64 exec, exec, s[20:21]
	s_bitcmp1_b32 s24, 0
	s_cselect_b64 s[0:1], -1, 0
	v_cmp_eq_u32_e32 vcc, s4, v6
	s_and_b64 s[20:21], s[0:1], vcc
	s_and_saveexec_b64 s[0:1], s[20:21]
	s_cbranch_execz .LBB10_6
; %bb.5:
	s_lshl_b64 s[14:15], s[14:15], 1
	s_add_u32 s5, s18, s14
	s_addc_u32 s14, s19, s15
	s_lshl_b64 s[12:13], s[12:13], 1
	s_add_u32 s12, s5, s12
	s_addc_u32 s13, s14, s13
	;; [unrolled: 3-line block ×3, first 2 shown]
	s_lshl_b64 s[8:9], s[8:9], 1
	s_add_u32 s8, s5, s8
	s_mov_b32 s5, 0
	s_addc_u32 s9, s10, s9
	s_lshl_b64 s[4:5], s[4:5], 1
	s_add_u32 s8, s8, s4
	s_addc_u32 s9, s9, s5
	s_add_u32 s4, s12, s4
	v_mov_b32_e32 v1, 0
	s_addc_u32 s5, s13, s5
	global_load_ushort v2, v1, s[4:5]
	global_load_ushort v3, v1, s[8:9]
	s_waitcnt vmcnt(1)
	v_lshlrev_b32_e32 v1, 16, v2
	s_waitcnt vmcnt(0)
	v_lshlrev_b32_e32 v2, 16, v3
	v_fmac_f32_e32 v5, v2, v1
.LBB10_6:
	s_or_b64 exec, exec, s[0:1]
	v_and_b32_e32 v3, 63, v0
	v_cmp_gt_u32_e32 vcc, 64, v0
	v_lshlrev_b32_e32 v1, 2, v3
	s_and_saveexec_b64 s[0:1], vcc
; %bb.7:
	v_mov_b32_e32 v2, 0
	ds_write_b32 v1, v2
; %bb.8:
	s_or_b64 exec, exec, s[0:1]
	v_mbcnt_lo_u32_b32 v2, -1, 0
	v_mbcnt_hi_u32_b32 v6, -1, v2
	v_mov_b32_e32 v2, 0x80
	v_lshl_or_b32 v2, v6, 2, v2
	ds_bpermute_b32 v2, v2, v5
	v_and_b32_e32 v7, 63, v6
	v_cmp_gt_u32_e64 s[0:1], 48, v7
	v_cndmask_b32_e64 v4, 0, 16, s[0:1]
	v_cmp_gt_u32_e64 s[0:1], 56, v7
	s_waitcnt lgkmcnt(0)
	v_add_f32_e32 v5, v5, v2
	v_add_lshl_u32 v2, v4, v6, 2
	ds_bpermute_b32 v4, v2, v5
	v_cndmask_b32_e64 v2, 0, 8, s[0:1]
	v_add_lshl_u32 v2, v2, v6, 2
	v_cmp_gt_u32_e64 s[0:1], 60, v7
	s_waitcnt lgkmcnt(0)
	v_add_f32_e32 v5, v5, v4
	ds_bpermute_b32 v8, v2, v5
	v_cndmask_b32_e64 v4, 0, 4, s[0:1]
	v_add_lshl_u32 v4, v4, v6, 2
	v_cmp_gt_u32_e64 s[0:1], 62, v7
	s_waitcnt lgkmcnt(0)
	s_barrier
	v_add_f32_e32 v8, v5, v8
	ds_bpermute_b32 v9, v4, v8
	v_cndmask_b32_e64 v5, 0, 2, s[0:1]
	v_add_lshl_u32 v5, v5, v6, 2
	v_cmp_ne_u32_e64 s[0:1], 63, v7
	v_addc_co_u32_e64 v6, s[0:1], 0, v6, s[0:1]
	s_waitcnt lgkmcnt(0)
	v_add_f32_e32 v8, v8, v9
	ds_bpermute_b32 v9, v5, v8
	v_lshlrev_b32_e32 v6, 2, v6
	v_cmp_eq_u32_e64 s[0:1], 0, v3
	s_waitcnt lgkmcnt(0)
	v_add_f32_e32 v7, v8, v9
	ds_bpermute_b32 v8, v6, v7
	s_and_saveexec_b64 s[4:5], s[0:1]
	s_cbranch_execz .LBB10_10
; %bb.9:
	s_waitcnt lgkmcnt(0)
	v_add_f32_e32 v3, v7, v8
	v_lshrrev_b32_e32 v7, 4, v0
	v_and_b32_e32 v7, 60, v7
	ds_write_b32 v7, v3
.LBB10_10:
	s_or_b64 exec, exec, s[4:5]
	v_cmp_gt_u32_e64 s[0:1], 16, v0
	v_mov_b32_e32 v3, 0
	s_waitcnt lgkmcnt(0)
	s_barrier
	s_and_saveexec_b64 s[4:5], s[0:1]
	s_cbranch_execnz .LBB10_14
; %bb.11:
	s_or_b64 exec, exec, s[4:5]
	s_and_saveexec_b64 s[0:1], vcc
	s_cbranch_execnz .LBB10_15
.LBB10_12:
	s_or_b64 exec, exec, s[0:1]
	v_cmp_eq_u32_e32 vcc, 0, v0
	s_and_saveexec_b64 s[0:1], vcc
	s_cbranch_execnz .LBB10_16
.LBB10_13:
	s_endpgm
.LBB10_14:
	ds_read_b32 v3, v1
	s_or_b64 exec, exec, s[4:5]
	s_and_saveexec_b64 s[0:1], vcc
	s_cbranch_execz .LBB10_12
.LBB10_15:
	s_waitcnt lgkmcnt(0)
	ds_bpermute_b32 v1, v2, v3
	s_waitcnt lgkmcnt(0)
	v_add_f32_e32 v1, v3, v1
	ds_bpermute_b32 v2, v4, v1
	s_waitcnt lgkmcnt(0)
	v_add_f32_e32 v1, v1, v2
	;; [unrolled: 3-line block ×4, first 2 shown]
	s_or_b64 exec, exec, s[0:1]
	v_cmp_eq_u32_e32 vcc, 0, v0
	s_and_saveexec_b64 s[0:1], vcc
	s_cbranch_execz .LBB10_13
.LBB10_16:
	s_mov_b32 s0, 0x7f800000
	s_waitcnt lgkmcnt(0)
	v_and_b32_e32 v0, 0x7f800000, v3
	v_cmp_ne_u32_e32 vcc, s0, v0
                                        ; implicit-def: $vgpr0
	s_and_saveexec_b64 s[0:1], vcc
	s_xor_b64 s[0:1], exec, s[0:1]
; %bb.17:
	v_bfe_u32 v0, v3, 16, 1
	s_movk_i32 s4, 0x7fff
	v_add3_u32 v0, v3, v0, s4
                                        ; implicit-def: $vgpr3
; %bb.18:
	s_andn2_saveexec_b64 s[0:1], s[0:1]
; %bb.19:
	v_mov_b32_e32 v0, 0
	v_or_b32_e32 v1, 0x10000, v3
	v_cmp_eq_u32_sdwa vcc, v3, v0 src0_sel:WORD_0 src1_sel:DWORD
	v_cndmask_b32_e32 v0, v1, v3, vcc
; %bb.20:
	s_or_b64 exec, exec, s[0:1]
	s_lshl_b64 s[0:1], s[2:3], 1
	s_add_u32 s0, s6, s0
	s_addc_u32 s1, s7, s1
	v_mov_b32_e32 v1, 0
	global_store_short_d16_hi v1, v0, s[0:1]
	s_endpgm
	.section	.rodata,"a",@progbits
	.p2align	6, 0x0
	.amdhsa_kernel _ZL26rocblas_dot_kernel_inc1by2ILb1ELi1024ELi32ELb0E16rocblas_bfloat16PKS0_fEviT4_llS3_lliPT5_PT3_
		.amdhsa_group_segment_fixed_size 256
		.amdhsa_private_segment_fixed_size 0
		.amdhsa_kernarg_size 80
		.amdhsa_user_sgpr_count 6
		.amdhsa_user_sgpr_private_segment_buffer 1
		.amdhsa_user_sgpr_dispatch_ptr 0
		.amdhsa_user_sgpr_queue_ptr 0
		.amdhsa_user_sgpr_kernarg_segment_ptr 1
		.amdhsa_user_sgpr_dispatch_id 0
		.amdhsa_user_sgpr_flat_scratch_init 0
		.amdhsa_user_sgpr_private_segment_size 0
		.amdhsa_uses_dynamic_stack 0
		.amdhsa_system_sgpr_private_segment_wavefront_offset 0
		.amdhsa_system_sgpr_workgroup_id_x 1
		.amdhsa_system_sgpr_workgroup_id_y 0
		.amdhsa_system_sgpr_workgroup_id_z 1
		.amdhsa_system_sgpr_workgroup_info 0
		.amdhsa_system_vgpr_workitem_id 0
		.amdhsa_next_free_vgpr 11
		.amdhsa_next_free_sgpr 28
		.amdhsa_reserve_vcc 1
		.amdhsa_reserve_flat_scratch 0
		.amdhsa_float_round_mode_32 0
		.amdhsa_float_round_mode_16_64 0
		.amdhsa_float_denorm_mode_32 3
		.amdhsa_float_denorm_mode_16_64 3
		.amdhsa_dx10_clamp 1
		.amdhsa_ieee_mode 1
		.amdhsa_fp16_overflow 0
		.amdhsa_exception_fp_ieee_invalid_op 0
		.amdhsa_exception_fp_denorm_src 0
		.amdhsa_exception_fp_ieee_div_zero 0
		.amdhsa_exception_fp_ieee_overflow 0
		.amdhsa_exception_fp_ieee_underflow 0
		.amdhsa_exception_fp_ieee_inexact 0
		.amdhsa_exception_int_div_zero 0
	.end_amdhsa_kernel
	.section	.text._ZL26rocblas_dot_kernel_inc1by2ILb1ELi1024ELi32ELb0E16rocblas_bfloat16PKS0_fEviT4_llS3_lliPT5_PT3_,"axG",@progbits,_ZL26rocblas_dot_kernel_inc1by2ILb1ELi1024ELi32ELb0E16rocblas_bfloat16PKS0_fEviT4_llS3_lliPT5_PT3_,comdat
.Lfunc_end10:
	.size	_ZL26rocblas_dot_kernel_inc1by2ILb1ELi1024ELi32ELb0E16rocblas_bfloat16PKS0_fEviT4_llS3_lliPT5_PT3_, .Lfunc_end10-_ZL26rocblas_dot_kernel_inc1by2ILb1ELi1024ELi32ELb0E16rocblas_bfloat16PKS0_fEviT4_llS3_lliPT5_PT3_
                                        ; -- End function
	.set _ZL26rocblas_dot_kernel_inc1by2ILb1ELi1024ELi32ELb0E16rocblas_bfloat16PKS0_fEviT4_llS3_lliPT5_PT3_.num_vgpr, 11
	.set _ZL26rocblas_dot_kernel_inc1by2ILb1ELi1024ELi32ELb0E16rocblas_bfloat16PKS0_fEviT4_llS3_lliPT5_PT3_.num_agpr, 0
	.set _ZL26rocblas_dot_kernel_inc1by2ILb1ELi1024ELi32ELb0E16rocblas_bfloat16PKS0_fEviT4_llS3_lliPT5_PT3_.numbered_sgpr, 28
	.set _ZL26rocblas_dot_kernel_inc1by2ILb1ELi1024ELi32ELb0E16rocblas_bfloat16PKS0_fEviT4_llS3_lliPT5_PT3_.num_named_barrier, 0
	.set _ZL26rocblas_dot_kernel_inc1by2ILb1ELi1024ELi32ELb0E16rocblas_bfloat16PKS0_fEviT4_llS3_lliPT5_PT3_.private_seg_size, 0
	.set _ZL26rocblas_dot_kernel_inc1by2ILb1ELi1024ELi32ELb0E16rocblas_bfloat16PKS0_fEviT4_llS3_lliPT5_PT3_.uses_vcc, 1
	.set _ZL26rocblas_dot_kernel_inc1by2ILb1ELi1024ELi32ELb0E16rocblas_bfloat16PKS0_fEviT4_llS3_lliPT5_PT3_.uses_flat_scratch, 0
	.set _ZL26rocblas_dot_kernel_inc1by2ILb1ELi1024ELi32ELb0E16rocblas_bfloat16PKS0_fEviT4_llS3_lliPT5_PT3_.has_dyn_sized_stack, 0
	.set _ZL26rocblas_dot_kernel_inc1by2ILb1ELi1024ELi32ELb0E16rocblas_bfloat16PKS0_fEviT4_llS3_lliPT5_PT3_.has_recursion, 0
	.set _ZL26rocblas_dot_kernel_inc1by2ILb1ELi1024ELi32ELb0E16rocblas_bfloat16PKS0_fEviT4_llS3_lliPT5_PT3_.has_indirect_call, 0
	.section	.AMDGPU.csdata,"",@progbits
; Kernel info:
; codeLenInByte = 1080
; TotalNumSgprs: 32
; NumVgprs: 11
; ScratchSize: 0
; MemoryBound: 0
; FloatMode: 240
; IeeeMode: 1
; LDSByteSize: 256 bytes/workgroup (compile time only)
; SGPRBlocks: 3
; VGPRBlocks: 2
; NumSGPRsForWavesPerEU: 32
; NumVGPRsForWavesPerEU: 11
; Occupancy: 10
; WaveLimiterHint : 0
; COMPUTE_PGM_RSRC2:SCRATCH_EN: 0
; COMPUTE_PGM_RSRC2:USER_SGPR: 6
; COMPUTE_PGM_RSRC2:TRAP_HANDLER: 0
; COMPUTE_PGM_RSRC2:TGID_X_EN: 1
; COMPUTE_PGM_RSRC2:TGID_Y_EN: 0
; COMPUTE_PGM_RSRC2:TGID_Z_EN: 1
; COMPUTE_PGM_RSRC2:TIDIG_COMP_CNT: 0
	.section	.text._ZL18rocblas_dot_kernelIiLb1ELi1024ELi32ELb0E16rocblas_bfloat16PKS0_fEviT5_lT_lS3_lS4_liPT6_PT4_,"axG",@progbits,_ZL18rocblas_dot_kernelIiLb1ELi1024ELi32ELb0E16rocblas_bfloat16PKS0_fEviT5_lT_lS3_lS4_liPT6_PT4_,comdat
	.globl	_ZL18rocblas_dot_kernelIiLb1ELi1024ELi32ELb0E16rocblas_bfloat16PKS0_fEviT5_lT_lS3_lS4_liPT6_PT4_ ; -- Begin function _ZL18rocblas_dot_kernelIiLb1ELi1024ELi32ELb0E16rocblas_bfloat16PKS0_fEviT5_lT_lS3_lS4_liPT6_PT4_
	.p2align	8
	.type	_ZL18rocblas_dot_kernelIiLb1ELi1024ELi32ELb0E16rocblas_bfloat16PKS0_fEviT5_lT_lS3_lS4_liPT6_PT4_,@function
_ZL18rocblas_dot_kernelIiLb1ELi1024ELi32ELb0E16rocblas_bfloat16PKS0_fEviT5_lT_lS3_lS4_liPT6_PT4_: ; @_ZL18rocblas_dot_kernelIiLb1ELi1024ELi32ELb0E16rocblas_bfloat16PKS0_fEviT5_lT_lS3_lS4_liPT6_PT4_
; %bb.0:
	s_load_dword s14, s[4:5], 0x0
	s_load_dwordx2 s[8:9], s[4:5], 0x58
	s_mov_b32 s6, s7
	s_mov_b32 s7, 0
	v_mov_b32_e32 v6, 0
	s_waitcnt lgkmcnt(0)
	v_cmp_gt_i32_e32 vcc, s14, v0
	s_and_saveexec_b64 s[10:11], vcc
	s_cbranch_execz .LBB11_4
; %bb.1:
	s_load_dword s22, s[4:5], 0x38
	s_load_dwordx2 s[12:13], s[4:5], 0x40
	s_load_dword s15, s[4:5], 0x60
	s_load_dwordx4 s[0:3], s[4:5], 0x20
	s_load_dwordx4 s[16:19], s[4:5], 0x8
	s_load_dword s23, s[4:5], 0x18
	s_load_dwordx2 s[20:21], s[4:5], 0x30
	s_waitcnt lgkmcnt(0)
	s_lshl_b32 s15, s15, 10
	s_mul_i32 s1, s1, s6
	s_mul_hi_u32 s24, s0, s6
	v_mad_i64_i32 v[1:2], s[4:5], s23, v0, 0
	s_add_i32 s1, s24, s1
	s_mul_i32 s0, s0, s6
	s_lshl_b64 s[0:1], s[0:1], 1
	s_lshl_b64 s[4:5], s[18:19], 1
	s_add_u32 s4, s16, s4
	s_addc_u32 s5, s17, s5
	v_lshlrev_b64 v[1:2], 1, v[1:2]
	s_add_u32 s0, s4, s0
	s_addc_u32 s1, s5, s1
	v_mov_b32_e32 v3, s1
	v_add_co_u32_e32 v1, vcc, s0, v1
	s_mul_hi_i32 s1, s23, s15
	s_mul_i32 s0, s23, s15
	v_addc_co_u32_e32 v2, vcc, v3, v2, vcc
	s_lshl_b64 s[4:5], s[0:1], 1
	s_mul_i32 s13, s13, s6
	s_mul_hi_u32 s16, s12, s6
	v_mad_i64_i32 v[3:4], s[0:1], s22, v0, 0
	s_add_i32 s1, s16, s13
	s_mul_i32 s0, s12, s6
	s_lshl_b64 s[0:1], s[0:1], 1
	s_lshl_b64 s[12:13], s[20:21], 1
	s_add_u32 s2, s2, s12
	s_addc_u32 s3, s3, s13
	v_lshlrev_b64 v[3:4], 1, v[3:4]
	s_add_u32 s0, s2, s0
	s_addc_u32 s1, s3, s1
	v_mov_b32_e32 v6, s1
	v_add_co_u32_e32 v3, vcc, s0, v3
	s_mul_hi_i32 s1, s22, s15
	s_mul_i32 s0, s22, s15
	s_lshl_b64 s[2:3], s[0:1], 1
	v_or_b32_e32 v5, s15, v0
	v_addc_co_u32_e32 v4, vcc, v6, v4, vcc
	v_mov_b32_e32 v6, 0
	s_mov_b64 s[12:13], 0
	v_mov_b32_e32 v7, s5
	v_mov_b32_e32 v8, s3
	s_mov_b32 s3, s7
.LBB11_2:                               ; =>This Inner Loop Header: Depth=1
	global_load_ushort v9, v[1:2], off
	global_load_ushort v10, v[3:4], off
	v_add_co_u32_e64 v1, s[0:1], s4, v1
	v_addc_co_u32_e64 v2, s[0:1], v2, v7, s[0:1]
	s_add_i32 s5, s3, 1
	v_add_co_u32_e64 v3, s[0:1], s2, v3
	v_addc_co_u32_e64 v4, s[0:1], v4, v8, s[0:1]
	s_cmp_gt_u32 s3, 30
	v_cmp_le_i32_e32 vcc, s14, v5
	s_cselect_b64 s[0:1], -1, 0
	s_or_b64 s[0:1], s[0:1], vcc
	s_and_b64 s[0:1], exec, s[0:1]
	v_add_u32_e32 v5, s15, v5
	s_mov_b32 s3, s5
	s_or_b64 s[12:13], s[0:1], s[12:13]
	s_waitcnt vmcnt(1)
	v_lshlrev_b32_e32 v9, 16, v9
	s_waitcnt vmcnt(0)
	v_lshlrev_b32_e32 v10, 16, v10
	v_fmac_f32_e32 v6, v10, v9
	s_andn2_b64 exec, exec, s[12:13]
	s_cbranch_execnz .LBB11_2
; %bb.3:
	s_or_b64 exec, exec, s[12:13]
.LBB11_4:
	s_or_b64 exec, exec, s[10:11]
	v_and_b32_e32 v3, 63, v0
	v_cmp_gt_u32_e32 vcc, 64, v0
	v_lshlrev_b32_e32 v1, 2, v3
	s_and_saveexec_b64 s[0:1], vcc
; %bb.5:
	v_mov_b32_e32 v2, 0
	ds_write_b32 v1, v2
; %bb.6:
	s_or_b64 exec, exec, s[0:1]
	v_mbcnt_lo_u32_b32 v2, -1, 0
	v_mbcnt_hi_u32_b32 v7, -1, v2
	v_mov_b32_e32 v2, 0x80
	v_lshl_or_b32 v2, v7, 2, v2
	ds_bpermute_b32 v2, v2, v6
	v_and_b32_e32 v8, 63, v7
	v_cmp_gt_u32_e64 s[0:1], 48, v8
	v_cndmask_b32_e64 v4, 0, 16, s[0:1]
	v_cmp_gt_u32_e64 s[0:1], 56, v8
	s_waitcnt lgkmcnt(0)
	v_add_f32_e32 v5, v6, v2
	v_add_lshl_u32 v2, v4, v7, 2
	ds_bpermute_b32 v4, v2, v5
	v_cndmask_b32_e64 v2, 0, 8, s[0:1]
	v_add_lshl_u32 v2, v2, v7, 2
	v_cmp_gt_u32_e64 s[0:1], 60, v8
	s_waitcnt lgkmcnt(0)
	v_add_f32_e32 v5, v5, v4
	ds_bpermute_b32 v6, v2, v5
	v_cndmask_b32_e64 v4, 0, 4, s[0:1]
	v_add_lshl_u32 v4, v4, v7, 2
	v_cmp_gt_u32_e64 s[0:1], 62, v8
	s_waitcnt lgkmcnt(0)
	s_barrier
	v_add_f32_e32 v6, v5, v6
	ds_bpermute_b32 v9, v4, v6
	v_cndmask_b32_e64 v5, 0, 2, s[0:1]
	v_add_lshl_u32 v5, v5, v7, 2
	v_cmp_ne_u32_e64 s[0:1], 63, v8
	v_addc_co_u32_e64 v8, s[0:1], 0, v7, s[0:1]
	s_waitcnt lgkmcnt(0)
	v_add_f32_e32 v6, v6, v9
	ds_bpermute_b32 v9, v5, v6
	v_cmp_eq_u32_e64 s[0:1], 0, v3
	s_waitcnt lgkmcnt(0)
	v_add_f32_e32 v7, v6, v9
	v_lshlrev_b32_e32 v6, 2, v8
	ds_bpermute_b32 v8, v6, v7
	s_and_saveexec_b64 s[2:3], s[0:1]
	s_cbranch_execz .LBB11_8
; %bb.7:
	s_waitcnt lgkmcnt(0)
	v_add_f32_e32 v3, v7, v8
	v_lshrrev_b32_e32 v7, 4, v0
	v_and_b32_e32 v7, 60, v7
	ds_write_b32 v7, v3
.LBB11_8:
	s_or_b64 exec, exec, s[2:3]
	v_cmp_gt_u32_e64 s[0:1], 16, v0
	v_mov_b32_e32 v3, 0
	s_waitcnt lgkmcnt(0)
	s_barrier
	s_and_saveexec_b64 s[2:3], s[0:1]
	s_cbranch_execnz .LBB11_12
; %bb.9:
	s_or_b64 exec, exec, s[2:3]
	s_and_saveexec_b64 s[0:1], vcc
	s_cbranch_execnz .LBB11_13
.LBB11_10:
	s_or_b64 exec, exec, s[0:1]
	v_cmp_eq_u32_e32 vcc, 0, v0
	s_and_saveexec_b64 s[0:1], vcc
	s_cbranch_execnz .LBB11_14
.LBB11_11:
	s_endpgm
.LBB11_12:
	ds_read_b32 v3, v1
	s_or_b64 exec, exec, s[2:3]
	s_and_saveexec_b64 s[0:1], vcc
	s_cbranch_execz .LBB11_10
.LBB11_13:
	s_waitcnt lgkmcnt(0)
	ds_bpermute_b32 v1, v2, v3
	s_waitcnt lgkmcnt(0)
	v_add_f32_e32 v1, v3, v1
	ds_bpermute_b32 v2, v4, v1
	s_waitcnt lgkmcnt(0)
	v_add_f32_e32 v1, v1, v2
	;; [unrolled: 3-line block ×4, first 2 shown]
	s_or_b64 exec, exec, s[0:1]
	v_cmp_eq_u32_e32 vcc, 0, v0
	s_and_saveexec_b64 s[0:1], vcc
	s_cbranch_execz .LBB11_11
.LBB11_14:
	s_mov_b32 s0, 0x7f800000
	s_waitcnt lgkmcnt(0)
	v_and_b32_e32 v0, 0x7f800000, v3
	v_cmp_ne_u32_e32 vcc, s0, v0
                                        ; implicit-def: $vgpr0
	s_and_saveexec_b64 s[0:1], vcc
	s_xor_b64 s[0:1], exec, s[0:1]
; %bb.15:
	v_bfe_u32 v0, v3, 16, 1
	s_movk_i32 s2, 0x7fff
	v_add3_u32 v0, v3, v0, s2
                                        ; implicit-def: $vgpr3
; %bb.16:
	s_andn2_saveexec_b64 s[0:1], s[0:1]
; %bb.17:
	v_mov_b32_e32 v0, 0
	v_or_b32_e32 v1, 0x10000, v3
	v_cmp_eq_u32_sdwa vcc, v3, v0 src0_sel:WORD_0 src1_sel:DWORD
	v_cndmask_b32_e32 v0, v1, v3, vcc
; %bb.18:
	s_or_b64 exec, exec, s[0:1]
	s_lshl_b64 s[0:1], s[6:7], 1
	s_add_u32 s0, s8, s0
	s_addc_u32 s1, s9, s1
	v_mov_b32_e32 v1, 0
	global_store_short_d16_hi v1, v0, s[0:1]
	s_endpgm
	.section	.rodata,"a",@progbits
	.p2align	6, 0x0
	.amdhsa_kernel _ZL18rocblas_dot_kernelIiLb1ELi1024ELi32ELb0E16rocblas_bfloat16PKS0_fEviT5_lT_lS3_lS4_liPT6_PT4_
		.amdhsa_group_segment_fixed_size 256
		.amdhsa_private_segment_fixed_size 0
		.amdhsa_kernarg_size 352
		.amdhsa_user_sgpr_count 6
		.amdhsa_user_sgpr_private_segment_buffer 1
		.amdhsa_user_sgpr_dispatch_ptr 0
		.amdhsa_user_sgpr_queue_ptr 0
		.amdhsa_user_sgpr_kernarg_segment_ptr 1
		.amdhsa_user_sgpr_dispatch_id 0
		.amdhsa_user_sgpr_flat_scratch_init 0
		.amdhsa_user_sgpr_private_segment_size 0
		.amdhsa_uses_dynamic_stack 0
		.amdhsa_system_sgpr_private_segment_wavefront_offset 0
		.amdhsa_system_sgpr_workgroup_id_x 1
		.amdhsa_system_sgpr_workgroup_id_y 0
		.amdhsa_system_sgpr_workgroup_id_z 1
		.amdhsa_system_sgpr_workgroup_info 0
		.amdhsa_system_vgpr_workitem_id 0
		.amdhsa_next_free_vgpr 11
		.amdhsa_next_free_sgpr 25
		.amdhsa_reserve_vcc 1
		.amdhsa_reserve_flat_scratch 0
		.amdhsa_float_round_mode_32 0
		.amdhsa_float_round_mode_16_64 0
		.amdhsa_float_denorm_mode_32 3
		.amdhsa_float_denorm_mode_16_64 3
		.amdhsa_dx10_clamp 1
		.amdhsa_ieee_mode 1
		.amdhsa_fp16_overflow 0
		.amdhsa_exception_fp_ieee_invalid_op 0
		.amdhsa_exception_fp_denorm_src 0
		.amdhsa_exception_fp_ieee_div_zero 0
		.amdhsa_exception_fp_ieee_overflow 0
		.amdhsa_exception_fp_ieee_underflow 0
		.amdhsa_exception_fp_ieee_inexact 0
		.amdhsa_exception_int_div_zero 0
	.end_amdhsa_kernel
	.section	.text._ZL18rocblas_dot_kernelIiLb1ELi1024ELi32ELb0E16rocblas_bfloat16PKS0_fEviT5_lT_lS3_lS4_liPT6_PT4_,"axG",@progbits,_ZL18rocblas_dot_kernelIiLb1ELi1024ELi32ELb0E16rocblas_bfloat16PKS0_fEviT5_lT_lS3_lS4_liPT6_PT4_,comdat
.Lfunc_end11:
	.size	_ZL18rocblas_dot_kernelIiLb1ELi1024ELi32ELb0E16rocblas_bfloat16PKS0_fEviT5_lT_lS3_lS4_liPT6_PT4_, .Lfunc_end11-_ZL18rocblas_dot_kernelIiLb1ELi1024ELi32ELb0E16rocblas_bfloat16PKS0_fEviT5_lT_lS3_lS4_liPT6_PT4_
                                        ; -- End function
	.set _ZL18rocblas_dot_kernelIiLb1ELi1024ELi32ELb0E16rocblas_bfloat16PKS0_fEviT5_lT_lS3_lS4_liPT6_PT4_.num_vgpr, 11
	.set _ZL18rocblas_dot_kernelIiLb1ELi1024ELi32ELb0E16rocblas_bfloat16PKS0_fEviT5_lT_lS3_lS4_liPT6_PT4_.num_agpr, 0
	.set _ZL18rocblas_dot_kernelIiLb1ELi1024ELi32ELb0E16rocblas_bfloat16PKS0_fEviT5_lT_lS3_lS4_liPT6_PT4_.numbered_sgpr, 25
	.set _ZL18rocblas_dot_kernelIiLb1ELi1024ELi32ELb0E16rocblas_bfloat16PKS0_fEviT5_lT_lS3_lS4_liPT6_PT4_.num_named_barrier, 0
	.set _ZL18rocblas_dot_kernelIiLb1ELi1024ELi32ELb0E16rocblas_bfloat16PKS0_fEviT5_lT_lS3_lS4_liPT6_PT4_.private_seg_size, 0
	.set _ZL18rocblas_dot_kernelIiLb1ELi1024ELi32ELb0E16rocblas_bfloat16PKS0_fEviT5_lT_lS3_lS4_liPT6_PT4_.uses_vcc, 1
	.set _ZL18rocblas_dot_kernelIiLb1ELi1024ELi32ELb0E16rocblas_bfloat16PKS0_fEviT5_lT_lS3_lS4_liPT6_PT4_.uses_flat_scratch, 0
	.set _ZL18rocblas_dot_kernelIiLb1ELi1024ELi32ELb0E16rocblas_bfloat16PKS0_fEviT5_lT_lS3_lS4_liPT6_PT4_.has_dyn_sized_stack, 0
	.set _ZL18rocblas_dot_kernelIiLb1ELi1024ELi32ELb0E16rocblas_bfloat16PKS0_fEviT5_lT_lS3_lS4_liPT6_PT4_.has_recursion, 0
	.set _ZL18rocblas_dot_kernelIiLb1ELi1024ELi32ELb0E16rocblas_bfloat16PKS0_fEviT5_lT_lS3_lS4_liPT6_PT4_.has_indirect_call, 0
	.section	.AMDGPU.csdata,"",@progbits
; Kernel info:
; codeLenInByte = 1008
; TotalNumSgprs: 29
; NumVgprs: 11
; ScratchSize: 0
; MemoryBound: 0
; FloatMode: 240
; IeeeMode: 1
; LDSByteSize: 256 bytes/workgroup (compile time only)
; SGPRBlocks: 3
; VGPRBlocks: 2
; NumSGPRsForWavesPerEU: 29
; NumVGPRsForWavesPerEU: 11
; Occupancy: 10
; WaveLimiterHint : 0
; COMPUTE_PGM_RSRC2:SCRATCH_EN: 0
; COMPUTE_PGM_RSRC2:USER_SGPR: 6
; COMPUTE_PGM_RSRC2:TRAP_HANDLER: 0
; COMPUTE_PGM_RSRC2:TGID_X_EN: 1
; COMPUTE_PGM_RSRC2:TGID_Y_EN: 0
; COMPUTE_PGM_RSRC2:TGID_Z_EN: 1
; COMPUTE_PGM_RSRC2:TIDIG_COMP_CNT: 0
	.section	.text._ZL24rocblas_dot_kernel_magsqIiLb1ELi1024ELi32ELb0E16rocblas_bfloat16PKS0_fEviT5_lT_liPT6_PT4_,"axG",@progbits,_ZL24rocblas_dot_kernel_magsqIiLb1ELi1024ELi32ELb0E16rocblas_bfloat16PKS0_fEviT5_lT_liPT6_PT4_,comdat
	.globl	_ZL24rocblas_dot_kernel_magsqIiLb1ELi1024ELi32ELb0E16rocblas_bfloat16PKS0_fEviT5_lT_liPT6_PT4_ ; -- Begin function _ZL24rocblas_dot_kernel_magsqIiLb1ELi1024ELi32ELb0E16rocblas_bfloat16PKS0_fEviT5_lT_liPT6_PT4_
	.p2align	8
	.type	_ZL24rocblas_dot_kernel_magsqIiLb1ELi1024ELi32ELb0E16rocblas_bfloat16PKS0_fEviT5_lT_liPT6_PT4_,@function
_ZL24rocblas_dot_kernel_magsqIiLb1ELi1024ELi32ELb0E16rocblas_bfloat16PKS0_fEviT5_lT_liPT6_PT4_: ; @_ZL24rocblas_dot_kernel_magsqIiLb1ELi1024ELi32ELb0E16rocblas_bfloat16PKS0_fEviT5_lT_liPT6_PT4_
; %bb.0:
	s_mov_b32 s2, s7
	s_load_dword s12, s[4:5], 0x0
	s_load_dwordx2 s[6:7], s[4:5], 0x38
	s_mov_b32 s3, 0
	v_mov_b32_e32 v3, 0
	s_waitcnt lgkmcnt(0)
	v_cmp_gt_i32_e32 vcc, s12, v0
	s_and_saveexec_b64 s[8:9], vcc
	s_cbranch_execz .LBB12_4
; %bb.1:
	s_load_dword s10, s[4:5], 0x40
	s_load_dwordx2 s[0:1], s[4:5], 0x20
	s_load_dwordx4 s[16:19], s[4:5], 0x8
	s_load_dword s11, s[4:5], 0x18
	s_waitcnt lgkmcnt(0)
	s_lshl_b32 s13, s10, 10
	s_mul_i32 s1, s1, s2
	s_mul_hi_u32 s10, s0, s2
	v_mad_i64_i32 v[1:2], s[4:5], s11, v0, 0
	s_add_i32 s1, s10, s1
	s_mul_i32 s0, s0, s2
	s_lshl_b64 s[0:1], s[0:1], 1
	s_lshl_b64 s[4:5], s[18:19], 1
	s_add_u32 s4, s16, s4
	s_addc_u32 s5, s17, s5
	v_lshlrev_b64 v[1:2], 1, v[1:2]
	s_add_u32 s0, s4, s0
	s_addc_u32 s1, s5, s1
	v_mov_b32_e32 v3, s1
	v_add_co_u32_e32 v1, vcc, s0, v1
	s_mul_hi_i32 s1, s11, s13
	s_mul_i32 s0, s11, s13
	s_lshl_b64 s[4:5], s[0:1], 1
	v_or_b32_e32 v4, s13, v0
	v_addc_co_u32_e32 v2, vcc, v3, v2, vcc
	v_mov_b32_e32 v3, 0
	s_mov_b64 s[10:11], 0
	v_mov_b32_e32 v5, s5
	s_mov_b32 s5, s3
.LBB12_2:                               ; =>This Inner Loop Header: Depth=1
	global_load_ushort v6, v[1:2], off
	s_add_i32 s14, s5, 1
	v_add_co_u32_e64 v1, s[0:1], s4, v1
	v_addc_co_u32_e64 v2, s[0:1], v2, v5, s[0:1]
	s_cmp_gt_u32 s5, 30
	v_cmp_le_i32_e32 vcc, s12, v4
	s_cselect_b64 s[0:1], -1, 0
	s_or_b64 s[0:1], s[0:1], vcc
	s_and_b64 s[0:1], exec, s[0:1]
	v_add_u32_e32 v4, s13, v4
	s_mov_b32 s5, s14
	s_or_b64 s[10:11], s[0:1], s[10:11]
	s_waitcnt vmcnt(0)
	v_lshlrev_b32_e32 v6, 16, v6
	v_fmac_f32_e32 v3, v6, v6
	s_andn2_b64 exec, exec, s[10:11]
	s_cbranch_execnz .LBB12_2
; %bb.3:
	s_or_b64 exec, exec, s[10:11]
.LBB12_4:
	s_or_b64 exec, exec, s[8:9]
	v_and_b32_e32 v5, 63, v0
	v_cmp_gt_u32_e32 vcc, 64, v0
	v_lshlrev_b32_e32 v1, 2, v5
	s_and_saveexec_b64 s[0:1], vcc
; %bb.5:
	v_mov_b32_e32 v2, 0
	ds_write_b32 v1, v2
; %bb.6:
	s_or_b64 exec, exec, s[0:1]
	v_mbcnt_lo_u32_b32 v2, -1, 0
	v_mbcnt_hi_u32_b32 v7, -1, v2
	v_mov_b32_e32 v2, 0x80
	v_lshl_or_b32 v2, v7, 2, v2
	ds_bpermute_b32 v2, v2, v3
	v_and_b32_e32 v8, 63, v7
	v_cmp_gt_u32_e64 s[0:1], 48, v8
	v_cndmask_b32_e64 v4, 0, 16, s[0:1]
	v_cmp_gt_u32_e64 s[0:1], 56, v8
	s_waitcnt lgkmcnt(0)
	v_add_f32_e32 v3, v3, v2
	v_add_lshl_u32 v2, v4, v7, 2
	ds_bpermute_b32 v4, v2, v3
	v_cndmask_b32_e64 v2, 0, 8, s[0:1]
	v_add_lshl_u32 v2, v2, v7, 2
	v_cmp_gt_u32_e64 s[0:1], 60, v8
	s_waitcnt lgkmcnt(0)
	v_add_f32_e32 v3, v3, v4
	ds_bpermute_b32 v6, v2, v3
	v_cndmask_b32_e64 v4, 0, 4, s[0:1]
	v_add_lshl_u32 v4, v4, v7, 2
	v_cmp_gt_u32_e64 s[0:1], 62, v8
	s_waitcnt lgkmcnt(0)
	s_barrier
	v_add_f32_e32 v3, v3, v6
	ds_bpermute_b32 v9, v4, v3
	v_cndmask_b32_e64 v6, 0, 2, s[0:1]
	v_add_lshl_u32 v6, v6, v7, 2
	v_cmp_ne_u32_e64 s[0:1], 63, v8
	v_addc_co_u32_e64 v7, s[0:1], 0, v7, s[0:1]
	s_waitcnt lgkmcnt(0)
	v_add_f32_e32 v3, v3, v9
	ds_bpermute_b32 v9, v6, v3
	v_lshlrev_b32_e32 v7, 2, v7
	v_cmp_eq_u32_e64 s[0:1], 0, v5
	s_waitcnt lgkmcnt(0)
	v_add_f32_e32 v3, v3, v9
	ds_bpermute_b32 v8, v7, v3
	s_and_saveexec_b64 s[4:5], s[0:1]
	s_cbranch_execz .LBB12_8
; %bb.7:
	v_lshrrev_b32_e32 v5, 4, v0
	s_waitcnt lgkmcnt(0)
	v_add_f32_e32 v3, v3, v8
	v_and_b32_e32 v5, 60, v5
	ds_write_b32 v5, v3
.LBB12_8:
	s_or_b64 exec, exec, s[4:5]
	v_cmp_gt_u32_e64 s[0:1], 16, v0
	v_mov_b32_e32 v3, 0
	s_waitcnt lgkmcnt(0)
	s_barrier
	s_and_saveexec_b64 s[4:5], s[0:1]
	s_cbranch_execnz .LBB12_12
; %bb.9:
	s_or_b64 exec, exec, s[4:5]
	s_and_saveexec_b64 s[0:1], vcc
	s_cbranch_execnz .LBB12_13
.LBB12_10:
	s_or_b64 exec, exec, s[0:1]
	v_cmp_eq_u32_e32 vcc, 0, v0
	s_and_saveexec_b64 s[0:1], vcc
	s_cbranch_execnz .LBB12_14
.LBB12_11:
	s_endpgm
.LBB12_12:
	ds_read_b32 v3, v1
	s_or_b64 exec, exec, s[4:5]
	s_and_saveexec_b64 s[0:1], vcc
	s_cbranch_execz .LBB12_10
.LBB12_13:
	s_waitcnt lgkmcnt(0)
	ds_bpermute_b32 v1, v2, v3
	s_waitcnt lgkmcnt(0)
	v_add_f32_e32 v1, v3, v1
	ds_bpermute_b32 v2, v4, v1
	s_waitcnt lgkmcnt(0)
	v_add_f32_e32 v1, v1, v2
	;; [unrolled: 3-line block ×4, first 2 shown]
	s_or_b64 exec, exec, s[0:1]
	v_cmp_eq_u32_e32 vcc, 0, v0
	s_and_saveexec_b64 s[0:1], vcc
	s_cbranch_execz .LBB12_11
.LBB12_14:
	s_mov_b32 s0, 0x7f800000
	s_waitcnt lgkmcnt(0)
	v_and_b32_e32 v0, 0x7f800000, v3
	v_cmp_ne_u32_e32 vcc, s0, v0
                                        ; implicit-def: $vgpr0
	s_and_saveexec_b64 s[0:1], vcc
	s_xor_b64 s[0:1], exec, s[0:1]
; %bb.15:
	v_bfe_u32 v0, v3, 16, 1
	s_movk_i32 s4, 0x7fff
	v_add3_u32 v0, v3, v0, s4
                                        ; implicit-def: $vgpr3
; %bb.16:
	s_andn2_saveexec_b64 s[0:1], s[0:1]
; %bb.17:
	v_mov_b32_e32 v0, 0
	v_or_b32_e32 v1, 0x10000, v3
	v_cmp_eq_u32_sdwa vcc, v3, v0 src0_sel:WORD_0 src1_sel:DWORD
	v_cndmask_b32_e32 v0, v1, v3, vcc
; %bb.18:
	s_or_b64 exec, exec, s[0:1]
	s_lshl_b64 s[0:1], s[2:3], 1
	s_add_u32 s0, s6, s0
	s_addc_u32 s1, s7, s1
	v_mov_b32_e32 v1, 0
	global_store_short_d16_hi v1, v0, s[0:1]
	s_endpgm
	.section	.rodata,"a",@progbits
	.p2align	6, 0x0
	.amdhsa_kernel _ZL24rocblas_dot_kernel_magsqIiLb1ELi1024ELi32ELb0E16rocblas_bfloat16PKS0_fEviT5_lT_liPT6_PT4_
		.amdhsa_group_segment_fixed_size 256
		.amdhsa_private_segment_fixed_size 0
		.amdhsa_kernarg_size 320
		.amdhsa_user_sgpr_count 6
		.amdhsa_user_sgpr_private_segment_buffer 1
		.amdhsa_user_sgpr_dispatch_ptr 0
		.amdhsa_user_sgpr_queue_ptr 0
		.amdhsa_user_sgpr_kernarg_segment_ptr 1
		.amdhsa_user_sgpr_dispatch_id 0
		.amdhsa_user_sgpr_flat_scratch_init 0
		.amdhsa_user_sgpr_private_segment_size 0
		.amdhsa_uses_dynamic_stack 0
		.amdhsa_system_sgpr_private_segment_wavefront_offset 0
		.amdhsa_system_sgpr_workgroup_id_x 1
		.amdhsa_system_sgpr_workgroup_id_y 0
		.amdhsa_system_sgpr_workgroup_id_z 1
		.amdhsa_system_sgpr_workgroup_info 0
		.amdhsa_system_vgpr_workitem_id 0
		.amdhsa_next_free_vgpr 10
		.amdhsa_next_free_sgpr 20
		.amdhsa_reserve_vcc 1
		.amdhsa_reserve_flat_scratch 0
		.amdhsa_float_round_mode_32 0
		.amdhsa_float_round_mode_16_64 0
		.amdhsa_float_denorm_mode_32 3
		.amdhsa_float_denorm_mode_16_64 3
		.amdhsa_dx10_clamp 1
		.amdhsa_ieee_mode 1
		.amdhsa_fp16_overflow 0
		.amdhsa_exception_fp_ieee_invalid_op 0
		.amdhsa_exception_fp_denorm_src 0
		.amdhsa_exception_fp_ieee_div_zero 0
		.amdhsa_exception_fp_ieee_overflow 0
		.amdhsa_exception_fp_ieee_underflow 0
		.amdhsa_exception_fp_ieee_inexact 0
		.amdhsa_exception_int_div_zero 0
	.end_amdhsa_kernel
	.section	.text._ZL24rocblas_dot_kernel_magsqIiLb1ELi1024ELi32ELb0E16rocblas_bfloat16PKS0_fEviT5_lT_liPT6_PT4_,"axG",@progbits,_ZL24rocblas_dot_kernel_magsqIiLb1ELi1024ELi32ELb0E16rocblas_bfloat16PKS0_fEviT5_lT_liPT6_PT4_,comdat
.Lfunc_end12:
	.size	_ZL24rocblas_dot_kernel_magsqIiLb1ELi1024ELi32ELb0E16rocblas_bfloat16PKS0_fEviT5_lT_liPT6_PT4_, .Lfunc_end12-_ZL24rocblas_dot_kernel_magsqIiLb1ELi1024ELi32ELb0E16rocblas_bfloat16PKS0_fEviT5_lT_liPT6_PT4_
                                        ; -- End function
	.set _ZL24rocblas_dot_kernel_magsqIiLb1ELi1024ELi32ELb0E16rocblas_bfloat16PKS0_fEviT5_lT_liPT6_PT4_.num_vgpr, 10
	.set _ZL24rocblas_dot_kernel_magsqIiLb1ELi1024ELi32ELb0E16rocblas_bfloat16PKS0_fEviT5_lT_liPT6_PT4_.num_agpr, 0
	.set _ZL24rocblas_dot_kernel_magsqIiLb1ELi1024ELi32ELb0E16rocblas_bfloat16PKS0_fEviT5_lT_liPT6_PT4_.numbered_sgpr, 20
	.set _ZL24rocblas_dot_kernel_magsqIiLb1ELi1024ELi32ELb0E16rocblas_bfloat16PKS0_fEviT5_lT_liPT6_PT4_.num_named_barrier, 0
	.set _ZL24rocblas_dot_kernel_magsqIiLb1ELi1024ELi32ELb0E16rocblas_bfloat16PKS0_fEviT5_lT_liPT6_PT4_.private_seg_size, 0
	.set _ZL24rocblas_dot_kernel_magsqIiLb1ELi1024ELi32ELb0E16rocblas_bfloat16PKS0_fEviT5_lT_liPT6_PT4_.uses_vcc, 1
	.set _ZL24rocblas_dot_kernel_magsqIiLb1ELi1024ELi32ELb0E16rocblas_bfloat16PKS0_fEviT5_lT_liPT6_PT4_.uses_flat_scratch, 0
	.set _ZL24rocblas_dot_kernel_magsqIiLb1ELi1024ELi32ELb0E16rocblas_bfloat16PKS0_fEviT5_lT_liPT6_PT4_.has_dyn_sized_stack, 0
	.set _ZL24rocblas_dot_kernel_magsqIiLb1ELi1024ELi32ELb0E16rocblas_bfloat16PKS0_fEviT5_lT_liPT6_PT4_.has_recursion, 0
	.set _ZL24rocblas_dot_kernel_magsqIiLb1ELi1024ELi32ELb0E16rocblas_bfloat16PKS0_fEviT5_lT_liPT6_PT4_.has_indirect_call, 0
	.section	.AMDGPU.csdata,"",@progbits
; Kernel info:
; codeLenInByte = 868
; TotalNumSgprs: 24
; NumVgprs: 10
; ScratchSize: 0
; MemoryBound: 0
; FloatMode: 240
; IeeeMode: 1
; LDSByteSize: 256 bytes/workgroup (compile time only)
; SGPRBlocks: 2
; VGPRBlocks: 2
; NumSGPRsForWavesPerEU: 24
; NumVGPRsForWavesPerEU: 10
; Occupancy: 10
; WaveLimiterHint : 0
; COMPUTE_PGM_RSRC2:SCRATCH_EN: 0
; COMPUTE_PGM_RSRC2:USER_SGPR: 6
; COMPUTE_PGM_RSRC2:TRAP_HANDLER: 0
; COMPUTE_PGM_RSRC2:TGID_X_EN: 1
; COMPUTE_PGM_RSRC2:TGID_Y_EN: 0
; COMPUTE_PGM_RSRC2:TGID_Z_EN: 1
; COMPUTE_PGM_RSRC2:TIDIG_COMP_CNT: 0
	.section	.text._ZL23rocblas_dot_kernel_inc1ILb0ELi512ELi8ELb0E16rocblas_bfloat16PKS0_fEviT4_llS3_lliPT5_PT3_,"axG",@progbits,_ZL23rocblas_dot_kernel_inc1ILb0ELi512ELi8ELb0E16rocblas_bfloat16PKS0_fEviT4_llS3_lliPT5_PT3_,comdat
	.globl	_ZL23rocblas_dot_kernel_inc1ILb0ELi512ELi8ELb0E16rocblas_bfloat16PKS0_fEviT4_llS3_lliPT5_PT3_ ; -- Begin function _ZL23rocblas_dot_kernel_inc1ILb0ELi512ELi8ELb0E16rocblas_bfloat16PKS0_fEviT4_llS3_lliPT5_PT3_
	.p2align	8
	.type	_ZL23rocblas_dot_kernel_inc1ILb0ELi512ELi8ELb0E16rocblas_bfloat16PKS0_fEviT4_llS3_lliPT5_PT3_,@function
_ZL23rocblas_dot_kernel_inc1ILb0ELi512ELi8ELb0E16rocblas_bfloat16PKS0_fEviT4_llS3_lliPT5_PT3_: ; @_ZL23rocblas_dot_kernel_inc1ILb0ELi512ELi8ELb0E16rocblas_bfloat16PKS0_fEviT4_llS3_lliPT5_PT3_
; %bb.0:
	s_mov_b32 s2, s7
	s_load_dword s18, s[4:5], 0x50
	s_load_dword s7, s[4:5], 0x0
	s_load_dwordx4 s[8:11], s[4:5], 0x40
	v_lshl_or_b32 v1, s6, 9, v0
	s_mov_b32 s3, 0
	v_mov_b32_e32 v3, 0
	s_waitcnt lgkmcnt(0)
	v_cmp_gt_i32_e32 vcc, s7, v1
	s_and_saveexec_b64 s[12:13], vcc
	s_cbranch_execz .LBB13_4
; %bb.1:
	s_load_dwordx4 s[20:23], s[4:5], 0x10
	s_load_dwordx2 s[0:1], s[4:5], 0x8
	s_load_dwordx2 s[14:15], s[4:5], 0x20
	s_load_dwordx4 s[24:27], s[4:5], 0x28
	v_ashrrev_i32_e32 v2, 31, v1
	s_waitcnt lgkmcnt(0)
	s_mul_i32 s4, s23, s2
	s_mul_hi_u32 s5, s22, s2
	s_add_i32 s5, s5, s4
	s_mul_i32 s4, s22, s2
	s_lshl_b64 s[4:5], s[4:5], 1
	s_add_u32 s4, s0, s4
	s_addc_u32 s5, s1, s5
	s_lshl_b64 s[0:1], s[20:21], 1
	s_add_u32 s19, s4, s0
	s_addc_u32 s21, s5, s1
	s_mul_i32 s0, s27, s2
	s_mul_hi_u32 s1, s26, s2
	s_add_i32 s1, s1, s0
	s_mul_i32 s0, s26, s2
	s_lshl_b64 s[0:1], s[0:1], 1
	s_add_u32 s4, s14, s0
	s_addc_u32 s5, s15, s1
	s_lshl_b64 s[0:1], s[24:25], 1
	s_add_u32 s20, s4, s0
	s_addc_u32 s0, s5, s1
	s_lshl_b32 s4, s18, 9
	s_ashr_i32 s5, s4, 31
	v_add_u32_e32 v4, s4, v1
	v_lshlrev_b64 v[1:2], 1, v[1:2]
	s_lshl_b64 s[14:15], s[4:5], 1
	v_mov_b32_e32 v3, 0
	s_mov_b64 s[16:17], 0
	v_mov_b32_e32 v5, s0
	v_mov_b32_e32 v6, s21
	;; [unrolled: 1-line block ×3, first 2 shown]
	s_mov_b32 s5, s3
.LBB13_2:                               ; =>This Inner Loop Header: Depth=1
	v_add_co_u32_e32 v8, vcc, s20, v1
	v_addc_co_u32_e32 v9, vcc, v5, v2, vcc
	v_add_co_u32_e32 v10, vcc, s19, v1
	v_addc_co_u32_e32 v11, vcc, v6, v2, vcc
	global_load_ushort v12, v[10:11], off
	global_load_ushort v13, v[8:9], off
	s_add_i32 s15, s5, 1
	v_add_co_u32_e64 v1, s[0:1], s14, v1
	v_addc_co_u32_e64 v2, s[0:1], v2, v7, s[0:1]
	s_cmp_gt_u32 s5, 6
	v_cmp_le_i32_e32 vcc, s7, v4
	s_cselect_b64 s[0:1], -1, 0
	s_or_b64 s[0:1], s[0:1], vcc
	s_and_b64 s[0:1], exec, s[0:1]
	v_add_u32_e32 v4, s4, v4
	s_mov_b32 s5, s15
	s_or_b64 s[16:17], s[0:1], s[16:17]
	s_waitcnt vmcnt(1)
	v_lshlrev_b32_e32 v8, 16, v12
	s_waitcnt vmcnt(0)
	v_lshlrev_b32_e32 v9, 16, v13
	v_fmac_f32_e32 v3, v9, v8
	s_andn2_b64 exec, exec, s[16:17]
	s_cbranch_execnz .LBB13_2
; %bb.3:
	s_or_b64 exec, exec, s[16:17]
.LBB13_4:
	s_or_b64 exec, exec, s[12:13]
	v_and_b32_e32 v1, 63, v0
	v_cmp_gt_u32_e32 vcc, 64, v0
	v_lshlrev_b32_e32 v2, 2, v1
	s_and_saveexec_b64 s[0:1], vcc
; %bb.5:
	v_mov_b32_e32 v4, 0
	ds_write_b32 v2, v4
; %bb.6:
	s_or_b64 exec, exec, s[0:1]
	v_mbcnt_lo_u32_b32 v4, -1, 0
	v_mbcnt_hi_u32_b32 v5, -1, v4
	v_mov_b32_e32 v4, 0x80
	v_lshl_or_b32 v4, v5, 2, v4
	ds_bpermute_b32 v4, v4, v3
	v_and_b32_e32 v6, 63, v5
	v_cmp_gt_u32_e64 s[0:1], 48, v6
	v_cndmask_b32_e64 v7, 0, 16, s[0:1]
	v_cmp_gt_u32_e64 s[0:1], 56, v6
	s_waitcnt lgkmcnt(0)
	v_add_f32_e32 v3, v3, v4
	v_add_lshl_u32 v4, v7, v5, 2
	ds_bpermute_b32 v4, v4, v3
	v_cndmask_b32_e64 v7, 0, 8, s[0:1]
	v_add_lshl_u32 v7, v7, v5, 2
	v_cmp_gt_u32_e64 s[0:1], 60, v6
	s_waitcnt lgkmcnt(0)
	v_add_f32_e32 v4, v3, v4
	ds_bpermute_b32 v7, v7, v4
	v_cndmask_b32_e64 v3, 0, 4, s[0:1]
	v_add_lshl_u32 v3, v3, v5, 2
	v_cmp_gt_u32_e64 s[0:1], 62, v6
	s_waitcnt lgkmcnt(0)
	s_barrier
	v_add_f32_e32 v7, v4, v7
	ds_bpermute_b32 v8, v3, v7
	v_cndmask_b32_e64 v4, 0, 2, s[0:1]
	v_add_lshl_u32 v4, v4, v5, 2
	v_cmp_ne_u32_e64 s[0:1], 63, v6
	v_addc_co_u32_e64 v5, s[0:1], 0, v5, s[0:1]
	s_waitcnt lgkmcnt(0)
	v_add_f32_e32 v7, v7, v8
	ds_bpermute_b32 v8, v4, v7
	v_lshlrev_b32_e32 v5, 2, v5
	v_cmp_eq_u32_e64 s[0:1], 0, v1
	s_waitcnt lgkmcnt(0)
	v_add_f32_e32 v6, v7, v8
	ds_bpermute_b32 v7, v5, v6
	s_and_saveexec_b64 s[4:5], s[0:1]
	s_cbranch_execz .LBB13_8
; %bb.7:
	s_waitcnt lgkmcnt(0)
	v_add_f32_e32 v1, v6, v7
	v_lshrrev_b32_e32 v6, 4, v0
	v_and_b32_e32 v6, 28, v6
	ds_write_b32 v6, v1
.LBB13_8:
	s_or_b64 exec, exec, s[4:5]
	v_cmp_gt_u32_e64 s[0:1], 8, v0
	v_mov_b32_e32 v1, 0
	s_waitcnt lgkmcnt(0)
	s_barrier
	s_and_saveexec_b64 s[4:5], s[0:1]
	s_cbranch_execnz .LBB13_12
; %bb.9:
	s_or_b64 exec, exec, s[4:5]
	s_and_saveexec_b64 s[0:1], vcc
	s_cbranch_execnz .LBB13_13
.LBB13_10:
	s_or_b64 exec, exec, s[0:1]
	v_cmp_eq_u32_e32 vcc, 0, v0
	s_and_saveexec_b64 s[0:1], vcc
	s_cbranch_execnz .LBB13_14
.LBB13_11:
	s_endpgm
.LBB13_12:
	ds_read_b32 v1, v2
	s_or_b64 exec, exec, s[4:5]
	s_and_saveexec_b64 s[0:1], vcc
	s_cbranch_execz .LBB13_10
.LBB13_13:
	s_waitcnt lgkmcnt(0)
	ds_bpermute_b32 v2, v3, v1
	s_waitcnt lgkmcnt(0)
	v_add_f32_e32 v1, v1, v2
	ds_bpermute_b32 v2, v4, v1
	s_waitcnt lgkmcnt(0)
	v_add_f32_e32 v1, v1, v2
	;; [unrolled: 3-line block ×3, first 2 shown]
	s_or_b64 exec, exec, s[0:1]
	v_cmp_eq_u32_e32 vcc, 0, v0
	s_and_saveexec_b64 s[0:1], vcc
	s_cbranch_execz .LBB13_11
.LBB13_14:
	s_cmp_lg_u32 s18, 1
	s_mov_b64 s[0:1], -1
	s_cbranch_scc0 .LBB13_16
; %bb.15:
	s_mul_hi_u32 s1, s18, s2
	s_mul_i32 s0, s18, s2
	s_lshl_b64 s[0:1], s[0:1], 2
	s_mov_b32 s7, 0
	s_add_u32 s4, s8, s0
	s_addc_u32 s5, s9, s1
	s_lshl_b64 s[0:1], s[6:7], 2
	s_add_u32 s0, s4, s0
	s_addc_u32 s1, s5, s1
	v_mov_b32_e32 v0, 0
	s_waitcnt lgkmcnt(0)
	global_store_dword v0, v1, s[0:1]
	s_mov_b64 s[0:1], 0
.LBB13_16:
	s_andn2_b64 vcc, exec, s[0:1]
	s_cbranch_vccnz .LBB13_11
; %bb.17:
	s_mov_b32 s0, 0x7f800000
	s_waitcnt lgkmcnt(0)
	v_and_b32_e32 v0, 0x7f800000, v1
	v_cmp_ne_u32_e32 vcc, s0, v0
                                        ; implicit-def: $vgpr0
	s_and_saveexec_b64 s[0:1], vcc
	s_xor_b64 s[0:1], exec, s[0:1]
; %bb.18:
	v_bfe_u32 v0, v1, 16, 1
	s_movk_i32 s4, 0x7fff
	v_add3_u32 v0, v1, v0, s4
                                        ; implicit-def: $vgpr1
; %bb.19:
	s_andn2_saveexec_b64 s[0:1], s[0:1]
; %bb.20:
	v_mov_b32_e32 v0, 0
	v_or_b32_e32 v2, 0x10000, v1
	v_cmp_eq_u32_sdwa vcc, v1, v0 src0_sel:WORD_0 src1_sel:DWORD
	v_cndmask_b32_e32 v0, v2, v1, vcc
; %bb.21:
	s_or_b64 exec, exec, s[0:1]
	s_lshl_b64 s[0:1], s[2:3], 1
	s_add_u32 s0, s10, s0
	s_addc_u32 s1, s11, s1
	v_mov_b32_e32 v1, 0
	global_store_short_d16_hi v1, v0, s[0:1]
	s_endpgm
	.section	.rodata,"a",@progbits
	.p2align	6, 0x0
	.amdhsa_kernel _ZL23rocblas_dot_kernel_inc1ILb0ELi512ELi8ELb0E16rocblas_bfloat16PKS0_fEviT4_llS3_lliPT5_PT3_
		.amdhsa_group_segment_fixed_size 256
		.amdhsa_private_segment_fixed_size 0
		.amdhsa_kernarg_size 336
		.amdhsa_user_sgpr_count 6
		.amdhsa_user_sgpr_private_segment_buffer 1
		.amdhsa_user_sgpr_dispatch_ptr 0
		.amdhsa_user_sgpr_queue_ptr 0
		.amdhsa_user_sgpr_kernarg_segment_ptr 1
		.amdhsa_user_sgpr_dispatch_id 0
		.amdhsa_user_sgpr_flat_scratch_init 0
		.amdhsa_user_sgpr_private_segment_size 0
		.amdhsa_uses_dynamic_stack 0
		.amdhsa_system_sgpr_private_segment_wavefront_offset 0
		.amdhsa_system_sgpr_workgroup_id_x 1
		.amdhsa_system_sgpr_workgroup_id_y 0
		.amdhsa_system_sgpr_workgroup_id_z 1
		.amdhsa_system_sgpr_workgroup_info 0
		.amdhsa_system_vgpr_workitem_id 0
		.amdhsa_next_free_vgpr 14
		.amdhsa_next_free_sgpr 28
		.amdhsa_reserve_vcc 1
		.amdhsa_reserve_flat_scratch 0
		.amdhsa_float_round_mode_32 0
		.amdhsa_float_round_mode_16_64 0
		.amdhsa_float_denorm_mode_32 3
		.amdhsa_float_denorm_mode_16_64 3
		.amdhsa_dx10_clamp 1
		.amdhsa_ieee_mode 1
		.amdhsa_fp16_overflow 0
		.amdhsa_exception_fp_ieee_invalid_op 0
		.amdhsa_exception_fp_denorm_src 0
		.amdhsa_exception_fp_ieee_div_zero 0
		.amdhsa_exception_fp_ieee_overflow 0
		.amdhsa_exception_fp_ieee_underflow 0
		.amdhsa_exception_fp_ieee_inexact 0
		.amdhsa_exception_int_div_zero 0
	.end_amdhsa_kernel
	.section	.text._ZL23rocblas_dot_kernel_inc1ILb0ELi512ELi8ELb0E16rocblas_bfloat16PKS0_fEviT4_llS3_lliPT5_PT3_,"axG",@progbits,_ZL23rocblas_dot_kernel_inc1ILb0ELi512ELi8ELb0E16rocblas_bfloat16PKS0_fEviT4_llS3_lliPT5_PT3_,comdat
.Lfunc_end13:
	.size	_ZL23rocblas_dot_kernel_inc1ILb0ELi512ELi8ELb0E16rocblas_bfloat16PKS0_fEviT4_llS3_lliPT5_PT3_, .Lfunc_end13-_ZL23rocblas_dot_kernel_inc1ILb0ELi512ELi8ELb0E16rocblas_bfloat16PKS0_fEviT4_llS3_lliPT5_PT3_
                                        ; -- End function
	.set _ZL23rocblas_dot_kernel_inc1ILb0ELi512ELi8ELb0E16rocblas_bfloat16PKS0_fEviT4_llS3_lliPT5_PT3_.num_vgpr, 14
	.set _ZL23rocblas_dot_kernel_inc1ILb0ELi512ELi8ELb0E16rocblas_bfloat16PKS0_fEviT4_llS3_lliPT5_PT3_.num_agpr, 0
	.set _ZL23rocblas_dot_kernel_inc1ILb0ELi512ELi8ELb0E16rocblas_bfloat16PKS0_fEviT4_llS3_lliPT5_PT3_.numbered_sgpr, 28
	.set _ZL23rocblas_dot_kernel_inc1ILb0ELi512ELi8ELb0E16rocblas_bfloat16PKS0_fEviT4_llS3_lliPT5_PT3_.num_named_barrier, 0
	.set _ZL23rocblas_dot_kernel_inc1ILb0ELi512ELi8ELb0E16rocblas_bfloat16PKS0_fEviT4_llS3_lliPT5_PT3_.private_seg_size, 0
	.set _ZL23rocblas_dot_kernel_inc1ILb0ELi512ELi8ELb0E16rocblas_bfloat16PKS0_fEviT4_llS3_lliPT5_PT3_.uses_vcc, 1
	.set _ZL23rocblas_dot_kernel_inc1ILb0ELi512ELi8ELb0E16rocblas_bfloat16PKS0_fEviT4_llS3_lliPT5_PT3_.uses_flat_scratch, 0
	.set _ZL23rocblas_dot_kernel_inc1ILb0ELi512ELi8ELb0E16rocblas_bfloat16PKS0_fEviT4_llS3_lliPT5_PT3_.has_dyn_sized_stack, 0
	.set _ZL23rocblas_dot_kernel_inc1ILb0ELi512ELi8ELb0E16rocblas_bfloat16PKS0_fEviT4_llS3_lliPT5_PT3_.has_recursion, 0
	.set _ZL23rocblas_dot_kernel_inc1ILb0ELi512ELi8ELb0E16rocblas_bfloat16PKS0_fEviT4_llS3_lliPT5_PT3_.has_indirect_call, 0
	.section	.AMDGPU.csdata,"",@progbits
; Kernel info:
; codeLenInByte = 1004
; TotalNumSgprs: 32
; NumVgprs: 14
; ScratchSize: 0
; MemoryBound: 0
; FloatMode: 240
; IeeeMode: 1
; LDSByteSize: 256 bytes/workgroup (compile time only)
; SGPRBlocks: 3
; VGPRBlocks: 3
; NumSGPRsForWavesPerEU: 32
; NumVGPRsForWavesPerEU: 14
; Occupancy: 10
; WaveLimiterHint : 0
; COMPUTE_PGM_RSRC2:SCRATCH_EN: 0
; COMPUTE_PGM_RSRC2:USER_SGPR: 6
; COMPUTE_PGM_RSRC2:TRAP_HANDLER: 0
; COMPUTE_PGM_RSRC2:TGID_X_EN: 1
; COMPUTE_PGM_RSRC2:TGID_Y_EN: 0
; COMPUTE_PGM_RSRC2:TGID_Z_EN: 1
; COMPUTE_PGM_RSRC2:TIDIG_COMP_CNT: 0
	.section	.text._ZL18rocblas_dot_kernelIiLb0ELi512ELi8ELb0E16rocblas_bfloat16PKS0_fEviT5_lT_lS3_lS4_liPT6_PT4_,"axG",@progbits,_ZL18rocblas_dot_kernelIiLb0ELi512ELi8ELb0E16rocblas_bfloat16PKS0_fEviT5_lT_lS3_lS4_liPT6_PT4_,comdat
	.globl	_ZL18rocblas_dot_kernelIiLb0ELi512ELi8ELb0E16rocblas_bfloat16PKS0_fEviT5_lT_lS3_lS4_liPT6_PT4_ ; -- Begin function _ZL18rocblas_dot_kernelIiLb0ELi512ELi8ELb0E16rocblas_bfloat16PKS0_fEviT5_lT_lS3_lS4_liPT6_PT4_
	.p2align	8
	.type	_ZL18rocblas_dot_kernelIiLb0ELi512ELi8ELb0E16rocblas_bfloat16PKS0_fEviT5_lT_lS3_lS4_liPT6_PT4_,@function
_ZL18rocblas_dot_kernelIiLb0ELi512ELi8ELb0E16rocblas_bfloat16PKS0_fEviT5_lT_lS3_lS4_liPT6_PT4_: ; @_ZL18rocblas_dot_kernelIiLb0ELi512ELi8ELb0E16rocblas_bfloat16PKS0_fEviT5_lT_lS3_lS4_liPT6_PT4_
; %bb.0:
	s_mov_b32 s12, s7
	s_load_dword s18, s[4:5], 0x60
	s_load_dword s7, s[4:5], 0x0
	s_load_dwordx4 s[8:11], s[4:5], 0x50
	v_lshl_or_b32 v3, s6, 9, v0
	s_mov_b32 s13, 0
	v_mov_b32_e32 v6, 0
	s_waitcnt lgkmcnt(0)
	v_cmp_gt_i32_e32 vcc, s7, v3
	s_and_saveexec_b64 s[14:15], vcc
	s_cbranch_execz .LBB14_4
; %bb.1:
	s_load_dword s26, s[4:5], 0x18
	s_load_dwordx4 s[20:23], s[4:5], 0x8
	s_load_dwordx4 s[0:3], s[4:5], 0x20
	s_load_dwordx2 s[16:17], s[4:5], 0x30
	s_lshl_b32 s19, s18, 9
	s_waitcnt lgkmcnt(0)
	v_mad_i64_i32 v[1:2], s[24:25], s26, v3, 0
	s_load_dword s27, s[4:5], 0x38
	s_load_dwordx2 s[24:25], s[4:5], 0x40
	s_mul_i32 s1, s1, s12
	s_mul_hi_u32 s4, s0, s12
	s_add_i32 s1, s4, s1
	s_mul_i32 s0, s0, s12
	s_lshl_b64 s[0:1], s[0:1], 1
	s_lshl_b64 s[4:5], s[22:23], 1
	s_add_u32 s4, s20, s4
	s_addc_u32 s5, s21, s5
	v_lshlrev_b64 v[1:2], 1, v[1:2]
	s_add_u32 s0, s4, s0
	s_addc_u32 s1, s5, s1
	v_mov_b32_e32 v4, s1
	v_add_co_u32_e32 v1, vcc, s0, v1
	v_add_u32_e32 v5, s19, v3
	v_addc_co_u32_e32 v2, vcc, v4, v2, vcc
	s_waitcnt lgkmcnt(0)
	v_mad_i64_i32 v[3:4], s[0:1], s27, v3, 0
	s_mul_hi_i32 s1, s26, s19
	s_mul_i32 s0, s26, s19
	s_lshl_b64 s[4:5], s[0:1], 1
	s_mul_i32 s0, s25, s12
	s_mul_hi_u32 s1, s24, s12
	s_add_i32 s1, s1, s0
	s_mul_i32 s0, s24, s12
	s_lshl_b64 s[0:1], s[0:1], 1
	s_lshl_b64 s[16:17], s[16:17], 1
	s_add_u32 s2, s2, s16
	s_addc_u32 s3, s3, s17
	v_lshlrev_b64 v[3:4], 1, v[3:4]
	s_add_u32 s0, s2, s0
	s_addc_u32 s1, s3, s1
	v_mov_b32_e32 v6, s1
	v_add_co_u32_e32 v3, vcc, s0, v3
	s_mul_hi_i32 s1, s27, s19
	s_mul_i32 s0, s27, s19
	s_lshl_b64 s[2:3], s[0:1], 1
	v_addc_co_u32_e32 v4, vcc, v6, v4, vcc
	v_mov_b32_e32 v6, 0
	s_mov_b64 s[16:17], 0
	v_mov_b32_e32 v7, s5
	v_mov_b32_e32 v8, s3
	s_mov_b32 s3, s13
.LBB14_2:                               ; =>This Inner Loop Header: Depth=1
	global_load_ushort v9, v[1:2], off
	global_load_ushort v10, v[3:4], off
	v_add_co_u32_e64 v1, s[0:1], s4, v1
	v_addc_co_u32_e64 v2, s[0:1], v2, v7, s[0:1]
	s_add_i32 s5, s3, 1
	v_add_co_u32_e64 v3, s[0:1], s2, v3
	v_addc_co_u32_e64 v4, s[0:1], v4, v8, s[0:1]
	s_cmp_gt_u32 s3, 6
	v_cmp_le_i32_e32 vcc, s7, v5
	s_cselect_b64 s[0:1], -1, 0
	s_or_b64 s[0:1], s[0:1], vcc
	s_and_b64 s[0:1], exec, s[0:1]
	v_add_u32_e32 v5, s19, v5
	s_mov_b32 s3, s5
	s_or_b64 s[16:17], s[0:1], s[16:17]
	s_waitcnt vmcnt(1)
	v_lshlrev_b32_e32 v9, 16, v9
	s_waitcnt vmcnt(0)
	v_lshlrev_b32_e32 v10, 16, v10
	v_fmac_f32_e32 v6, v10, v9
	s_andn2_b64 exec, exec, s[16:17]
	s_cbranch_execnz .LBB14_2
; %bb.3:
	s_or_b64 exec, exec, s[16:17]
.LBB14_4:
	s_or_b64 exec, exec, s[14:15]
	v_and_b32_e32 v1, 63, v0
	v_cmp_gt_u32_e32 vcc, 64, v0
	v_lshlrev_b32_e32 v2, 2, v1
	s_and_saveexec_b64 s[0:1], vcc
; %bb.5:
	v_mov_b32_e32 v3, 0
	ds_write_b32 v2, v3
; %bb.6:
	s_or_b64 exec, exec, s[0:1]
	v_mbcnt_lo_u32_b32 v3, -1, 0
	v_mbcnt_hi_u32_b32 v5, -1, v3
	v_mov_b32_e32 v3, 0x80
	v_lshl_or_b32 v3, v5, 2, v3
	ds_bpermute_b32 v3, v3, v6
	v_and_b32_e32 v7, 63, v5
	v_cmp_gt_u32_e64 s[0:1], 48, v7
	v_cndmask_b32_e64 v4, 0, 16, s[0:1]
	v_add_lshl_u32 v4, v4, v5, 2
	s_waitcnt lgkmcnt(0)
	v_add_f32_e32 v3, v6, v3
	ds_bpermute_b32 v4, v4, v3
	v_cmp_gt_u32_e64 s[0:1], 56, v7
	v_cndmask_b32_e64 v6, 0, 8, s[0:1]
	v_add_lshl_u32 v6, v6, v5, 2
	v_cmp_gt_u32_e64 s[0:1], 60, v7
	s_waitcnt lgkmcnt(0)
	v_add_f32_e32 v4, v3, v4
	ds_bpermute_b32 v6, v6, v4
	v_cndmask_b32_e64 v3, 0, 4, s[0:1]
	v_add_lshl_u32 v3, v3, v5, 2
	v_cmp_gt_u32_e64 s[0:1], 62, v7
	s_waitcnt lgkmcnt(0)
	v_add_f32_e32 v6, v4, v6
	ds_bpermute_b32 v8, v3, v6
	v_cndmask_b32_e64 v4, 0, 2, s[0:1]
	v_add_lshl_u32 v4, v4, v5, 2
	v_cmp_ne_u32_e64 s[0:1], 63, v7
	v_addc_co_u32_e64 v5, s[0:1], 0, v5, s[0:1]
	s_waitcnt lgkmcnt(0)
	v_add_f32_e32 v6, v6, v8
	ds_bpermute_b32 v8, v4, v6
	v_lshlrev_b32_e32 v5, 2, v5
	v_cmp_eq_u32_e64 s[0:1], 0, v1
	s_waitcnt lgkmcnt(0)
	s_barrier
	v_add_f32_e32 v6, v6, v8
	ds_bpermute_b32 v7, v5, v6
	s_and_saveexec_b64 s[2:3], s[0:1]
	s_cbranch_execz .LBB14_8
; %bb.7:
	s_waitcnt lgkmcnt(0)
	v_add_f32_e32 v1, v6, v7
	v_lshrrev_b32_e32 v6, 4, v0
	v_and_b32_e32 v6, 28, v6
	ds_write_b32 v6, v1
.LBB14_8:
	s_or_b64 exec, exec, s[2:3]
	v_cmp_gt_u32_e64 s[0:1], 8, v0
	v_mov_b32_e32 v1, 0
	s_waitcnt lgkmcnt(0)
	s_barrier
	s_and_saveexec_b64 s[2:3], s[0:1]
	s_cbranch_execnz .LBB14_12
; %bb.9:
	s_or_b64 exec, exec, s[2:3]
	s_and_saveexec_b64 s[0:1], vcc
	s_cbranch_execnz .LBB14_13
.LBB14_10:
	s_or_b64 exec, exec, s[0:1]
	v_cmp_eq_u32_e32 vcc, 0, v0
	s_and_saveexec_b64 s[0:1], vcc
	s_cbranch_execnz .LBB14_14
.LBB14_11:
	s_endpgm
.LBB14_12:
	ds_read_b32 v1, v2
	s_or_b64 exec, exec, s[2:3]
	s_and_saveexec_b64 s[0:1], vcc
	s_cbranch_execz .LBB14_10
.LBB14_13:
	s_waitcnt lgkmcnt(0)
	ds_bpermute_b32 v2, v3, v1
	s_waitcnt lgkmcnt(0)
	v_add_f32_e32 v1, v1, v2
	ds_bpermute_b32 v2, v4, v1
	s_waitcnt lgkmcnt(0)
	v_add_f32_e32 v1, v1, v2
	ds_bpermute_b32 v2, v5, v1
	s_waitcnt lgkmcnt(0)
	v_add_f32_e32 v1, v1, v2
	s_or_b64 exec, exec, s[0:1]
	v_cmp_eq_u32_e32 vcc, 0, v0
	s_and_saveexec_b64 s[0:1], vcc
	s_cbranch_execz .LBB14_11
.LBB14_14:
	s_cmp_lg_u32 s18, 1
	s_mov_b64 s[0:1], -1
	s_cbranch_scc0 .LBB14_16
; %bb.15:
	s_mul_hi_u32 s1, s18, s12
	s_mul_i32 s0, s18, s12
	s_lshl_b64 s[0:1], s[0:1], 2
	s_mov_b32 s7, 0
	s_add_u32 s2, s8, s0
	s_addc_u32 s3, s9, s1
	s_lshl_b64 s[0:1], s[6:7], 2
	s_add_u32 s0, s2, s0
	s_addc_u32 s1, s3, s1
	v_mov_b32_e32 v0, 0
	s_waitcnt lgkmcnt(0)
	global_store_dword v0, v1, s[0:1]
	s_mov_b64 s[0:1], 0
.LBB14_16:
	s_andn2_b64 vcc, exec, s[0:1]
	s_cbranch_vccnz .LBB14_11
; %bb.17:
	s_mov_b32 s0, 0x7f800000
	s_waitcnt lgkmcnt(0)
	v_and_b32_e32 v0, 0x7f800000, v1
	v_cmp_ne_u32_e32 vcc, s0, v0
                                        ; implicit-def: $vgpr0
	s_and_saveexec_b64 s[0:1], vcc
	s_xor_b64 s[0:1], exec, s[0:1]
; %bb.18:
	v_bfe_u32 v0, v1, 16, 1
	s_movk_i32 s2, 0x7fff
	v_add3_u32 v0, v1, v0, s2
                                        ; implicit-def: $vgpr1
; %bb.19:
	s_andn2_saveexec_b64 s[0:1], s[0:1]
; %bb.20:
	v_mov_b32_e32 v0, 0
	v_or_b32_e32 v2, 0x10000, v1
	v_cmp_eq_u32_sdwa vcc, v1, v0 src0_sel:WORD_0 src1_sel:DWORD
	v_cndmask_b32_e32 v0, v2, v1, vcc
; %bb.21:
	s_or_b64 exec, exec, s[0:1]
	s_lshl_b64 s[0:1], s[12:13], 1
	s_add_u32 s0, s10, s0
	s_addc_u32 s1, s11, s1
	v_mov_b32_e32 v1, 0
	global_store_short_d16_hi v1, v0, s[0:1]
	s_endpgm
	.section	.rodata,"a",@progbits
	.p2align	6, 0x0
	.amdhsa_kernel _ZL18rocblas_dot_kernelIiLb0ELi512ELi8ELb0E16rocblas_bfloat16PKS0_fEviT5_lT_lS3_lS4_liPT6_PT4_
		.amdhsa_group_segment_fixed_size 256
		.amdhsa_private_segment_fixed_size 0
		.amdhsa_kernarg_size 352
		.amdhsa_user_sgpr_count 6
		.amdhsa_user_sgpr_private_segment_buffer 1
		.amdhsa_user_sgpr_dispatch_ptr 0
		.amdhsa_user_sgpr_queue_ptr 0
		.amdhsa_user_sgpr_kernarg_segment_ptr 1
		.amdhsa_user_sgpr_dispatch_id 0
		.amdhsa_user_sgpr_flat_scratch_init 0
		.amdhsa_user_sgpr_private_segment_size 0
		.amdhsa_uses_dynamic_stack 0
		.amdhsa_system_sgpr_private_segment_wavefront_offset 0
		.amdhsa_system_sgpr_workgroup_id_x 1
		.amdhsa_system_sgpr_workgroup_id_y 0
		.amdhsa_system_sgpr_workgroup_id_z 1
		.amdhsa_system_sgpr_workgroup_info 0
		.amdhsa_system_vgpr_workitem_id 0
		.amdhsa_next_free_vgpr 11
		.amdhsa_next_free_sgpr 28
		.amdhsa_reserve_vcc 1
		.amdhsa_reserve_flat_scratch 0
		.amdhsa_float_round_mode_32 0
		.amdhsa_float_round_mode_16_64 0
		.amdhsa_float_denorm_mode_32 3
		.amdhsa_float_denorm_mode_16_64 3
		.amdhsa_dx10_clamp 1
		.amdhsa_ieee_mode 1
		.amdhsa_fp16_overflow 0
		.amdhsa_exception_fp_ieee_invalid_op 0
		.amdhsa_exception_fp_denorm_src 0
		.amdhsa_exception_fp_ieee_div_zero 0
		.amdhsa_exception_fp_ieee_overflow 0
		.amdhsa_exception_fp_ieee_underflow 0
		.amdhsa_exception_fp_ieee_inexact 0
		.amdhsa_exception_int_div_zero 0
	.end_amdhsa_kernel
	.section	.text._ZL18rocblas_dot_kernelIiLb0ELi512ELi8ELb0E16rocblas_bfloat16PKS0_fEviT5_lT_lS3_lS4_liPT6_PT4_,"axG",@progbits,_ZL18rocblas_dot_kernelIiLb0ELi512ELi8ELb0E16rocblas_bfloat16PKS0_fEviT5_lT_lS3_lS4_liPT6_PT4_,comdat
.Lfunc_end14:
	.size	_ZL18rocblas_dot_kernelIiLb0ELi512ELi8ELb0E16rocblas_bfloat16PKS0_fEviT5_lT_lS3_lS4_liPT6_PT4_, .Lfunc_end14-_ZL18rocblas_dot_kernelIiLb0ELi512ELi8ELb0E16rocblas_bfloat16PKS0_fEviT5_lT_lS3_lS4_liPT6_PT4_
                                        ; -- End function
	.set _ZL18rocblas_dot_kernelIiLb0ELi512ELi8ELb0E16rocblas_bfloat16PKS0_fEviT5_lT_lS3_lS4_liPT6_PT4_.num_vgpr, 11
	.set _ZL18rocblas_dot_kernelIiLb0ELi512ELi8ELb0E16rocblas_bfloat16PKS0_fEviT5_lT_lS3_lS4_liPT6_PT4_.num_agpr, 0
	.set _ZL18rocblas_dot_kernelIiLb0ELi512ELi8ELb0E16rocblas_bfloat16PKS0_fEviT5_lT_lS3_lS4_liPT6_PT4_.numbered_sgpr, 28
	.set _ZL18rocblas_dot_kernelIiLb0ELi512ELi8ELb0E16rocblas_bfloat16PKS0_fEviT5_lT_lS3_lS4_liPT6_PT4_.num_named_barrier, 0
	.set _ZL18rocblas_dot_kernelIiLb0ELi512ELi8ELb0E16rocblas_bfloat16PKS0_fEviT5_lT_lS3_lS4_liPT6_PT4_.private_seg_size, 0
	.set _ZL18rocblas_dot_kernelIiLb0ELi512ELi8ELb0E16rocblas_bfloat16PKS0_fEviT5_lT_lS3_lS4_liPT6_PT4_.uses_vcc, 1
	.set _ZL18rocblas_dot_kernelIiLb0ELi512ELi8ELb0E16rocblas_bfloat16PKS0_fEviT5_lT_lS3_lS4_liPT6_PT4_.uses_flat_scratch, 0
	.set _ZL18rocblas_dot_kernelIiLb0ELi512ELi8ELb0E16rocblas_bfloat16PKS0_fEviT5_lT_lS3_lS4_liPT6_PT4_.has_dyn_sized_stack, 0
	.set _ZL18rocblas_dot_kernelIiLb0ELi512ELi8ELb0E16rocblas_bfloat16PKS0_fEviT5_lT_lS3_lS4_liPT6_PT4_.has_recursion, 0
	.set _ZL18rocblas_dot_kernelIiLb0ELi512ELi8ELb0E16rocblas_bfloat16PKS0_fEviT5_lT_lS3_lS4_liPT6_PT4_.has_indirect_call, 0
	.section	.AMDGPU.csdata,"",@progbits
; Kernel info:
; codeLenInByte = 1080
; TotalNumSgprs: 32
; NumVgprs: 11
; ScratchSize: 0
; MemoryBound: 0
; FloatMode: 240
; IeeeMode: 1
; LDSByteSize: 256 bytes/workgroup (compile time only)
; SGPRBlocks: 3
; VGPRBlocks: 2
; NumSGPRsForWavesPerEU: 32
; NumVGPRsForWavesPerEU: 11
; Occupancy: 10
; WaveLimiterHint : 0
; COMPUTE_PGM_RSRC2:SCRATCH_EN: 0
; COMPUTE_PGM_RSRC2:USER_SGPR: 6
; COMPUTE_PGM_RSRC2:TRAP_HANDLER: 0
; COMPUTE_PGM_RSRC2:TGID_X_EN: 1
; COMPUTE_PGM_RSRC2:TGID_Y_EN: 0
; COMPUTE_PGM_RSRC2:TGID_Z_EN: 1
; COMPUTE_PGM_RSRC2:TIDIG_COMP_CNT: 0
	.section	.text._ZL24rocblas_dot_kernel_magsqIiLb0ELi512ELi8ELb0E16rocblas_bfloat16PKS0_fEviT5_lT_liPT6_PT4_,"axG",@progbits,_ZL24rocblas_dot_kernel_magsqIiLb0ELi512ELi8ELb0E16rocblas_bfloat16PKS0_fEviT5_lT_liPT6_PT4_,comdat
	.globl	_ZL24rocblas_dot_kernel_magsqIiLb0ELi512ELi8ELb0E16rocblas_bfloat16PKS0_fEviT5_lT_liPT6_PT4_ ; -- Begin function _ZL24rocblas_dot_kernel_magsqIiLb0ELi512ELi8ELb0E16rocblas_bfloat16PKS0_fEviT5_lT_liPT6_PT4_
	.p2align	8
	.type	_ZL24rocblas_dot_kernel_magsqIiLb0ELi512ELi8ELb0E16rocblas_bfloat16PKS0_fEviT5_lT_liPT6_PT4_,@function
_ZL24rocblas_dot_kernel_magsqIiLb0ELi512ELi8ELb0E16rocblas_bfloat16PKS0_fEviT5_lT_liPT6_PT4_: ; @_ZL24rocblas_dot_kernel_magsqIiLb0ELi512ELi8ELb0E16rocblas_bfloat16PKS0_fEviT5_lT_liPT6_PT4_
; %bb.0:
	s_mov_b32 s2, s7
	s_load_dword s7, s[4:5], 0x0
	s_load_dwordx4 s[8:11], s[4:5], 0x30
	s_load_dword s16, s[4:5], 0x40
	v_lshl_or_b32 v1, s6, 9, v0
	s_mov_b32 s3, 0
	s_waitcnt lgkmcnt(0)
	v_cmp_gt_i32_e32 vcc, s7, v1
	v_mov_b32_e32 v3, 0
	s_and_saveexec_b64 s[12:13], vcc
	s_cbranch_execz .LBB15_4
; %bb.1:
	s_load_dword s14, s[4:5], 0x18
	s_load_dwordx4 s[20:23], s[4:5], 0x8
	s_load_dwordx2 s[0:1], s[4:5], 0x20
	s_lshl_b32 s17, s16, 9
	v_add_u32_e32 v4, s17, v1
	s_waitcnt lgkmcnt(0)
	v_mad_i64_i32 v[2:3], s[4:5], s14, v1, 0
	s_mul_i32 s1, s1, s2
	s_mul_hi_u32 s4, s0, s2
	s_add_i32 s1, s4, s1
	s_mul_i32 s0, s0, s2
	s_lshl_b64 s[0:1], s[0:1], 1
	s_lshl_b64 s[4:5], s[22:23], 1
	s_add_u32 s4, s20, s4
	s_addc_u32 s5, s21, s5
	v_lshlrev_b64 v[1:2], 1, v[2:3]
	s_add_u32 s0, s4, s0
	s_addc_u32 s1, s5, s1
	v_mov_b32_e32 v3, s1
	v_add_co_u32_e32 v1, vcc, s0, v1
	s_mul_hi_i32 s1, s14, s17
	s_mul_i32 s0, s14, s17
	s_lshl_b64 s[4:5], s[0:1], 1
	v_addc_co_u32_e32 v2, vcc, v3, v2, vcc
	v_mov_b32_e32 v3, 0
	s_mov_b64 s[14:15], 0
	v_mov_b32_e32 v5, s5
	s_mov_b32 s5, s3
.LBB15_2:                               ; =>This Inner Loop Header: Depth=1
	global_load_ushort v6, v[1:2], off
	s_add_i32 s18, s5, 1
	v_add_co_u32_e64 v1, s[0:1], s4, v1
	v_addc_co_u32_e64 v2, s[0:1], v2, v5, s[0:1]
	s_cmp_gt_u32 s5, 6
	v_cmp_le_i32_e32 vcc, s7, v4
	s_cselect_b64 s[0:1], -1, 0
	s_or_b64 s[0:1], s[0:1], vcc
	s_and_b64 s[0:1], exec, s[0:1]
	v_add_u32_e32 v4, s17, v4
	s_mov_b32 s5, s18
	s_or_b64 s[14:15], s[0:1], s[14:15]
	s_waitcnt vmcnt(0)
	v_lshlrev_b32_e32 v6, 16, v6
	v_fmac_f32_e32 v3, v6, v6
	s_andn2_b64 exec, exec, s[14:15]
	s_cbranch_execnz .LBB15_2
; %bb.3:
	s_or_b64 exec, exec, s[14:15]
.LBB15_4:
	s_or_b64 exec, exec, s[12:13]
	v_and_b32_e32 v1, 63, v0
	v_cmp_gt_u32_e32 vcc, 64, v0
	v_lshlrev_b32_e32 v2, 2, v1
	s_and_saveexec_b64 s[0:1], vcc
; %bb.5:
	v_mov_b32_e32 v4, 0
	ds_write_b32 v2, v4
; %bb.6:
	s_or_b64 exec, exec, s[0:1]
	v_mbcnt_lo_u32_b32 v4, -1, 0
	v_mbcnt_hi_u32_b32 v5, -1, v4
	v_mov_b32_e32 v4, 0x80
	v_lshl_or_b32 v4, v5, 2, v4
	ds_bpermute_b32 v4, v4, v3
	v_and_b32_e32 v6, 63, v5
	v_cmp_gt_u32_e64 s[0:1], 48, v6
	v_cndmask_b32_e64 v7, 0, 16, s[0:1]
	v_cmp_gt_u32_e64 s[0:1], 56, v6
	s_waitcnt lgkmcnt(0)
	v_add_f32_e32 v3, v3, v4
	v_add_lshl_u32 v4, v7, v5, 2
	ds_bpermute_b32 v4, v4, v3
	v_cndmask_b32_e64 v7, 0, 8, s[0:1]
	v_add_lshl_u32 v7, v7, v5, 2
	v_cmp_gt_u32_e64 s[0:1], 60, v6
	s_waitcnt lgkmcnt(0)
	v_add_f32_e32 v4, v3, v4
	ds_bpermute_b32 v7, v7, v4
	v_cndmask_b32_e64 v3, 0, 4, s[0:1]
	v_add_lshl_u32 v3, v3, v5, 2
	v_cmp_gt_u32_e64 s[0:1], 62, v6
	s_waitcnt lgkmcnt(0)
	s_barrier
	v_add_f32_e32 v7, v4, v7
	ds_bpermute_b32 v8, v3, v7
	v_cndmask_b32_e64 v4, 0, 2, s[0:1]
	v_add_lshl_u32 v4, v4, v5, 2
	v_cmp_ne_u32_e64 s[0:1], 63, v6
	v_addc_co_u32_e64 v5, s[0:1], 0, v5, s[0:1]
	s_waitcnt lgkmcnt(0)
	v_add_f32_e32 v7, v7, v8
	ds_bpermute_b32 v8, v4, v7
	v_lshlrev_b32_e32 v5, 2, v5
	v_cmp_eq_u32_e64 s[0:1], 0, v1
	s_waitcnt lgkmcnt(0)
	v_add_f32_e32 v6, v7, v8
	ds_bpermute_b32 v7, v5, v6
	s_and_saveexec_b64 s[4:5], s[0:1]
	s_cbranch_execz .LBB15_8
; %bb.7:
	s_waitcnt lgkmcnt(0)
	v_add_f32_e32 v1, v6, v7
	v_lshrrev_b32_e32 v6, 4, v0
	v_and_b32_e32 v6, 28, v6
	ds_write_b32 v6, v1
.LBB15_8:
	s_or_b64 exec, exec, s[4:5]
	v_cmp_gt_u32_e64 s[0:1], 8, v0
	v_mov_b32_e32 v1, 0
	s_waitcnt lgkmcnt(0)
	s_barrier
	s_and_saveexec_b64 s[4:5], s[0:1]
	s_cbranch_execnz .LBB15_12
; %bb.9:
	s_or_b64 exec, exec, s[4:5]
	s_and_saveexec_b64 s[0:1], vcc
	s_cbranch_execnz .LBB15_13
.LBB15_10:
	s_or_b64 exec, exec, s[0:1]
	v_cmp_eq_u32_e32 vcc, 0, v0
	s_and_saveexec_b64 s[0:1], vcc
	s_cbranch_execnz .LBB15_14
.LBB15_11:
	s_endpgm
.LBB15_12:
	ds_read_b32 v1, v2
	s_or_b64 exec, exec, s[4:5]
	s_and_saveexec_b64 s[0:1], vcc
	s_cbranch_execz .LBB15_10
.LBB15_13:
	s_waitcnt lgkmcnt(0)
	ds_bpermute_b32 v2, v3, v1
	s_waitcnt lgkmcnt(0)
	v_add_f32_e32 v1, v1, v2
	ds_bpermute_b32 v2, v4, v1
	s_waitcnt lgkmcnt(0)
	v_add_f32_e32 v1, v1, v2
	;; [unrolled: 3-line block ×3, first 2 shown]
	s_or_b64 exec, exec, s[0:1]
	v_cmp_eq_u32_e32 vcc, 0, v0
	s_and_saveexec_b64 s[0:1], vcc
	s_cbranch_execz .LBB15_11
.LBB15_14:
	s_cmp_lg_u32 s16, 1
	s_mov_b64 s[0:1], -1
	s_cbranch_scc0 .LBB15_16
; %bb.15:
	s_mul_hi_u32 s1, s16, s2
	s_mul_i32 s0, s16, s2
	s_lshl_b64 s[0:1], s[0:1], 2
	s_mov_b32 s7, 0
	s_add_u32 s4, s8, s0
	s_addc_u32 s5, s9, s1
	s_lshl_b64 s[0:1], s[6:7], 2
	s_add_u32 s0, s4, s0
	s_addc_u32 s1, s5, s1
	v_mov_b32_e32 v0, 0
	s_waitcnt lgkmcnt(0)
	global_store_dword v0, v1, s[0:1]
	s_mov_b64 s[0:1], 0
.LBB15_16:
	s_andn2_b64 vcc, exec, s[0:1]
	s_cbranch_vccnz .LBB15_11
; %bb.17:
	s_mov_b32 s0, 0x7f800000
	s_waitcnt lgkmcnt(0)
	v_and_b32_e32 v0, 0x7f800000, v1
	v_cmp_ne_u32_e32 vcc, s0, v0
                                        ; implicit-def: $vgpr0
	s_and_saveexec_b64 s[0:1], vcc
	s_xor_b64 s[0:1], exec, s[0:1]
; %bb.18:
	v_bfe_u32 v0, v1, 16, 1
	s_movk_i32 s4, 0x7fff
	v_add3_u32 v0, v1, v0, s4
                                        ; implicit-def: $vgpr1
; %bb.19:
	s_andn2_saveexec_b64 s[0:1], s[0:1]
; %bb.20:
	v_mov_b32_e32 v0, 0
	v_or_b32_e32 v2, 0x10000, v1
	v_cmp_eq_u32_sdwa vcc, v1, v0 src0_sel:WORD_0 src1_sel:DWORD
	v_cndmask_b32_e32 v0, v2, v1, vcc
; %bb.21:
	s_or_b64 exec, exec, s[0:1]
	s_lshl_b64 s[0:1], s[2:3], 1
	s_add_u32 s0, s10, s0
	s_addc_u32 s1, s11, s1
	v_mov_b32_e32 v1, 0
	global_store_short_d16_hi v1, v0, s[0:1]
	s_endpgm
	.section	.rodata,"a",@progbits
	.p2align	6, 0x0
	.amdhsa_kernel _ZL24rocblas_dot_kernel_magsqIiLb0ELi512ELi8ELb0E16rocblas_bfloat16PKS0_fEviT5_lT_liPT6_PT4_
		.amdhsa_group_segment_fixed_size 256
		.amdhsa_private_segment_fixed_size 0
		.amdhsa_kernarg_size 320
		.amdhsa_user_sgpr_count 6
		.amdhsa_user_sgpr_private_segment_buffer 1
		.amdhsa_user_sgpr_dispatch_ptr 0
		.amdhsa_user_sgpr_queue_ptr 0
		.amdhsa_user_sgpr_kernarg_segment_ptr 1
		.amdhsa_user_sgpr_dispatch_id 0
		.amdhsa_user_sgpr_flat_scratch_init 0
		.amdhsa_user_sgpr_private_segment_size 0
		.amdhsa_uses_dynamic_stack 0
		.amdhsa_system_sgpr_private_segment_wavefront_offset 0
		.amdhsa_system_sgpr_workgroup_id_x 1
		.amdhsa_system_sgpr_workgroup_id_y 0
		.amdhsa_system_sgpr_workgroup_id_z 1
		.amdhsa_system_sgpr_workgroup_info 0
		.amdhsa_system_vgpr_workitem_id 0
		.amdhsa_next_free_vgpr 9
		.amdhsa_next_free_sgpr 24
		.amdhsa_reserve_vcc 1
		.amdhsa_reserve_flat_scratch 0
		.amdhsa_float_round_mode_32 0
		.amdhsa_float_round_mode_16_64 0
		.amdhsa_float_denorm_mode_32 3
		.amdhsa_float_denorm_mode_16_64 3
		.amdhsa_dx10_clamp 1
		.amdhsa_ieee_mode 1
		.amdhsa_fp16_overflow 0
		.amdhsa_exception_fp_ieee_invalid_op 0
		.amdhsa_exception_fp_denorm_src 0
		.amdhsa_exception_fp_ieee_div_zero 0
		.amdhsa_exception_fp_ieee_overflow 0
		.amdhsa_exception_fp_ieee_underflow 0
		.amdhsa_exception_fp_ieee_inexact 0
		.amdhsa_exception_int_div_zero 0
	.end_amdhsa_kernel
	.section	.text._ZL24rocblas_dot_kernel_magsqIiLb0ELi512ELi8ELb0E16rocblas_bfloat16PKS0_fEviT5_lT_liPT6_PT4_,"axG",@progbits,_ZL24rocblas_dot_kernel_magsqIiLb0ELi512ELi8ELb0E16rocblas_bfloat16PKS0_fEviT5_lT_liPT6_PT4_,comdat
.Lfunc_end15:
	.size	_ZL24rocblas_dot_kernel_magsqIiLb0ELi512ELi8ELb0E16rocblas_bfloat16PKS0_fEviT5_lT_liPT6_PT4_, .Lfunc_end15-_ZL24rocblas_dot_kernel_magsqIiLb0ELi512ELi8ELb0E16rocblas_bfloat16PKS0_fEviT5_lT_liPT6_PT4_
                                        ; -- End function
	.set _ZL24rocblas_dot_kernel_magsqIiLb0ELi512ELi8ELb0E16rocblas_bfloat16PKS0_fEviT5_lT_liPT6_PT4_.num_vgpr, 9
	.set _ZL24rocblas_dot_kernel_magsqIiLb0ELi512ELi8ELb0E16rocblas_bfloat16PKS0_fEviT5_lT_liPT6_PT4_.num_agpr, 0
	.set _ZL24rocblas_dot_kernel_magsqIiLb0ELi512ELi8ELb0E16rocblas_bfloat16PKS0_fEviT5_lT_liPT6_PT4_.numbered_sgpr, 24
	.set _ZL24rocblas_dot_kernel_magsqIiLb0ELi512ELi8ELb0E16rocblas_bfloat16PKS0_fEviT5_lT_liPT6_PT4_.num_named_barrier, 0
	.set _ZL24rocblas_dot_kernel_magsqIiLb0ELi512ELi8ELb0E16rocblas_bfloat16PKS0_fEviT5_lT_liPT6_PT4_.private_seg_size, 0
	.set _ZL24rocblas_dot_kernel_magsqIiLb0ELi512ELi8ELb0E16rocblas_bfloat16PKS0_fEviT5_lT_liPT6_PT4_.uses_vcc, 1
	.set _ZL24rocblas_dot_kernel_magsqIiLb0ELi512ELi8ELb0E16rocblas_bfloat16PKS0_fEviT5_lT_liPT6_PT4_.uses_flat_scratch, 0
	.set _ZL24rocblas_dot_kernel_magsqIiLb0ELi512ELi8ELb0E16rocblas_bfloat16PKS0_fEviT5_lT_liPT6_PT4_.has_dyn_sized_stack, 0
	.set _ZL24rocblas_dot_kernel_magsqIiLb0ELi512ELi8ELb0E16rocblas_bfloat16PKS0_fEviT5_lT_liPT6_PT4_.has_recursion, 0
	.set _ZL24rocblas_dot_kernel_magsqIiLb0ELi512ELi8ELb0E16rocblas_bfloat16PKS0_fEviT5_lT_liPT6_PT4_.has_indirect_call, 0
	.section	.AMDGPU.csdata,"",@progbits
; Kernel info:
; codeLenInByte = 936
; TotalNumSgprs: 28
; NumVgprs: 9
; ScratchSize: 0
; MemoryBound: 0
; FloatMode: 240
; IeeeMode: 1
; LDSByteSize: 256 bytes/workgroup (compile time only)
; SGPRBlocks: 3
; VGPRBlocks: 2
; NumSGPRsForWavesPerEU: 28
; NumVGPRsForWavesPerEU: 9
; Occupancy: 10
; WaveLimiterHint : 0
; COMPUTE_PGM_RSRC2:SCRATCH_EN: 0
; COMPUTE_PGM_RSRC2:USER_SGPR: 6
; COMPUTE_PGM_RSRC2:TRAP_HANDLER: 0
; COMPUTE_PGM_RSRC2:TGID_X_EN: 1
; COMPUTE_PGM_RSRC2:TGID_Y_EN: 0
; COMPUTE_PGM_RSRC2:TGID_Z_EN: 1
; COMPUTE_PGM_RSRC2:TIDIG_COMP_CNT: 0
	.section	.text._ZL28rocblas_dot_batched_4_kernelIiLi32ELi4ELb0EffPKfEviT5_lT_lS2_lS3_liPT4_,"axG",@progbits,_ZL28rocblas_dot_batched_4_kernelIiLi32ELi4ELb0EffPKfEviT5_lT_lS2_lS3_liPT4_,comdat
	.globl	_ZL28rocblas_dot_batched_4_kernelIiLi32ELi4ELb0EffPKfEviT5_lT_lS2_lS3_liPT4_ ; -- Begin function _ZL28rocblas_dot_batched_4_kernelIiLi32ELi4ELb0EffPKfEviT5_lT_lS2_lS3_liPT4_
	.p2align	8
	.type	_ZL28rocblas_dot_batched_4_kernelIiLi32ELi4ELb0EffPKfEviT5_lT_lS2_lS3_liPT4_,@function
_ZL28rocblas_dot_batched_4_kernelIiLi32ELi4ELb0EffPKfEviT5_lT_lS2_lS3_liPT4_: ; @_ZL28rocblas_dot_batched_4_kernelIiLi32ELi4ELb0EffPKfEviT5_lT_lS2_lS3_liPT4_
; %bb.0:
	s_load_dword s0, s[4:5], 0x48
	v_lshl_add_u32 v1, s6, 2, v1
	s_waitcnt lgkmcnt(0)
	v_cmp_gt_u32_e32 vcc, s0, v1
	s_and_saveexec_b64 s[0:1], vcc
	s_cbranch_execz .LBB16_7
; %bb.1:
	s_load_dword s12, s[4:5], 0x0
	s_load_dwordx2 s[6:7], s[4:5], 0x50
	v_mov_b32_e32 v2, 0
	v_mov_b32_e32 v7, v2
	s_waitcnt lgkmcnt(0)
	v_cmp_gt_i32_e32 vcc, s12, v0
	s_and_saveexec_b64 s[8:9], vcc
	s_cbranch_execz .LBB16_5
; %bb.2:
	s_load_dwordx4 s[0:3], s[4:5], 0x20
	s_load_dwordx4 s[16:19], s[4:5], 0x8
	s_load_dword s10, s[4:5], 0x18
	s_load_dwordx2 s[14:15], s[4:5], 0x30
	s_waitcnt lgkmcnt(0)
	v_mad_u64_u32 v[3:4], s[20:21], s0, v1, 0
	s_load_dword s0, s[4:5], 0x38
	s_load_dwordx2 s[20:21], s[4:5], 0x40
	v_mad_i64_i32 v[5:6], s[4:5], s10, v0, 0
	s_ashr_i32 s11, s10, 31
	v_mad_u64_u32 v[7:8], s[4:5], s1, v1, v[4:5]
	v_lshlrev_b64 v[5:6], 2, v[5:6]
	s_waitcnt lgkmcnt(0)
	s_ashr_i32 s1, s0, 31
	v_mov_b32_e32 v4, v7
	v_lshlrev_b64 v[3:4], 2, v[3:4]
	s_lshl_b64 s[4:5], s[18:19], 2
	v_add_co_u32_e32 v11, vcc, v5, v3
	s_add_u32 s13, s16, s4
	v_addc_co_u32_e32 v4, vcc, v6, v4, vcc
	s_addc_u32 s16, s17, s5
	v_mad_u64_u32 v[5:6], s[4:5], s20, v1, 0
	v_mad_i64_i32 v[7:8], s[4:5], s0, v0, 0
	v_mov_b32_e32 v3, v6
	v_mad_u64_u32 v[9:10], s[4:5], s21, v1, v[3:4]
	v_mov_b32_e32 v12, s16
	v_add_co_u32_e32 v3, vcc, s13, v11
	v_mov_b32_e32 v6, v9
	v_lshlrev_b64 v[7:8], 2, v[7:8]
	v_lshlrev_b64 v[5:6], 2, v[5:6]
	v_addc_co_u32_e32 v4, vcc, v12, v4, vcc
	s_lshl_b64 s[4:5], s[10:11], 7
	s_lshl_b64 s[10:11], s[14:15], 2
	v_add_co_u32_e32 v5, vcc, v7, v5
	s_add_u32 s2, s2, s10
	v_addc_co_u32_e32 v6, vcc, v8, v6, vcc
	s_addc_u32 s3, s3, s11
	v_mov_b32_e32 v7, s3
	v_add_co_u32_e32 v5, vcc, s2, v5
	v_addc_co_u32_e32 v6, vcc, v7, v6, vcc
	s_lshl_b64 s[2:3], s[0:1], 7
	v_mov_b32_e32 v7, 0
	s_mov_b64 s[10:11], 0
	v_mov_b32_e32 v8, v0
.LBB16_3:                               ; =>This Inner Loop Header: Depth=1
	global_load_dword v9, v[3:4], off
	global_load_dword v10, v[5:6], off
	v_mov_b32_e32 v12, s3
	v_add_co_u32_e32 v5, vcc, s2, v5
	v_add_u32_e32 v8, 32, v8
	v_addc_co_u32_e32 v6, vcc, v6, v12, vcc
	v_mov_b32_e32 v11, s5
	v_add_co_u32_e64 v3, s[0:1], s4, v3
	v_cmp_le_i32_e32 vcc, s12, v8
	v_addc_co_u32_e64 v4, s[0:1], v4, v11, s[0:1]
	s_or_b64 s[10:11], vcc, s[10:11]
	s_waitcnt vmcnt(0)
	v_fmac_f32_e32 v7, v9, v10
	s_andn2_b64 exec, exec, s[10:11]
	s_cbranch_execnz .LBB16_3
; %bb.4:
	s_or_b64 exec, exec, s[10:11]
.LBB16_5:
	s_or_b64 exec, exec, s[8:9]
	v_mbcnt_lo_u32_b32 v3, -1, 0
	v_mbcnt_hi_u32_b32 v3, -1, v3
	v_and_b32_e32 v4, 63, v3
	v_cmp_gt_u32_e32 vcc, 48, v4
	v_cndmask_b32_e64 v5, 0, 16, vcc
	v_add_lshl_u32 v5, v5, v3, 2
	ds_bpermute_b32 v5, v5, v7
	v_cmp_gt_u32_e32 vcc, 56, v4
	v_cndmask_b32_e64 v6, 0, 8, vcc
	v_add_lshl_u32 v6, v6, v3, 2
	v_cmp_gt_u32_e32 vcc, 60, v4
	s_waitcnt lgkmcnt(0)
	v_add_f32_e32 v5, v7, v5
	ds_bpermute_b32 v6, v6, v5
	v_cndmask_b32_e64 v7, 0, 4, vcc
	v_add_lshl_u32 v7, v7, v3, 2
	v_cmp_gt_u32_e32 vcc, 62, v4
	s_waitcnt lgkmcnt(0)
	v_add_f32_e32 v5, v5, v6
	ds_bpermute_b32 v6, v7, v5
	v_cndmask_b32_e64 v7, 0, 2, vcc
	v_add_lshl_u32 v7, v7, v3, 2
	v_cmp_ne_u32_e32 vcc, 63, v4
	v_addc_co_u32_e32 v4, vcc, 0, v3, vcc
	s_waitcnt lgkmcnt(0)
	v_add_f32_e32 v5, v5, v6
	ds_bpermute_b32 v6, v7, v5
	v_lshlrev_b32_e32 v4, 2, v4
	v_cmp_eq_u32_e32 vcc, 0, v0
	s_waitcnt lgkmcnt(0)
	s_barrier
	v_add_f32_e32 v3, v5, v6
	ds_bpermute_b32 v4, v4, v3
	s_and_b64 exec, exec, vcc
	s_cbranch_execz .LBB16_7
; %bb.6:
	v_lshlrev_b64 v[0:1], 2, v[1:2]
	v_mov_b32_e32 v2, s7
	v_add_co_u32_e32 v0, vcc, s6, v0
	v_addc_co_u32_e32 v1, vcc, v2, v1, vcc
	s_waitcnt lgkmcnt(0)
	v_add_f32_e32 v2, v3, v4
	global_store_dword v[0:1], v2, off
.LBB16_7:
	s_endpgm
	.section	.rodata,"a",@progbits
	.p2align	6, 0x0
	.amdhsa_kernel _ZL28rocblas_dot_batched_4_kernelIiLi32ELi4ELb0EffPKfEviT5_lT_lS2_lS3_liPT4_
		.amdhsa_group_segment_fixed_size 0
		.amdhsa_private_segment_fixed_size 0
		.amdhsa_kernarg_size 88
		.amdhsa_user_sgpr_count 6
		.amdhsa_user_sgpr_private_segment_buffer 1
		.amdhsa_user_sgpr_dispatch_ptr 0
		.amdhsa_user_sgpr_queue_ptr 0
		.amdhsa_user_sgpr_kernarg_segment_ptr 1
		.amdhsa_user_sgpr_dispatch_id 0
		.amdhsa_user_sgpr_flat_scratch_init 0
		.amdhsa_user_sgpr_private_segment_size 0
		.amdhsa_uses_dynamic_stack 0
		.amdhsa_system_sgpr_private_segment_wavefront_offset 0
		.amdhsa_system_sgpr_workgroup_id_x 1
		.amdhsa_system_sgpr_workgroup_id_y 0
		.amdhsa_system_sgpr_workgroup_id_z 0
		.amdhsa_system_sgpr_workgroup_info 0
		.amdhsa_system_vgpr_workitem_id 1
		.amdhsa_next_free_vgpr 13
		.amdhsa_next_free_sgpr 22
		.amdhsa_reserve_vcc 1
		.amdhsa_reserve_flat_scratch 0
		.amdhsa_float_round_mode_32 0
		.amdhsa_float_round_mode_16_64 0
		.amdhsa_float_denorm_mode_32 3
		.amdhsa_float_denorm_mode_16_64 3
		.amdhsa_dx10_clamp 1
		.amdhsa_ieee_mode 1
		.amdhsa_fp16_overflow 0
		.amdhsa_exception_fp_ieee_invalid_op 0
		.amdhsa_exception_fp_denorm_src 0
		.amdhsa_exception_fp_ieee_div_zero 0
		.amdhsa_exception_fp_ieee_overflow 0
		.amdhsa_exception_fp_ieee_underflow 0
		.amdhsa_exception_fp_ieee_inexact 0
		.amdhsa_exception_int_div_zero 0
	.end_amdhsa_kernel
	.section	.text._ZL28rocblas_dot_batched_4_kernelIiLi32ELi4ELb0EffPKfEviT5_lT_lS2_lS3_liPT4_,"axG",@progbits,_ZL28rocblas_dot_batched_4_kernelIiLi32ELi4ELb0EffPKfEviT5_lT_lS2_lS3_liPT4_,comdat
.Lfunc_end16:
	.size	_ZL28rocblas_dot_batched_4_kernelIiLi32ELi4ELb0EffPKfEviT5_lT_lS2_lS3_liPT4_, .Lfunc_end16-_ZL28rocblas_dot_batched_4_kernelIiLi32ELi4ELb0EffPKfEviT5_lT_lS2_lS3_liPT4_
                                        ; -- End function
	.set _ZL28rocblas_dot_batched_4_kernelIiLi32ELi4ELb0EffPKfEviT5_lT_lS2_lS3_liPT4_.num_vgpr, 13
	.set _ZL28rocblas_dot_batched_4_kernelIiLi32ELi4ELb0EffPKfEviT5_lT_lS2_lS3_liPT4_.num_agpr, 0
	.set _ZL28rocblas_dot_batched_4_kernelIiLi32ELi4ELb0EffPKfEviT5_lT_lS2_lS3_liPT4_.numbered_sgpr, 22
	.set _ZL28rocblas_dot_batched_4_kernelIiLi32ELi4ELb0EffPKfEviT5_lT_lS2_lS3_liPT4_.num_named_barrier, 0
	.set _ZL28rocblas_dot_batched_4_kernelIiLi32ELi4ELb0EffPKfEviT5_lT_lS2_lS3_liPT4_.private_seg_size, 0
	.set _ZL28rocblas_dot_batched_4_kernelIiLi32ELi4ELb0EffPKfEviT5_lT_lS2_lS3_liPT4_.uses_vcc, 1
	.set _ZL28rocblas_dot_batched_4_kernelIiLi32ELi4ELb0EffPKfEviT5_lT_lS2_lS3_liPT4_.uses_flat_scratch, 0
	.set _ZL28rocblas_dot_batched_4_kernelIiLi32ELi4ELb0EffPKfEviT5_lT_lS2_lS3_liPT4_.has_dyn_sized_stack, 0
	.set _ZL28rocblas_dot_batched_4_kernelIiLi32ELi4ELb0EffPKfEviT5_lT_lS2_lS3_liPT4_.has_recursion, 0
	.set _ZL28rocblas_dot_batched_4_kernelIiLi32ELi4ELb0EffPKfEviT5_lT_lS2_lS3_liPT4_.has_indirect_call, 0
	.section	.AMDGPU.csdata,"",@progbits
; Kernel info:
; codeLenInByte = 636
; TotalNumSgprs: 26
; NumVgprs: 13
; ScratchSize: 0
; MemoryBound: 0
; FloatMode: 240
; IeeeMode: 1
; LDSByteSize: 0 bytes/workgroup (compile time only)
; SGPRBlocks: 3
; VGPRBlocks: 3
; NumSGPRsForWavesPerEU: 26
; NumVGPRsForWavesPerEU: 13
; Occupancy: 10
; WaveLimiterHint : 0
; COMPUTE_PGM_RSRC2:SCRATCH_EN: 0
; COMPUTE_PGM_RSRC2:USER_SGPR: 6
; COMPUTE_PGM_RSRC2:TRAP_HANDLER: 0
; COMPUTE_PGM_RSRC2:TGID_X_EN: 1
; COMPUTE_PGM_RSRC2:TGID_Y_EN: 0
; COMPUTE_PGM_RSRC2:TGID_Z_EN: 0
; COMPUTE_PGM_RSRC2:TIDIG_COMP_CNT: 1
	.section	.text._ZL28rocblas_dot_batched_4_kernelIiLi64ELi4ELb0EffPKfEviT5_lT_lS2_lS3_liPT4_,"axG",@progbits,_ZL28rocblas_dot_batched_4_kernelIiLi64ELi4ELb0EffPKfEviT5_lT_lS2_lS3_liPT4_,comdat
	.globl	_ZL28rocblas_dot_batched_4_kernelIiLi64ELi4ELb0EffPKfEviT5_lT_lS2_lS3_liPT4_ ; -- Begin function _ZL28rocblas_dot_batched_4_kernelIiLi64ELi4ELb0EffPKfEviT5_lT_lS2_lS3_liPT4_
	.p2align	8
	.type	_ZL28rocblas_dot_batched_4_kernelIiLi64ELi4ELb0EffPKfEviT5_lT_lS2_lS3_liPT4_,@function
_ZL28rocblas_dot_batched_4_kernelIiLi64ELi4ELb0EffPKfEviT5_lT_lS2_lS3_liPT4_: ; @_ZL28rocblas_dot_batched_4_kernelIiLi64ELi4ELb0EffPKfEviT5_lT_lS2_lS3_liPT4_
; %bb.0:
	s_load_dword s0, s[4:5], 0x48
	v_lshl_add_u32 v1, s6, 2, v1
	s_waitcnt lgkmcnt(0)
	v_cmp_gt_u32_e32 vcc, s0, v1
	s_and_saveexec_b64 s[0:1], vcc
	s_cbranch_execz .LBB17_7
; %bb.1:
	s_load_dword s12, s[4:5], 0x0
	s_load_dwordx2 s[6:7], s[4:5], 0x50
	v_mov_b32_e32 v2, 0
	v_mov_b32_e32 v7, v2
	s_waitcnt lgkmcnt(0)
	v_cmp_gt_i32_e32 vcc, s12, v0
	s_and_saveexec_b64 s[8:9], vcc
	s_cbranch_execz .LBB17_5
; %bb.2:
	s_load_dwordx4 s[0:3], s[4:5], 0x20
	s_load_dwordx4 s[16:19], s[4:5], 0x8
	s_load_dword s10, s[4:5], 0x18
	s_load_dwordx2 s[14:15], s[4:5], 0x30
	s_waitcnt lgkmcnt(0)
	v_mad_u64_u32 v[3:4], s[20:21], s0, v1, 0
	s_load_dword s0, s[4:5], 0x38
	s_load_dwordx2 s[20:21], s[4:5], 0x40
	v_mad_i64_i32 v[5:6], s[4:5], s10, v0, 0
	s_ashr_i32 s11, s10, 31
	v_mad_u64_u32 v[7:8], s[4:5], s1, v1, v[4:5]
	v_lshlrev_b64 v[5:6], 2, v[5:6]
	s_waitcnt lgkmcnt(0)
	s_ashr_i32 s1, s0, 31
	v_mov_b32_e32 v4, v7
	v_lshlrev_b64 v[3:4], 2, v[3:4]
	s_lshl_b64 s[4:5], s[18:19], 2
	v_add_co_u32_e32 v11, vcc, v5, v3
	s_add_u32 s13, s16, s4
	v_addc_co_u32_e32 v4, vcc, v6, v4, vcc
	s_addc_u32 s16, s17, s5
	v_mad_u64_u32 v[5:6], s[4:5], s20, v1, 0
	v_mad_i64_i32 v[7:8], s[4:5], s0, v0, 0
	v_mov_b32_e32 v3, v6
	v_mad_u64_u32 v[9:10], s[4:5], s21, v1, v[3:4]
	v_mov_b32_e32 v12, s16
	v_add_co_u32_e32 v3, vcc, s13, v11
	v_mov_b32_e32 v6, v9
	v_lshlrev_b64 v[7:8], 2, v[7:8]
	v_lshlrev_b64 v[5:6], 2, v[5:6]
	v_addc_co_u32_e32 v4, vcc, v12, v4, vcc
	s_lshl_b64 s[4:5], s[10:11], 8
	s_lshl_b64 s[10:11], s[14:15], 2
	v_add_co_u32_e32 v5, vcc, v7, v5
	s_add_u32 s2, s2, s10
	v_addc_co_u32_e32 v6, vcc, v8, v6, vcc
	s_addc_u32 s3, s3, s11
	v_mov_b32_e32 v7, s3
	v_add_co_u32_e32 v5, vcc, s2, v5
	v_addc_co_u32_e32 v6, vcc, v7, v6, vcc
	s_lshl_b64 s[2:3], s[0:1], 8
	v_mov_b32_e32 v7, 0
	s_mov_b64 s[10:11], 0
	v_mov_b32_e32 v8, v0
.LBB17_3:                               ; =>This Inner Loop Header: Depth=1
	global_load_dword v9, v[3:4], off
	global_load_dword v10, v[5:6], off
	v_mov_b32_e32 v12, s3
	v_add_co_u32_e32 v5, vcc, s2, v5
	v_add_u32_e32 v8, 64, v8
	v_addc_co_u32_e32 v6, vcc, v6, v12, vcc
	v_mov_b32_e32 v11, s5
	v_add_co_u32_e64 v3, s[0:1], s4, v3
	v_cmp_le_i32_e32 vcc, s12, v8
	v_addc_co_u32_e64 v4, s[0:1], v4, v11, s[0:1]
	s_or_b64 s[10:11], vcc, s[10:11]
	s_waitcnt vmcnt(0)
	v_fmac_f32_e32 v7, v9, v10
	s_andn2_b64 exec, exec, s[10:11]
	s_cbranch_execnz .LBB17_3
; %bb.4:
	s_or_b64 exec, exec, s[10:11]
.LBB17_5:
	s_or_b64 exec, exec, s[8:9]
	v_mbcnt_lo_u32_b32 v3, -1, 0
	v_mbcnt_hi_u32_b32 v3, -1, v3
	v_mov_b32_e32 v4, 0x80
	v_lshl_or_b32 v4, v3, 2, v4
	ds_bpermute_b32 v4, v4, v7
	v_and_b32_e32 v5, 63, v3
	v_cmp_gt_u32_e32 vcc, 48, v5
	v_cndmask_b32_e64 v6, 0, 16, vcc
	v_add_lshl_u32 v6, v6, v3, 2
	s_waitcnt lgkmcnt(0)
	v_add_f32_e32 v4, v7, v4
	ds_bpermute_b32 v6, v6, v4
	v_cmp_gt_u32_e32 vcc, 56, v5
	v_cndmask_b32_e64 v7, 0, 8, vcc
	v_add_lshl_u32 v7, v7, v3, 2
	v_cmp_gt_u32_e32 vcc, 60, v5
	s_waitcnt lgkmcnt(0)
	v_add_f32_e32 v4, v4, v6
	ds_bpermute_b32 v6, v7, v4
	v_cndmask_b32_e64 v7, 0, 4, vcc
	v_add_lshl_u32 v7, v7, v3, 2
	v_cmp_gt_u32_e32 vcc, 62, v5
	s_waitcnt lgkmcnt(0)
	v_add_f32_e32 v4, v4, v6
	ds_bpermute_b32 v6, v7, v4
	v_cndmask_b32_e64 v7, 0, 2, vcc
	v_add_lshl_u32 v7, v7, v3, 2
	v_cmp_ne_u32_e32 vcc, 63, v5
	v_addc_co_u32_e32 v5, vcc, 0, v3, vcc
	s_waitcnt lgkmcnt(0)
	v_add_f32_e32 v4, v4, v6
	ds_bpermute_b32 v6, v7, v4
	v_cmp_eq_u32_e32 vcc, 0, v0
	s_waitcnt lgkmcnt(0)
	s_barrier
	v_add_f32_e32 v3, v4, v6
	v_lshlrev_b32_e32 v4, 2, v5
	ds_bpermute_b32 v4, v4, v3
	s_and_b64 exec, exec, vcc
	s_cbranch_execz .LBB17_7
; %bb.6:
	v_lshlrev_b64 v[0:1], 2, v[1:2]
	v_mov_b32_e32 v2, s7
	v_add_co_u32_e32 v0, vcc, s6, v0
	v_addc_co_u32_e32 v1, vcc, v2, v1, vcc
	s_waitcnt lgkmcnt(0)
	v_add_f32_e32 v2, v3, v4
	global_store_dword v[0:1], v2, off
.LBB17_7:
	s_endpgm
	.section	.rodata,"a",@progbits
	.p2align	6, 0x0
	.amdhsa_kernel _ZL28rocblas_dot_batched_4_kernelIiLi64ELi4ELb0EffPKfEviT5_lT_lS2_lS3_liPT4_
		.amdhsa_group_segment_fixed_size 0
		.amdhsa_private_segment_fixed_size 0
		.amdhsa_kernarg_size 88
		.amdhsa_user_sgpr_count 6
		.amdhsa_user_sgpr_private_segment_buffer 1
		.amdhsa_user_sgpr_dispatch_ptr 0
		.amdhsa_user_sgpr_queue_ptr 0
		.amdhsa_user_sgpr_kernarg_segment_ptr 1
		.amdhsa_user_sgpr_dispatch_id 0
		.amdhsa_user_sgpr_flat_scratch_init 0
		.amdhsa_user_sgpr_private_segment_size 0
		.amdhsa_uses_dynamic_stack 0
		.amdhsa_system_sgpr_private_segment_wavefront_offset 0
		.amdhsa_system_sgpr_workgroup_id_x 1
		.amdhsa_system_sgpr_workgroup_id_y 0
		.amdhsa_system_sgpr_workgroup_id_z 0
		.amdhsa_system_sgpr_workgroup_info 0
		.amdhsa_system_vgpr_workitem_id 1
		.amdhsa_next_free_vgpr 13
		.amdhsa_next_free_sgpr 22
		.amdhsa_reserve_vcc 1
		.amdhsa_reserve_flat_scratch 0
		.amdhsa_float_round_mode_32 0
		.amdhsa_float_round_mode_16_64 0
		.amdhsa_float_denorm_mode_32 3
		.amdhsa_float_denorm_mode_16_64 3
		.amdhsa_dx10_clamp 1
		.amdhsa_ieee_mode 1
		.amdhsa_fp16_overflow 0
		.amdhsa_exception_fp_ieee_invalid_op 0
		.amdhsa_exception_fp_denorm_src 0
		.amdhsa_exception_fp_ieee_div_zero 0
		.amdhsa_exception_fp_ieee_overflow 0
		.amdhsa_exception_fp_ieee_underflow 0
		.amdhsa_exception_fp_ieee_inexact 0
		.amdhsa_exception_int_div_zero 0
	.end_amdhsa_kernel
	.section	.text._ZL28rocblas_dot_batched_4_kernelIiLi64ELi4ELb0EffPKfEviT5_lT_lS2_lS3_liPT4_,"axG",@progbits,_ZL28rocblas_dot_batched_4_kernelIiLi64ELi4ELb0EffPKfEviT5_lT_lS2_lS3_liPT4_,comdat
.Lfunc_end17:
	.size	_ZL28rocblas_dot_batched_4_kernelIiLi64ELi4ELb0EffPKfEviT5_lT_lS2_lS3_liPT4_, .Lfunc_end17-_ZL28rocblas_dot_batched_4_kernelIiLi64ELi4ELb0EffPKfEviT5_lT_lS2_lS3_liPT4_
                                        ; -- End function
	.set _ZL28rocblas_dot_batched_4_kernelIiLi64ELi4ELb0EffPKfEviT5_lT_lS2_lS3_liPT4_.num_vgpr, 13
	.set _ZL28rocblas_dot_batched_4_kernelIiLi64ELi4ELb0EffPKfEviT5_lT_lS2_lS3_liPT4_.num_agpr, 0
	.set _ZL28rocblas_dot_batched_4_kernelIiLi64ELi4ELb0EffPKfEviT5_lT_lS2_lS3_liPT4_.numbered_sgpr, 22
	.set _ZL28rocblas_dot_batched_4_kernelIiLi64ELi4ELb0EffPKfEviT5_lT_lS2_lS3_liPT4_.num_named_barrier, 0
	.set _ZL28rocblas_dot_batched_4_kernelIiLi64ELi4ELb0EffPKfEviT5_lT_lS2_lS3_liPT4_.private_seg_size, 0
	.set _ZL28rocblas_dot_batched_4_kernelIiLi64ELi4ELb0EffPKfEviT5_lT_lS2_lS3_liPT4_.uses_vcc, 1
	.set _ZL28rocblas_dot_batched_4_kernelIiLi64ELi4ELb0EffPKfEviT5_lT_lS2_lS3_liPT4_.uses_flat_scratch, 0
	.set _ZL28rocblas_dot_batched_4_kernelIiLi64ELi4ELb0EffPKfEviT5_lT_lS2_lS3_liPT4_.has_dyn_sized_stack, 0
	.set _ZL28rocblas_dot_batched_4_kernelIiLi64ELi4ELb0EffPKfEviT5_lT_lS2_lS3_liPT4_.has_recursion, 0
	.set _ZL28rocblas_dot_batched_4_kernelIiLi64ELi4ELb0EffPKfEviT5_lT_lS2_lS3_liPT4_.has_indirect_call, 0
	.section	.AMDGPU.csdata,"",@progbits
; Kernel info:
; codeLenInByte = 668
; TotalNumSgprs: 26
; NumVgprs: 13
; ScratchSize: 0
; MemoryBound: 0
; FloatMode: 240
; IeeeMode: 1
; LDSByteSize: 0 bytes/workgroup (compile time only)
; SGPRBlocks: 3
; VGPRBlocks: 3
; NumSGPRsForWavesPerEU: 26
; NumVGPRsForWavesPerEU: 13
; Occupancy: 10
; WaveLimiterHint : 0
; COMPUTE_PGM_RSRC2:SCRATCH_EN: 0
; COMPUTE_PGM_RSRC2:USER_SGPR: 6
; COMPUTE_PGM_RSRC2:TRAP_HANDLER: 0
; COMPUTE_PGM_RSRC2:TGID_X_EN: 1
; COMPUTE_PGM_RSRC2:TGID_Y_EN: 0
; COMPUTE_PGM_RSRC2:TGID_Z_EN: 0
; COMPUTE_PGM_RSRC2:TIDIG_COMP_CNT: 1
	.section	.text._ZL26rocblas_dot_kernel_inc1by2ILb1ELi1024ELi32ELb0EfPKffEviT4_llS2_lliPT5_PT3_,"axG",@progbits,_ZL26rocblas_dot_kernel_inc1by2ILb1ELi1024ELi32ELb0EfPKffEviT4_llS2_lliPT5_PT3_,comdat
	.globl	_ZL26rocblas_dot_kernel_inc1by2ILb1ELi1024ELi32ELb0EfPKffEviT4_llS2_lliPT5_PT3_ ; -- Begin function _ZL26rocblas_dot_kernel_inc1by2ILb1ELi1024ELi32ELb0EfPKffEviT4_llS2_lliPT5_PT3_
	.p2align	8
	.type	_ZL26rocblas_dot_kernel_inc1by2ILb1ELi1024ELi32ELb0EfPKffEviT4_llS2_lliPT5_PT3_,@function
_ZL26rocblas_dot_kernel_inc1by2ILb1ELi1024ELi32ELb0EfPKffEviT4_llS2_lliPT5_PT3_: ; @_ZL26rocblas_dot_kernel_inc1by2ILb1ELi1024ELi32ELb0EfPKffEviT4_llS2_lliPT5_PT3_
; %bb.0:
	s_mov_b32 s2, s7
	s_load_dword s24, s[4:5], 0x0
	s_load_dwordx2 s[18:19], s[4:5], 0x8
	s_load_dwordx4 s[12:15], s[4:5], 0x10
	s_load_dwordx2 s[16:17], s[4:5], 0x20
	s_load_dwordx2 s[6:7], s[4:5], 0x48
	s_load_dwordx4 s[8:11], s[4:5], 0x28
	v_lshlrev_b32_e32 v6, 1, v0
	s_waitcnt lgkmcnt(0)
	s_mul_i32 s0, s15, s2
	s_mul_hi_u32 s1, s14, s2
	s_add_i32 s15, s1, s0
	s_mul_i32 s0, s11, s2
	s_mul_hi_u32 s1, s10, s2
	s_add_i32 s4, s24, -1
	s_mov_b32 s3, 0
	s_mul_i32 s14, s14, s2
	s_add_i32 s11, s1, s0
	s_mul_i32 s10, s10, s2
	v_cmp_gt_i32_e32 vcc, s4, v6
	v_mov_b32_e32 v5, 0
	s_and_saveexec_b64 s[20:21], vcc
	s_cbranch_execz .LBB18_4
; %bb.1:
	s_lshl_b64 s[0:1], s[10:11], 2
	s_lshl_b64 s[22:23], s[8:9], 2
	s_add_u32 s5, s16, s22
	s_addc_u32 s22, s17, s23
	s_add_u32 s0, s5, s0
	v_lshlrev_b32_e32 v3, 3, v0
	s_addc_u32 s1, s22, s1
	v_mov_b32_e32 v1, s1
	v_add_co_u32_e32 v2, vcc, s0, v3
	s_lshl_b64 s[0:1], s[14:15], 2
	s_lshl_b64 s[22:23], s[12:13], 2
	s_add_u32 s5, s18, s22
	v_addc_co_u32_e32 v4, vcc, 0, v1, vcc
	s_addc_u32 s22, s19, s23
	v_add_co_u32_e32 v1, vcc, 4, v2
	s_add_u32 s0, s5, s0
	v_addc_co_u32_e32 v2, vcc, 0, v4, vcc
	s_addc_u32 s1, s22, s1
	v_mov_b32_e32 v4, s1
	v_add_co_u32_e32 v3, vcc, s0, v3
	v_addc_co_u32_e32 v4, vcc, 0, v4, vcc
	v_add_co_u32_e32 v3, vcc, 4, v3
	v_mov_b32_e32 v5, 0
	v_addc_co_u32_e32 v4, vcc, 0, v4, vcc
	s_mov_b64 s[22:23], 0
	s_mov_b32 s5, s3
.LBB18_2:                               ; =>This Inner Loop Header: Depth=1
	global_load_dwordx2 v[7:8], v[1:2], off offset:-4
	global_load_dwordx2 v[9:10], v[3:4], off offset:-4
	s_add_i32 s25, s5, 1
	v_add_u32_e32 v6, 0x800, v6
	s_cmp_gt_u32 s5, 30
	v_add_co_u32_e32 v1, vcc, 0x2000, v1
	v_cmp_le_i32_e64 s[0:1], s4, v6
	s_cselect_b64 s[26:27], -1, 0
	v_addc_co_u32_e32 v2, vcc, 0, v2, vcc
	s_or_b64 s[0:1], s[26:27], s[0:1]
	v_add_co_u32_e32 v3, vcc, 0x2000, v3
	s_and_b64 s[0:1], exec, s[0:1]
	s_mov_b32 s5, s25
	v_addc_co_u32_e32 v4, vcc, 0, v4, vcc
	s_or_b64 s[22:23], s[0:1], s[22:23]
	s_waitcnt vmcnt(0)
	v_fmac_f32_e32 v5, v7, v9
	v_fmac_f32_e32 v5, v8, v10
	s_andn2_b64 exec, exec, s[22:23]
	s_cbranch_execnz .LBB18_2
; %bb.3:
	s_or_b64 exec, exec, s[22:23]
.LBB18_4:
	s_or_b64 exec, exec, s[20:21]
	s_bitcmp1_b32 s24, 0
	s_cselect_b64 s[0:1], -1, 0
	v_cmp_eq_u32_e32 vcc, s4, v6
	s_and_b64 s[20:21], s[0:1], vcc
	s_and_saveexec_b64 s[0:1], s[20:21]
	s_cbranch_execz .LBB18_6
; %bb.5:
	s_lshl_b64 s[14:15], s[14:15], 2
	s_add_u32 s5, s18, s14
	s_addc_u32 s14, s19, s15
	s_lshl_b64 s[12:13], s[12:13], 2
	s_add_u32 s12, s5, s12
	s_addc_u32 s13, s14, s13
	;; [unrolled: 3-line block ×3, first 2 shown]
	s_lshl_b64 s[8:9], s[8:9], 2
	s_add_u32 s11, s5, s8
	s_mov_b32 s5, 0
	s_addc_u32 s10, s10, s9
	s_lshl_b64 s[4:5], s[4:5], 2
	s_add_u32 s8, s12, s4
	s_addc_u32 s9, s13, s5
	s_add_u32 s4, s11, s4
	s_addc_u32 s5, s10, s5
	s_load_dword s10, s[8:9], 0x0
	s_load_dword s11, s[4:5], 0x0
	s_waitcnt lgkmcnt(0)
	v_mov_b32_e32 v1, s10
	v_fmac_f32_e32 v5, s11, v1
.LBB18_6:
	s_or_b64 exec, exec, s[0:1]
	v_and_b32_e32 v4, 63, v0
	v_cmp_gt_u32_e32 vcc, 64, v0
	v_lshlrev_b32_e32 v1, 2, v4
	s_and_saveexec_b64 s[0:1], vcc
; %bb.7:
	v_mov_b32_e32 v2, 0
	ds_write_b32 v1, v2
; %bb.8:
	s_or_b64 exec, exec, s[0:1]
	v_mbcnt_lo_u32_b32 v2, -1, 0
	v_mbcnt_hi_u32_b32 v6, -1, v2
	v_mov_b32_e32 v2, 0x80
	v_lshl_or_b32 v2, v6, 2, v2
	ds_bpermute_b32 v2, v2, v5
	v_and_b32_e32 v7, 63, v6
	v_cmp_gt_u32_e64 s[0:1], 48, v7
	v_cndmask_b32_e64 v3, 0, 16, s[0:1]
	v_cmp_gt_u32_e64 s[0:1], 56, v7
	s_waitcnt lgkmcnt(0)
	v_add_f32_e32 v5, v5, v2
	v_add_lshl_u32 v2, v3, v6, 2
	ds_bpermute_b32 v3, v2, v5
	v_cndmask_b32_e64 v2, 0, 8, s[0:1]
	v_add_lshl_u32 v2, v2, v6, 2
	v_cmp_gt_u32_e64 s[0:1], 60, v7
	s_waitcnt lgkmcnt(0)
	v_add_f32_e32 v5, v5, v3
	ds_bpermute_b32 v8, v2, v5
	v_cndmask_b32_e64 v3, 0, 4, s[0:1]
	v_add_lshl_u32 v3, v3, v6, 2
	v_cmp_gt_u32_e64 s[0:1], 62, v7
	s_waitcnt lgkmcnt(0)
	s_barrier
	v_add_f32_e32 v8, v5, v8
	ds_bpermute_b32 v9, v3, v8
	v_cndmask_b32_e64 v5, 0, 2, s[0:1]
	v_add_lshl_u32 v5, v5, v6, 2
	v_cmp_ne_u32_e64 s[0:1], 63, v7
	v_addc_co_u32_e64 v6, s[0:1], 0, v6, s[0:1]
	s_waitcnt lgkmcnt(0)
	v_add_f32_e32 v8, v8, v9
	ds_bpermute_b32 v9, v5, v8
	v_lshlrev_b32_e32 v6, 2, v6
	v_cmp_eq_u32_e64 s[0:1], 0, v4
	s_waitcnt lgkmcnt(0)
	v_add_f32_e32 v7, v8, v9
	ds_bpermute_b32 v8, v6, v7
	s_and_saveexec_b64 s[4:5], s[0:1]
	s_cbranch_execz .LBB18_10
; %bb.9:
	s_waitcnt lgkmcnt(0)
	v_add_f32_e32 v4, v7, v8
	v_lshrrev_b32_e32 v7, 4, v0
	v_and_b32_e32 v7, 60, v7
	ds_write_b32 v7, v4
.LBB18_10:
	s_or_b64 exec, exec, s[4:5]
	v_cmp_gt_u32_e64 s[0:1], 16, v0
	v_mov_b32_e32 v4, 0
	s_waitcnt lgkmcnt(0)
	s_barrier
	s_and_saveexec_b64 s[4:5], s[0:1]
	s_cbranch_execnz .LBB18_14
; %bb.11:
	s_or_b64 exec, exec, s[4:5]
	s_and_saveexec_b64 s[0:1], vcc
	s_cbranch_execnz .LBB18_15
.LBB18_12:
	s_or_b64 exec, exec, s[0:1]
	v_cmp_eq_u32_e32 vcc, 0, v0
	s_and_saveexec_b64 s[0:1], vcc
	s_cbranch_execnz .LBB18_16
.LBB18_13:
	s_endpgm
.LBB18_14:
	ds_read_b32 v4, v1
	s_or_b64 exec, exec, s[4:5]
	s_and_saveexec_b64 s[0:1], vcc
	s_cbranch_execz .LBB18_12
.LBB18_15:
	s_waitcnt lgkmcnt(0)
	ds_bpermute_b32 v1, v2, v4
	s_waitcnt lgkmcnt(0)
	v_add_f32_e32 v1, v4, v1
	ds_bpermute_b32 v2, v3, v1
	s_waitcnt lgkmcnt(0)
	v_add_f32_e32 v1, v1, v2
	;; [unrolled: 3-line block ×4, first 2 shown]
	s_or_b64 exec, exec, s[0:1]
	v_cmp_eq_u32_e32 vcc, 0, v0
	s_and_saveexec_b64 s[0:1], vcc
	s_cbranch_execz .LBB18_13
.LBB18_16:
	s_lshl_b64 s[0:1], s[2:3], 2
	s_add_u32 s0, s6, s0
	s_addc_u32 s1, s7, s1
	v_mov_b32_e32 v0, 0
	s_waitcnt lgkmcnt(0)
	global_store_dword v0, v4, s[0:1]
	s_endpgm
	.section	.rodata,"a",@progbits
	.p2align	6, 0x0
	.amdhsa_kernel _ZL26rocblas_dot_kernel_inc1by2ILb1ELi1024ELi32ELb0EfPKffEviT4_llS2_lliPT5_PT3_
		.amdhsa_group_segment_fixed_size 256
		.amdhsa_private_segment_fixed_size 0
		.amdhsa_kernarg_size 80
		.amdhsa_user_sgpr_count 6
		.amdhsa_user_sgpr_private_segment_buffer 1
		.amdhsa_user_sgpr_dispatch_ptr 0
		.amdhsa_user_sgpr_queue_ptr 0
		.amdhsa_user_sgpr_kernarg_segment_ptr 1
		.amdhsa_user_sgpr_dispatch_id 0
		.amdhsa_user_sgpr_flat_scratch_init 0
		.amdhsa_user_sgpr_private_segment_size 0
		.amdhsa_uses_dynamic_stack 0
		.amdhsa_system_sgpr_private_segment_wavefront_offset 0
		.amdhsa_system_sgpr_workgroup_id_x 1
		.amdhsa_system_sgpr_workgroup_id_y 0
		.amdhsa_system_sgpr_workgroup_id_z 1
		.amdhsa_system_sgpr_workgroup_info 0
		.amdhsa_system_vgpr_workitem_id 0
		.amdhsa_next_free_vgpr 11
		.amdhsa_next_free_sgpr 28
		.amdhsa_reserve_vcc 1
		.amdhsa_reserve_flat_scratch 0
		.amdhsa_float_round_mode_32 0
		.amdhsa_float_round_mode_16_64 0
		.amdhsa_float_denorm_mode_32 3
		.amdhsa_float_denorm_mode_16_64 3
		.amdhsa_dx10_clamp 1
		.amdhsa_ieee_mode 1
		.amdhsa_fp16_overflow 0
		.amdhsa_exception_fp_ieee_invalid_op 0
		.amdhsa_exception_fp_denorm_src 0
		.amdhsa_exception_fp_ieee_div_zero 0
		.amdhsa_exception_fp_ieee_overflow 0
		.amdhsa_exception_fp_ieee_underflow 0
		.amdhsa_exception_fp_ieee_inexact 0
		.amdhsa_exception_int_div_zero 0
	.end_amdhsa_kernel
	.section	.text._ZL26rocblas_dot_kernel_inc1by2ILb1ELi1024ELi32ELb0EfPKffEviT4_llS2_lliPT5_PT3_,"axG",@progbits,_ZL26rocblas_dot_kernel_inc1by2ILb1ELi1024ELi32ELb0EfPKffEviT4_llS2_lliPT5_PT3_,comdat
.Lfunc_end18:
	.size	_ZL26rocblas_dot_kernel_inc1by2ILb1ELi1024ELi32ELb0EfPKffEviT4_llS2_lliPT5_PT3_, .Lfunc_end18-_ZL26rocblas_dot_kernel_inc1by2ILb1ELi1024ELi32ELb0EfPKffEviT4_llS2_lliPT5_PT3_
                                        ; -- End function
	.set _ZL26rocblas_dot_kernel_inc1by2ILb1ELi1024ELi32ELb0EfPKffEviT4_llS2_lliPT5_PT3_.num_vgpr, 11
	.set _ZL26rocblas_dot_kernel_inc1by2ILb1ELi1024ELi32ELb0EfPKffEviT4_llS2_lliPT5_PT3_.num_agpr, 0
	.set _ZL26rocblas_dot_kernel_inc1by2ILb1ELi1024ELi32ELb0EfPKffEviT4_llS2_lliPT5_PT3_.numbered_sgpr, 28
	.set _ZL26rocblas_dot_kernel_inc1by2ILb1ELi1024ELi32ELb0EfPKffEviT4_llS2_lliPT5_PT3_.num_named_barrier, 0
	.set _ZL26rocblas_dot_kernel_inc1by2ILb1ELi1024ELi32ELb0EfPKffEviT4_llS2_lliPT5_PT3_.private_seg_size, 0
	.set _ZL26rocblas_dot_kernel_inc1by2ILb1ELi1024ELi32ELb0EfPKffEviT4_llS2_lliPT5_PT3_.uses_vcc, 1
	.set _ZL26rocblas_dot_kernel_inc1by2ILb1ELi1024ELi32ELb0EfPKffEviT4_llS2_lliPT5_PT3_.uses_flat_scratch, 0
	.set _ZL26rocblas_dot_kernel_inc1by2ILb1ELi1024ELi32ELb0EfPKffEviT4_llS2_lliPT5_PT3_.has_dyn_sized_stack, 0
	.set _ZL26rocblas_dot_kernel_inc1by2ILb1ELi1024ELi32ELb0EfPKffEviT4_llS2_lliPT5_PT3_.has_recursion, 0
	.set _ZL26rocblas_dot_kernel_inc1by2ILb1ELi1024ELi32ELb0EfPKffEviT4_llS2_lliPT5_PT3_.has_indirect_call, 0
	.section	.AMDGPU.csdata,"",@progbits
; Kernel info:
; codeLenInByte = 976
; TotalNumSgprs: 32
; NumVgprs: 11
; ScratchSize: 0
; MemoryBound: 0
; FloatMode: 240
; IeeeMode: 1
; LDSByteSize: 256 bytes/workgroup (compile time only)
; SGPRBlocks: 3
; VGPRBlocks: 2
; NumSGPRsForWavesPerEU: 32
; NumVGPRsForWavesPerEU: 11
; Occupancy: 10
; WaveLimiterHint : 0
; COMPUTE_PGM_RSRC2:SCRATCH_EN: 0
; COMPUTE_PGM_RSRC2:USER_SGPR: 6
; COMPUTE_PGM_RSRC2:TRAP_HANDLER: 0
; COMPUTE_PGM_RSRC2:TGID_X_EN: 1
; COMPUTE_PGM_RSRC2:TGID_Y_EN: 0
; COMPUTE_PGM_RSRC2:TGID_Z_EN: 1
; COMPUTE_PGM_RSRC2:TIDIG_COMP_CNT: 0
	.section	.text._ZL18rocblas_dot_kernelIiLb1ELi1024ELi32ELb0EfPKffEviT5_lT_lS2_lS3_liPT6_PT4_,"axG",@progbits,_ZL18rocblas_dot_kernelIiLb1ELi1024ELi32ELb0EfPKffEviT5_lT_lS2_lS3_liPT6_PT4_,comdat
	.globl	_ZL18rocblas_dot_kernelIiLb1ELi1024ELi32ELb0EfPKffEviT5_lT_lS2_lS3_liPT6_PT4_ ; -- Begin function _ZL18rocblas_dot_kernelIiLb1ELi1024ELi32ELb0EfPKffEviT5_lT_lS2_lS3_liPT6_PT4_
	.p2align	8
	.type	_ZL18rocblas_dot_kernelIiLb1ELi1024ELi32ELb0EfPKffEviT5_lT_lS2_lS3_liPT6_PT4_,@function
_ZL18rocblas_dot_kernelIiLb1ELi1024ELi32ELb0EfPKffEviT5_lT_lS2_lS3_liPT6_PT4_: ; @_ZL18rocblas_dot_kernelIiLb1ELi1024ELi32ELb0EfPKffEviT5_lT_lS2_lS3_liPT6_PT4_
; %bb.0:
	s_load_dword s14, s[4:5], 0x0
	s_load_dwordx2 s[8:9], s[4:5], 0x58
	s_mov_b32 s6, s7
	s_mov_b32 s7, 0
	v_mov_b32_e32 v6, 0
	s_waitcnt lgkmcnt(0)
	v_cmp_gt_i32_e32 vcc, s14, v0
	s_and_saveexec_b64 s[10:11], vcc
	s_cbranch_execz .LBB19_4
; %bb.1:
	s_load_dword s22, s[4:5], 0x38
	s_load_dwordx2 s[12:13], s[4:5], 0x40
	s_load_dword s15, s[4:5], 0x60
	s_load_dwordx4 s[0:3], s[4:5], 0x20
	s_load_dwordx4 s[16:19], s[4:5], 0x8
	s_load_dword s23, s[4:5], 0x18
	s_load_dwordx2 s[20:21], s[4:5], 0x30
	s_waitcnt lgkmcnt(0)
	s_lshl_b32 s15, s15, 10
	s_mul_i32 s1, s1, s6
	s_mul_hi_u32 s24, s0, s6
	v_mad_i64_i32 v[1:2], s[4:5], s23, v0, 0
	s_add_i32 s1, s24, s1
	s_mul_i32 s0, s0, s6
	s_lshl_b64 s[0:1], s[0:1], 2
	s_lshl_b64 s[4:5], s[18:19], 2
	s_add_u32 s4, s16, s4
	s_addc_u32 s5, s17, s5
	v_lshlrev_b64 v[1:2], 2, v[1:2]
	s_add_u32 s0, s4, s0
	s_addc_u32 s1, s5, s1
	v_mov_b32_e32 v3, s1
	v_add_co_u32_e32 v1, vcc, s0, v1
	s_mul_hi_i32 s1, s23, s15
	s_mul_i32 s0, s23, s15
	v_addc_co_u32_e32 v2, vcc, v3, v2, vcc
	s_lshl_b64 s[4:5], s[0:1], 2
	s_mul_i32 s13, s13, s6
	s_mul_hi_u32 s16, s12, s6
	v_mad_i64_i32 v[3:4], s[0:1], s22, v0, 0
	s_add_i32 s1, s16, s13
	s_mul_i32 s0, s12, s6
	s_lshl_b64 s[0:1], s[0:1], 2
	s_lshl_b64 s[12:13], s[20:21], 2
	s_add_u32 s2, s2, s12
	s_addc_u32 s3, s3, s13
	v_lshlrev_b64 v[3:4], 2, v[3:4]
	s_add_u32 s0, s2, s0
	s_addc_u32 s1, s3, s1
	v_mov_b32_e32 v6, s1
	v_add_co_u32_e32 v3, vcc, s0, v3
	s_mul_hi_i32 s1, s22, s15
	s_mul_i32 s0, s22, s15
	s_lshl_b64 s[2:3], s[0:1], 2
	v_or_b32_e32 v5, s15, v0
	v_addc_co_u32_e32 v4, vcc, v6, v4, vcc
	v_mov_b32_e32 v6, 0
	s_mov_b64 s[12:13], 0
	v_mov_b32_e32 v7, s5
	v_mov_b32_e32 v8, s3
	s_mov_b32 s3, s7
.LBB19_2:                               ; =>This Inner Loop Header: Depth=1
	global_load_dword v9, v[3:4], off
	global_load_dword v10, v[1:2], off
	v_add_co_u32_e64 v1, s[0:1], s4, v1
	v_addc_co_u32_e64 v2, s[0:1], v2, v7, s[0:1]
	s_add_i32 s5, s3, 1
	v_add_co_u32_e64 v3, s[0:1], s2, v3
	v_addc_co_u32_e64 v4, s[0:1], v4, v8, s[0:1]
	s_cmp_gt_u32 s3, 30
	v_cmp_le_i32_e32 vcc, s14, v5
	s_cselect_b64 s[0:1], -1, 0
	s_or_b64 s[0:1], s[0:1], vcc
	s_and_b64 s[0:1], exec, s[0:1]
	v_add_u32_e32 v5, s15, v5
	s_mov_b32 s3, s5
	s_or_b64 s[12:13], s[0:1], s[12:13]
	s_waitcnt vmcnt(0)
	v_fmac_f32_e32 v6, v9, v10
	s_andn2_b64 exec, exec, s[12:13]
	s_cbranch_execnz .LBB19_2
; %bb.3:
	s_or_b64 exec, exec, s[12:13]
.LBB19_4:
	s_or_b64 exec, exec, s[10:11]
	v_and_b32_e32 v4, 63, v0
	v_cmp_gt_u32_e32 vcc, 64, v0
	v_lshlrev_b32_e32 v1, 2, v4
	s_and_saveexec_b64 s[0:1], vcc
; %bb.5:
	v_mov_b32_e32 v2, 0
	ds_write_b32 v1, v2
; %bb.6:
	s_or_b64 exec, exec, s[0:1]
	v_mbcnt_lo_u32_b32 v2, -1, 0
	v_mbcnt_hi_u32_b32 v7, -1, v2
	v_mov_b32_e32 v2, 0x80
	v_lshl_or_b32 v2, v7, 2, v2
	ds_bpermute_b32 v2, v2, v6
	v_and_b32_e32 v8, 63, v7
	v_cmp_gt_u32_e64 s[0:1], 48, v8
	v_cndmask_b32_e64 v3, 0, 16, s[0:1]
	v_cmp_gt_u32_e64 s[0:1], 56, v8
	s_waitcnt lgkmcnt(0)
	v_add_f32_e32 v5, v6, v2
	v_add_lshl_u32 v2, v3, v7, 2
	ds_bpermute_b32 v3, v2, v5
	v_cndmask_b32_e64 v2, 0, 8, s[0:1]
	v_add_lshl_u32 v2, v2, v7, 2
	v_cmp_gt_u32_e64 s[0:1], 60, v8
	s_waitcnt lgkmcnt(0)
	v_add_f32_e32 v5, v5, v3
	ds_bpermute_b32 v6, v2, v5
	v_cndmask_b32_e64 v3, 0, 4, s[0:1]
	v_add_lshl_u32 v3, v3, v7, 2
	v_cmp_gt_u32_e64 s[0:1], 62, v8
	s_waitcnt lgkmcnt(0)
	s_barrier
	v_add_f32_e32 v6, v5, v6
	ds_bpermute_b32 v9, v3, v6
	v_cndmask_b32_e64 v5, 0, 2, s[0:1]
	v_add_lshl_u32 v5, v5, v7, 2
	v_cmp_ne_u32_e64 s[0:1], 63, v8
	v_addc_co_u32_e64 v8, s[0:1], 0, v7, s[0:1]
	s_waitcnt lgkmcnt(0)
	v_add_f32_e32 v6, v6, v9
	ds_bpermute_b32 v9, v5, v6
	v_cmp_eq_u32_e64 s[0:1], 0, v4
	s_waitcnt lgkmcnt(0)
	v_add_f32_e32 v7, v6, v9
	v_lshlrev_b32_e32 v6, 2, v8
	ds_bpermute_b32 v8, v6, v7
	s_and_saveexec_b64 s[2:3], s[0:1]
	s_cbranch_execz .LBB19_8
; %bb.7:
	s_waitcnt lgkmcnt(0)
	v_add_f32_e32 v4, v7, v8
	v_lshrrev_b32_e32 v7, 4, v0
	v_and_b32_e32 v7, 60, v7
	ds_write_b32 v7, v4
.LBB19_8:
	s_or_b64 exec, exec, s[2:3]
	v_cmp_gt_u32_e64 s[0:1], 16, v0
	v_mov_b32_e32 v4, 0
	s_waitcnt lgkmcnt(0)
	s_barrier
	s_and_saveexec_b64 s[2:3], s[0:1]
	s_cbranch_execnz .LBB19_12
; %bb.9:
	s_or_b64 exec, exec, s[2:3]
	s_and_saveexec_b64 s[0:1], vcc
	s_cbranch_execnz .LBB19_13
.LBB19_10:
	s_or_b64 exec, exec, s[0:1]
	v_cmp_eq_u32_e32 vcc, 0, v0
	s_and_saveexec_b64 s[0:1], vcc
	s_cbranch_execnz .LBB19_14
.LBB19_11:
	s_endpgm
.LBB19_12:
	ds_read_b32 v4, v1
	s_or_b64 exec, exec, s[2:3]
	s_and_saveexec_b64 s[0:1], vcc
	s_cbranch_execz .LBB19_10
.LBB19_13:
	s_waitcnt lgkmcnt(0)
	ds_bpermute_b32 v1, v2, v4
	s_waitcnt lgkmcnt(0)
	v_add_f32_e32 v1, v4, v1
	ds_bpermute_b32 v2, v3, v1
	s_waitcnt lgkmcnt(0)
	v_add_f32_e32 v1, v1, v2
	;; [unrolled: 3-line block ×4, first 2 shown]
	s_or_b64 exec, exec, s[0:1]
	v_cmp_eq_u32_e32 vcc, 0, v0
	s_and_saveexec_b64 s[0:1], vcc
	s_cbranch_execz .LBB19_11
.LBB19_14:
	s_lshl_b64 s[0:1], s[6:7], 2
	s_add_u32 s0, s8, s0
	s_addc_u32 s1, s9, s1
	v_mov_b32_e32 v0, 0
	s_waitcnt lgkmcnt(0)
	global_store_dword v0, v4, s[0:1]
	s_endpgm
	.section	.rodata,"a",@progbits
	.p2align	6, 0x0
	.amdhsa_kernel _ZL18rocblas_dot_kernelIiLb1ELi1024ELi32ELb0EfPKffEviT5_lT_lS2_lS3_liPT6_PT4_
		.amdhsa_group_segment_fixed_size 256
		.amdhsa_private_segment_fixed_size 0
		.amdhsa_kernarg_size 352
		.amdhsa_user_sgpr_count 6
		.amdhsa_user_sgpr_private_segment_buffer 1
		.amdhsa_user_sgpr_dispatch_ptr 0
		.amdhsa_user_sgpr_queue_ptr 0
		.amdhsa_user_sgpr_kernarg_segment_ptr 1
		.amdhsa_user_sgpr_dispatch_id 0
		.amdhsa_user_sgpr_flat_scratch_init 0
		.amdhsa_user_sgpr_private_segment_size 0
		.amdhsa_uses_dynamic_stack 0
		.amdhsa_system_sgpr_private_segment_wavefront_offset 0
		.amdhsa_system_sgpr_workgroup_id_x 1
		.amdhsa_system_sgpr_workgroup_id_y 0
		.amdhsa_system_sgpr_workgroup_id_z 1
		.amdhsa_system_sgpr_workgroup_info 0
		.amdhsa_system_vgpr_workitem_id 0
		.amdhsa_next_free_vgpr 11
		.amdhsa_next_free_sgpr 25
		.amdhsa_reserve_vcc 1
		.amdhsa_reserve_flat_scratch 0
		.amdhsa_float_round_mode_32 0
		.amdhsa_float_round_mode_16_64 0
		.amdhsa_float_denorm_mode_32 3
		.amdhsa_float_denorm_mode_16_64 3
		.amdhsa_dx10_clamp 1
		.amdhsa_ieee_mode 1
		.amdhsa_fp16_overflow 0
		.amdhsa_exception_fp_ieee_invalid_op 0
		.amdhsa_exception_fp_denorm_src 0
		.amdhsa_exception_fp_ieee_div_zero 0
		.amdhsa_exception_fp_ieee_overflow 0
		.amdhsa_exception_fp_ieee_underflow 0
		.amdhsa_exception_fp_ieee_inexact 0
		.amdhsa_exception_int_div_zero 0
	.end_amdhsa_kernel
	.section	.text._ZL18rocblas_dot_kernelIiLb1ELi1024ELi32ELb0EfPKffEviT5_lT_lS2_lS3_liPT6_PT4_,"axG",@progbits,_ZL18rocblas_dot_kernelIiLb1ELi1024ELi32ELb0EfPKffEviT5_lT_lS2_lS3_liPT6_PT4_,comdat
.Lfunc_end19:
	.size	_ZL18rocblas_dot_kernelIiLb1ELi1024ELi32ELb0EfPKffEviT5_lT_lS2_lS3_liPT6_PT4_, .Lfunc_end19-_ZL18rocblas_dot_kernelIiLb1ELi1024ELi32ELb0EfPKffEviT5_lT_lS2_lS3_liPT6_PT4_
                                        ; -- End function
	.set _ZL18rocblas_dot_kernelIiLb1ELi1024ELi32ELb0EfPKffEviT5_lT_lS2_lS3_liPT6_PT4_.num_vgpr, 11
	.set _ZL18rocblas_dot_kernelIiLb1ELi1024ELi32ELb0EfPKffEviT5_lT_lS2_lS3_liPT6_PT4_.num_agpr, 0
	.set _ZL18rocblas_dot_kernelIiLb1ELi1024ELi32ELb0EfPKffEviT5_lT_lS2_lS3_liPT6_PT4_.numbered_sgpr, 25
	.set _ZL18rocblas_dot_kernelIiLb1ELi1024ELi32ELb0EfPKffEviT5_lT_lS2_lS3_liPT6_PT4_.num_named_barrier, 0
	.set _ZL18rocblas_dot_kernelIiLb1ELi1024ELi32ELb0EfPKffEviT5_lT_lS2_lS3_liPT6_PT4_.private_seg_size, 0
	.set _ZL18rocblas_dot_kernelIiLb1ELi1024ELi32ELb0EfPKffEviT5_lT_lS2_lS3_liPT6_PT4_.uses_vcc, 1
	.set _ZL18rocblas_dot_kernelIiLb1ELi1024ELi32ELb0EfPKffEviT5_lT_lS2_lS3_liPT6_PT4_.uses_flat_scratch, 0
	.set _ZL18rocblas_dot_kernelIiLb1ELi1024ELi32ELb0EfPKffEviT5_lT_lS2_lS3_liPT6_PT4_.has_dyn_sized_stack, 0
	.set _ZL18rocblas_dot_kernelIiLb1ELi1024ELi32ELb0EfPKffEviT5_lT_lS2_lS3_liPT6_PT4_.has_recursion, 0
	.set _ZL18rocblas_dot_kernelIiLb1ELi1024ELi32ELb0EfPKffEviT5_lT_lS2_lS3_liPT6_PT4_.has_indirect_call, 0
	.section	.AMDGPU.csdata,"",@progbits
; Kernel info:
; codeLenInByte = 916
; TotalNumSgprs: 29
; NumVgprs: 11
; ScratchSize: 0
; MemoryBound: 0
; FloatMode: 240
; IeeeMode: 1
; LDSByteSize: 256 bytes/workgroup (compile time only)
; SGPRBlocks: 3
; VGPRBlocks: 2
; NumSGPRsForWavesPerEU: 29
; NumVGPRsForWavesPerEU: 11
; Occupancy: 10
; WaveLimiterHint : 0
; COMPUTE_PGM_RSRC2:SCRATCH_EN: 0
; COMPUTE_PGM_RSRC2:USER_SGPR: 6
; COMPUTE_PGM_RSRC2:TRAP_HANDLER: 0
; COMPUTE_PGM_RSRC2:TGID_X_EN: 1
; COMPUTE_PGM_RSRC2:TGID_Y_EN: 0
; COMPUTE_PGM_RSRC2:TGID_Z_EN: 1
; COMPUTE_PGM_RSRC2:TIDIG_COMP_CNT: 0
	.section	.text._ZL24rocblas_dot_kernel_magsqIiLb1ELi1024ELi32ELb0EfPKffEviT5_lT_liPT6_PT4_,"axG",@progbits,_ZL24rocblas_dot_kernel_magsqIiLb1ELi1024ELi32ELb0EfPKffEviT5_lT_liPT6_PT4_,comdat
	.globl	_ZL24rocblas_dot_kernel_magsqIiLb1ELi1024ELi32ELb0EfPKffEviT5_lT_liPT6_PT4_ ; -- Begin function _ZL24rocblas_dot_kernel_magsqIiLb1ELi1024ELi32ELb0EfPKffEviT5_lT_liPT6_PT4_
	.p2align	8
	.type	_ZL24rocblas_dot_kernel_magsqIiLb1ELi1024ELi32ELb0EfPKffEviT5_lT_liPT6_PT4_,@function
_ZL24rocblas_dot_kernel_magsqIiLb1ELi1024ELi32ELb0EfPKffEviT5_lT_liPT6_PT4_: ; @_ZL24rocblas_dot_kernel_magsqIiLb1ELi1024ELi32ELb0EfPKffEviT5_lT_liPT6_PT4_
; %bb.0:
	s_mov_b32 s2, s7
	s_load_dword s12, s[4:5], 0x0
	s_load_dwordx2 s[6:7], s[4:5], 0x38
	s_mov_b32 s3, 0
	v_mov_b32_e32 v3, 0
	s_waitcnt lgkmcnt(0)
	v_cmp_gt_i32_e32 vcc, s12, v0
	s_and_saveexec_b64 s[8:9], vcc
	s_cbranch_execz .LBB20_4
; %bb.1:
	s_load_dword s10, s[4:5], 0x40
	s_load_dwordx2 s[0:1], s[4:5], 0x20
	s_load_dwordx4 s[16:19], s[4:5], 0x8
	s_load_dword s11, s[4:5], 0x18
	s_waitcnt lgkmcnt(0)
	s_lshl_b32 s13, s10, 10
	s_mul_i32 s1, s1, s2
	s_mul_hi_u32 s10, s0, s2
	v_mad_i64_i32 v[1:2], s[4:5], s11, v0, 0
	s_add_i32 s1, s10, s1
	s_mul_i32 s0, s0, s2
	s_lshl_b64 s[0:1], s[0:1], 2
	s_lshl_b64 s[4:5], s[18:19], 2
	s_add_u32 s4, s16, s4
	s_addc_u32 s5, s17, s5
	v_lshlrev_b64 v[1:2], 2, v[1:2]
	s_add_u32 s0, s4, s0
	s_addc_u32 s1, s5, s1
	v_mov_b32_e32 v3, s1
	v_add_co_u32_e32 v1, vcc, s0, v1
	s_mul_hi_i32 s1, s11, s13
	s_mul_i32 s0, s11, s13
	s_lshl_b64 s[4:5], s[0:1], 2
	v_or_b32_e32 v4, s13, v0
	v_addc_co_u32_e32 v2, vcc, v3, v2, vcc
	v_mov_b32_e32 v3, 0
	s_mov_b64 s[10:11], 0
	v_mov_b32_e32 v5, s5
	s_mov_b32 s5, s3
.LBB20_2:                               ; =>This Inner Loop Header: Depth=1
	global_load_dword v6, v[1:2], off
	s_add_i32 s14, s5, 1
	v_add_co_u32_e64 v1, s[0:1], s4, v1
	v_addc_co_u32_e64 v2, s[0:1], v2, v5, s[0:1]
	s_cmp_gt_u32 s5, 30
	v_cmp_le_i32_e32 vcc, s12, v4
	s_cselect_b64 s[0:1], -1, 0
	s_or_b64 s[0:1], s[0:1], vcc
	s_and_b64 s[0:1], exec, s[0:1]
	v_add_u32_e32 v4, s13, v4
	s_mov_b32 s5, s14
	s_or_b64 s[10:11], s[0:1], s[10:11]
	s_waitcnt vmcnt(0)
	v_fmac_f32_e32 v3, v6, v6
	s_andn2_b64 exec, exec, s[10:11]
	s_cbranch_execnz .LBB20_2
; %bb.3:
	s_or_b64 exec, exec, s[10:11]
.LBB20_4:
	s_or_b64 exec, exec, s[8:9]
	v_and_b32_e32 v4, 63, v0
	v_cmp_gt_u32_e32 vcc, 64, v0
	v_lshlrev_b32_e32 v1, 2, v4
	s_and_saveexec_b64 s[0:1], vcc
; %bb.5:
	v_mov_b32_e32 v2, 0
	ds_write_b32 v1, v2
; %bb.6:
	s_or_b64 exec, exec, s[0:1]
	v_mbcnt_lo_u32_b32 v2, -1, 0
	v_mbcnt_hi_u32_b32 v6, -1, v2
	v_mov_b32_e32 v2, 0x80
	v_lshl_or_b32 v2, v6, 2, v2
	ds_bpermute_b32 v2, v2, v3
	v_and_b32_e32 v7, 63, v6
	v_cmp_gt_u32_e64 s[0:1], 48, v7
	v_cndmask_b32_e64 v5, 0, 16, s[0:1]
	v_cmp_gt_u32_e64 s[0:1], 56, v7
	s_waitcnt lgkmcnt(0)
	v_add_f32_e32 v3, v3, v2
	v_add_lshl_u32 v2, v5, v6, 2
	ds_bpermute_b32 v5, v2, v3
	v_cndmask_b32_e64 v2, 0, 8, s[0:1]
	v_add_lshl_u32 v2, v2, v6, 2
	v_cmp_gt_u32_e64 s[0:1], 60, v7
	s_waitcnt lgkmcnt(0)
	v_add_f32_e32 v5, v3, v5
	ds_bpermute_b32 v8, v2, v5
	v_cndmask_b32_e64 v3, 0, 4, s[0:1]
	v_add_lshl_u32 v3, v3, v6, 2
	v_cmp_gt_u32_e64 s[0:1], 62, v7
	s_waitcnt lgkmcnt(0)
	s_barrier
	v_add_f32_e32 v8, v5, v8
	ds_bpermute_b32 v9, v3, v8
	v_cndmask_b32_e64 v5, 0, 2, s[0:1]
	v_add_lshl_u32 v5, v5, v6, 2
	v_cmp_ne_u32_e64 s[0:1], 63, v7
	v_addc_co_u32_e64 v6, s[0:1], 0, v6, s[0:1]
	s_waitcnt lgkmcnt(0)
	v_add_f32_e32 v8, v8, v9
	ds_bpermute_b32 v9, v5, v8
	v_lshlrev_b32_e32 v6, 2, v6
	v_cmp_eq_u32_e64 s[0:1], 0, v4
	s_waitcnt lgkmcnt(0)
	v_add_f32_e32 v7, v8, v9
	ds_bpermute_b32 v8, v6, v7
	s_and_saveexec_b64 s[4:5], s[0:1]
	s_cbranch_execz .LBB20_8
; %bb.7:
	s_waitcnt lgkmcnt(0)
	v_add_f32_e32 v4, v7, v8
	v_lshrrev_b32_e32 v7, 4, v0
	v_and_b32_e32 v7, 60, v7
	ds_write_b32 v7, v4
.LBB20_8:
	s_or_b64 exec, exec, s[4:5]
	v_cmp_gt_u32_e64 s[0:1], 16, v0
	v_mov_b32_e32 v4, 0
	s_waitcnt lgkmcnt(0)
	s_barrier
	s_and_saveexec_b64 s[4:5], s[0:1]
	s_cbranch_execnz .LBB20_12
; %bb.9:
	s_or_b64 exec, exec, s[4:5]
	s_and_saveexec_b64 s[0:1], vcc
	s_cbranch_execnz .LBB20_13
.LBB20_10:
	s_or_b64 exec, exec, s[0:1]
	v_cmp_eq_u32_e32 vcc, 0, v0
	s_and_saveexec_b64 s[0:1], vcc
	s_cbranch_execnz .LBB20_14
.LBB20_11:
	s_endpgm
.LBB20_12:
	ds_read_b32 v4, v1
	s_or_b64 exec, exec, s[4:5]
	s_and_saveexec_b64 s[0:1], vcc
	s_cbranch_execz .LBB20_10
.LBB20_13:
	s_waitcnt lgkmcnt(0)
	ds_bpermute_b32 v1, v2, v4
	s_waitcnt lgkmcnt(0)
	v_add_f32_e32 v1, v4, v1
	ds_bpermute_b32 v2, v3, v1
	s_waitcnt lgkmcnt(0)
	v_add_f32_e32 v1, v1, v2
	;; [unrolled: 3-line block ×4, first 2 shown]
	s_or_b64 exec, exec, s[0:1]
	v_cmp_eq_u32_e32 vcc, 0, v0
	s_and_saveexec_b64 s[0:1], vcc
	s_cbranch_execz .LBB20_11
.LBB20_14:
	s_lshl_b64 s[0:1], s[2:3], 2
	s_add_u32 s0, s6, s0
	s_addc_u32 s1, s7, s1
	v_mov_b32_e32 v0, 0
	s_waitcnt lgkmcnt(0)
	global_store_dword v0, v4, s[0:1]
	s_endpgm
	.section	.rodata,"a",@progbits
	.p2align	6, 0x0
	.amdhsa_kernel _ZL24rocblas_dot_kernel_magsqIiLb1ELi1024ELi32ELb0EfPKffEviT5_lT_liPT6_PT4_
		.amdhsa_group_segment_fixed_size 256
		.amdhsa_private_segment_fixed_size 0
		.amdhsa_kernarg_size 320
		.amdhsa_user_sgpr_count 6
		.amdhsa_user_sgpr_private_segment_buffer 1
		.amdhsa_user_sgpr_dispatch_ptr 0
		.amdhsa_user_sgpr_queue_ptr 0
		.amdhsa_user_sgpr_kernarg_segment_ptr 1
		.amdhsa_user_sgpr_dispatch_id 0
		.amdhsa_user_sgpr_flat_scratch_init 0
		.amdhsa_user_sgpr_private_segment_size 0
		.amdhsa_uses_dynamic_stack 0
		.amdhsa_system_sgpr_private_segment_wavefront_offset 0
		.amdhsa_system_sgpr_workgroup_id_x 1
		.amdhsa_system_sgpr_workgroup_id_y 0
		.amdhsa_system_sgpr_workgroup_id_z 1
		.amdhsa_system_sgpr_workgroup_info 0
		.amdhsa_system_vgpr_workitem_id 0
		.amdhsa_next_free_vgpr 10
		.amdhsa_next_free_sgpr 20
		.amdhsa_reserve_vcc 1
		.amdhsa_reserve_flat_scratch 0
		.amdhsa_float_round_mode_32 0
		.amdhsa_float_round_mode_16_64 0
		.amdhsa_float_denorm_mode_32 3
		.amdhsa_float_denorm_mode_16_64 3
		.amdhsa_dx10_clamp 1
		.amdhsa_ieee_mode 1
		.amdhsa_fp16_overflow 0
		.amdhsa_exception_fp_ieee_invalid_op 0
		.amdhsa_exception_fp_denorm_src 0
		.amdhsa_exception_fp_ieee_div_zero 0
		.amdhsa_exception_fp_ieee_overflow 0
		.amdhsa_exception_fp_ieee_underflow 0
		.amdhsa_exception_fp_ieee_inexact 0
		.amdhsa_exception_int_div_zero 0
	.end_amdhsa_kernel
	.section	.text._ZL24rocblas_dot_kernel_magsqIiLb1ELi1024ELi32ELb0EfPKffEviT5_lT_liPT6_PT4_,"axG",@progbits,_ZL24rocblas_dot_kernel_magsqIiLb1ELi1024ELi32ELb0EfPKffEviT5_lT_liPT6_PT4_,comdat
.Lfunc_end20:
	.size	_ZL24rocblas_dot_kernel_magsqIiLb1ELi1024ELi32ELb0EfPKffEviT5_lT_liPT6_PT4_, .Lfunc_end20-_ZL24rocblas_dot_kernel_magsqIiLb1ELi1024ELi32ELb0EfPKffEviT5_lT_liPT6_PT4_
                                        ; -- End function
	.set _ZL24rocblas_dot_kernel_magsqIiLb1ELi1024ELi32ELb0EfPKffEviT5_lT_liPT6_PT4_.num_vgpr, 10
	.set _ZL24rocblas_dot_kernel_magsqIiLb1ELi1024ELi32ELb0EfPKffEviT5_lT_liPT6_PT4_.num_agpr, 0
	.set _ZL24rocblas_dot_kernel_magsqIiLb1ELi1024ELi32ELb0EfPKffEviT5_lT_liPT6_PT4_.numbered_sgpr, 20
	.set _ZL24rocblas_dot_kernel_magsqIiLb1ELi1024ELi32ELb0EfPKffEviT5_lT_liPT6_PT4_.num_named_barrier, 0
	.set _ZL24rocblas_dot_kernel_magsqIiLb1ELi1024ELi32ELb0EfPKffEviT5_lT_liPT6_PT4_.private_seg_size, 0
	.set _ZL24rocblas_dot_kernel_magsqIiLb1ELi1024ELi32ELb0EfPKffEviT5_lT_liPT6_PT4_.uses_vcc, 1
	.set _ZL24rocblas_dot_kernel_magsqIiLb1ELi1024ELi32ELb0EfPKffEviT5_lT_liPT6_PT4_.uses_flat_scratch, 0
	.set _ZL24rocblas_dot_kernel_magsqIiLb1ELi1024ELi32ELb0EfPKffEviT5_lT_liPT6_PT4_.has_dyn_sized_stack, 0
	.set _ZL24rocblas_dot_kernel_magsqIiLb1ELi1024ELi32ELb0EfPKffEviT5_lT_liPT6_PT4_.has_recursion, 0
	.set _ZL24rocblas_dot_kernel_magsqIiLb1ELi1024ELi32ELb0EfPKffEviT5_lT_liPT6_PT4_.has_indirect_call, 0
	.section	.AMDGPU.csdata,"",@progbits
; Kernel info:
; codeLenInByte = 784
; TotalNumSgprs: 24
; NumVgprs: 10
; ScratchSize: 0
; MemoryBound: 0
; FloatMode: 240
; IeeeMode: 1
; LDSByteSize: 256 bytes/workgroup (compile time only)
; SGPRBlocks: 2
; VGPRBlocks: 2
; NumSGPRsForWavesPerEU: 24
; NumVGPRsForWavesPerEU: 10
; Occupancy: 10
; WaveLimiterHint : 0
; COMPUTE_PGM_RSRC2:SCRATCH_EN: 0
; COMPUTE_PGM_RSRC2:USER_SGPR: 6
; COMPUTE_PGM_RSRC2:TRAP_HANDLER: 0
; COMPUTE_PGM_RSRC2:TGID_X_EN: 1
; COMPUTE_PGM_RSRC2:TGID_Y_EN: 0
; COMPUTE_PGM_RSRC2:TGID_Z_EN: 1
; COMPUTE_PGM_RSRC2:TIDIG_COMP_CNT: 0
	.section	.text._ZL23rocblas_dot_kernel_inc1ILb0ELi512ELi4ELb0EfPKffEviT4_llS2_lliPT5_PT3_,"axG",@progbits,_ZL23rocblas_dot_kernel_inc1ILb0ELi512ELi4ELb0EfPKffEviT4_llS2_lliPT5_PT3_,comdat
	.globl	_ZL23rocblas_dot_kernel_inc1ILb0ELi512ELi4ELb0EfPKffEviT4_llS2_lliPT5_PT3_ ; -- Begin function _ZL23rocblas_dot_kernel_inc1ILb0ELi512ELi4ELb0EfPKffEviT4_llS2_lliPT5_PT3_
	.p2align	8
	.type	_ZL23rocblas_dot_kernel_inc1ILb0ELi512ELi4ELb0EfPKffEviT4_llS2_lliPT5_PT3_,@function
_ZL23rocblas_dot_kernel_inc1ILb0ELi512ELi4ELb0EfPKffEviT4_llS2_lliPT5_PT3_: ; @_ZL23rocblas_dot_kernel_inc1ILb0ELi512ELi4ELb0EfPKffEviT4_llS2_lliPT5_PT3_
; %bb.0:
	s_mov_b32 s2, s7
	s_load_dword s18, s[4:5], 0x50
	s_load_dword s7, s[4:5], 0x0
	s_load_dwordx4 s[8:11], s[4:5], 0x40
	v_lshl_or_b32 v1, s6, 9, v0
	s_mov_b32 s3, 0
	v_mov_b32_e32 v3, 0
	s_waitcnt lgkmcnt(0)
	v_cmp_gt_i32_e32 vcc, s7, v1
	s_and_saveexec_b64 s[12:13], vcc
	s_cbranch_execz .LBB21_4
; %bb.1:
	s_load_dwordx4 s[20:23], s[4:5], 0x10
	s_load_dwordx2 s[0:1], s[4:5], 0x8
	s_load_dwordx2 s[14:15], s[4:5], 0x20
	s_load_dwordx4 s[24:27], s[4:5], 0x28
	v_ashrrev_i32_e32 v2, 31, v1
	s_waitcnt lgkmcnt(0)
	s_mul_i32 s4, s23, s2
	s_mul_hi_u32 s5, s22, s2
	s_add_i32 s5, s5, s4
	s_mul_i32 s4, s22, s2
	s_lshl_b64 s[4:5], s[4:5], 2
	s_add_u32 s4, s0, s4
	s_addc_u32 s5, s1, s5
	s_lshl_b64 s[0:1], s[20:21], 2
	s_add_u32 s19, s4, s0
	s_addc_u32 s21, s5, s1
	s_mul_i32 s0, s27, s2
	s_mul_hi_u32 s1, s26, s2
	s_add_i32 s1, s1, s0
	s_mul_i32 s0, s26, s2
	s_lshl_b64 s[0:1], s[0:1], 2
	s_add_u32 s4, s14, s0
	s_addc_u32 s5, s15, s1
	s_lshl_b64 s[0:1], s[24:25], 2
	s_add_u32 s20, s4, s0
	s_addc_u32 s0, s5, s1
	s_lshl_b32 s4, s18, 9
	s_ashr_i32 s5, s4, 31
	v_add_u32_e32 v4, s4, v1
	v_lshlrev_b64 v[1:2], 2, v[1:2]
	s_lshl_b64 s[14:15], s[4:5], 2
	v_mov_b32_e32 v3, 0
	s_mov_b64 s[16:17], 0
	v_mov_b32_e32 v5, s0
	v_mov_b32_e32 v6, s21
	;; [unrolled: 1-line block ×3, first 2 shown]
	s_mov_b32 s5, s3
.LBB21_2:                               ; =>This Inner Loop Header: Depth=1
	v_add_co_u32_e32 v8, vcc, s20, v1
	v_addc_co_u32_e32 v9, vcc, v5, v2, vcc
	v_add_co_u32_e32 v10, vcc, s19, v1
	v_addc_co_u32_e32 v11, vcc, v6, v2, vcc
	global_load_dword v12, v[8:9], off
	global_load_dword v13, v[10:11], off
	s_add_i32 s15, s5, 1
	v_add_co_u32_e64 v1, s[0:1], s14, v1
	v_addc_co_u32_e64 v2, s[0:1], v2, v7, s[0:1]
	s_cmp_gt_u32 s5, 2
	v_cmp_le_i32_e32 vcc, s7, v4
	s_cselect_b64 s[0:1], -1, 0
	s_or_b64 s[0:1], s[0:1], vcc
	s_and_b64 s[0:1], exec, s[0:1]
	v_add_u32_e32 v4, s4, v4
	s_mov_b32 s5, s15
	s_or_b64 s[16:17], s[0:1], s[16:17]
	s_waitcnt vmcnt(0)
	v_fmac_f32_e32 v3, v12, v13
	s_andn2_b64 exec, exec, s[16:17]
	s_cbranch_execnz .LBB21_2
; %bb.3:
	s_or_b64 exec, exec, s[16:17]
.LBB21_4:
	s_or_b64 exec, exec, s[12:13]
	v_and_b32_e32 v2, 63, v0
	v_cmp_gt_u32_e32 vcc, 64, v0
	v_lshlrev_b32_e32 v1, 2, v2
	s_and_saveexec_b64 s[0:1], vcc
; %bb.5:
	v_mov_b32_e32 v4, 0
	ds_write_b32 v1, v4
; %bb.6:
	s_or_b64 exec, exec, s[0:1]
	v_mbcnt_lo_u32_b32 v4, -1, 0
	v_mbcnt_hi_u32_b32 v5, -1, v4
	v_mov_b32_e32 v4, 0x80
	v_lshl_or_b32 v4, v5, 2, v4
	ds_bpermute_b32 v4, v4, v3
	v_and_b32_e32 v6, 63, v5
	v_cmp_gt_u32_e64 s[0:1], 48, v6
	v_cndmask_b32_e64 v7, 0, 16, s[0:1]
	v_cmp_gt_u32_e64 s[0:1], 56, v6
	s_waitcnt lgkmcnt(0)
	v_add_f32_e32 v3, v3, v4
	v_add_lshl_u32 v4, v7, v5, 2
	ds_bpermute_b32 v4, v4, v3
	v_cndmask_b32_e64 v7, 0, 8, s[0:1]
	v_add_lshl_u32 v7, v7, v5, 2
	v_cmp_gt_u32_e64 s[0:1], 60, v6
	s_waitcnt lgkmcnt(0)
	v_add_f32_e32 v4, v3, v4
	ds_bpermute_b32 v7, v7, v4
	v_cndmask_b32_e64 v3, 0, 4, s[0:1]
	v_add_lshl_u32 v3, v3, v5, 2
	v_cmp_gt_u32_e64 s[0:1], 62, v6
	s_waitcnt lgkmcnt(0)
	s_barrier
	v_add_f32_e32 v7, v4, v7
	ds_bpermute_b32 v8, v3, v7
	v_cndmask_b32_e64 v4, 0, 2, s[0:1]
	v_add_lshl_u32 v4, v4, v5, 2
	v_cmp_ne_u32_e64 s[0:1], 63, v6
	v_addc_co_u32_e64 v5, s[0:1], 0, v5, s[0:1]
	s_waitcnt lgkmcnt(0)
	v_add_f32_e32 v7, v7, v8
	ds_bpermute_b32 v8, v4, v7
	v_lshlrev_b32_e32 v5, 2, v5
	v_cmp_eq_u32_e64 s[0:1], 0, v2
	s_waitcnt lgkmcnt(0)
	v_add_f32_e32 v6, v7, v8
	ds_bpermute_b32 v7, v5, v6
	s_and_saveexec_b64 s[4:5], s[0:1]
	s_cbranch_execz .LBB21_8
; %bb.7:
	s_waitcnt lgkmcnt(0)
	v_add_f32_e32 v2, v6, v7
	v_lshrrev_b32_e32 v6, 4, v0
	v_and_b32_e32 v6, 28, v6
	ds_write_b32 v6, v2
.LBB21_8:
	s_or_b64 exec, exec, s[4:5]
	v_cmp_gt_u32_e64 s[0:1], 8, v0
	v_mov_b32_e32 v2, 0
	s_waitcnt lgkmcnt(0)
	s_barrier
	s_and_saveexec_b64 s[4:5], s[0:1]
	s_cbranch_execnz .LBB21_12
; %bb.9:
	s_or_b64 exec, exec, s[4:5]
	s_and_saveexec_b64 s[0:1], vcc
	s_cbranch_execnz .LBB21_13
.LBB21_10:
	s_or_b64 exec, exec, s[0:1]
	v_cmp_eq_u32_e32 vcc, 0, v0
	s_and_saveexec_b64 s[0:1], vcc
	s_cbranch_execnz .LBB21_14
.LBB21_11:
	s_endpgm
.LBB21_12:
	ds_read_b32 v2, v1
	s_or_b64 exec, exec, s[4:5]
	s_and_saveexec_b64 s[0:1], vcc
	s_cbranch_execz .LBB21_10
.LBB21_13:
	s_waitcnt lgkmcnt(0)
	ds_bpermute_b32 v1, v3, v2
	s_waitcnt lgkmcnt(0)
	v_add_f32_e32 v1, v2, v1
	ds_bpermute_b32 v2, v4, v1
	s_waitcnt lgkmcnt(0)
	v_add_f32_e32 v1, v1, v2
	;; [unrolled: 3-line block ×3, first 2 shown]
	s_or_b64 exec, exec, s[0:1]
	v_cmp_eq_u32_e32 vcc, 0, v0
	s_and_saveexec_b64 s[0:1], vcc
	s_cbranch_execz .LBB21_11
.LBB21_14:
	s_cmp_lg_u32 s18, 1
	s_mov_b64 s[0:1], -1
	s_cbranch_scc0 .LBB21_16
; %bb.15:
	s_mul_hi_u32 s1, s18, s2
	s_mul_i32 s0, s18, s2
	s_lshl_b64 s[0:1], s[0:1], 2
	s_mov_b32 s7, 0
	s_add_u32 s4, s8, s0
	s_addc_u32 s5, s9, s1
	s_lshl_b64 s[0:1], s[6:7], 2
	s_add_u32 s0, s4, s0
	s_addc_u32 s1, s5, s1
	v_mov_b32_e32 v0, 0
	s_waitcnt lgkmcnt(0)
	global_store_dword v0, v2, s[0:1]
	s_mov_b64 s[0:1], 0
.LBB21_16:
	s_andn2_b64 vcc, exec, s[0:1]
	s_cbranch_vccnz .LBB21_11
; %bb.17:
	s_lshl_b64 s[0:1], s[2:3], 2
	s_add_u32 s0, s10, s0
	s_addc_u32 s1, s11, s1
	v_mov_b32_e32 v0, 0
	s_waitcnt lgkmcnt(0)
	global_store_dword v0, v2, s[0:1]
	s_endpgm
	.section	.rodata,"a",@progbits
	.p2align	6, 0x0
	.amdhsa_kernel _ZL23rocblas_dot_kernel_inc1ILb0ELi512ELi4ELb0EfPKffEviT4_llS2_lliPT5_PT3_
		.amdhsa_group_segment_fixed_size 256
		.amdhsa_private_segment_fixed_size 0
		.amdhsa_kernarg_size 336
		.amdhsa_user_sgpr_count 6
		.amdhsa_user_sgpr_private_segment_buffer 1
		.amdhsa_user_sgpr_dispatch_ptr 0
		.amdhsa_user_sgpr_queue_ptr 0
		.amdhsa_user_sgpr_kernarg_segment_ptr 1
		.amdhsa_user_sgpr_dispatch_id 0
		.amdhsa_user_sgpr_flat_scratch_init 0
		.amdhsa_user_sgpr_private_segment_size 0
		.amdhsa_uses_dynamic_stack 0
		.amdhsa_system_sgpr_private_segment_wavefront_offset 0
		.amdhsa_system_sgpr_workgroup_id_x 1
		.amdhsa_system_sgpr_workgroup_id_y 0
		.amdhsa_system_sgpr_workgroup_id_z 1
		.amdhsa_system_sgpr_workgroup_info 0
		.amdhsa_system_vgpr_workitem_id 0
		.amdhsa_next_free_vgpr 14
		.amdhsa_next_free_sgpr 28
		.amdhsa_reserve_vcc 1
		.amdhsa_reserve_flat_scratch 0
		.amdhsa_float_round_mode_32 0
		.amdhsa_float_round_mode_16_64 0
		.amdhsa_float_denorm_mode_32 3
		.amdhsa_float_denorm_mode_16_64 3
		.amdhsa_dx10_clamp 1
		.amdhsa_ieee_mode 1
		.amdhsa_fp16_overflow 0
		.amdhsa_exception_fp_ieee_invalid_op 0
		.amdhsa_exception_fp_denorm_src 0
		.amdhsa_exception_fp_ieee_div_zero 0
		.amdhsa_exception_fp_ieee_overflow 0
		.amdhsa_exception_fp_ieee_underflow 0
		.amdhsa_exception_fp_ieee_inexact 0
		.amdhsa_exception_int_div_zero 0
	.end_amdhsa_kernel
	.section	.text._ZL23rocblas_dot_kernel_inc1ILb0ELi512ELi4ELb0EfPKffEviT4_llS2_lliPT5_PT3_,"axG",@progbits,_ZL23rocblas_dot_kernel_inc1ILb0ELi512ELi4ELb0EfPKffEviT4_llS2_lliPT5_PT3_,comdat
.Lfunc_end21:
	.size	_ZL23rocblas_dot_kernel_inc1ILb0ELi512ELi4ELb0EfPKffEviT4_llS2_lliPT5_PT3_, .Lfunc_end21-_ZL23rocblas_dot_kernel_inc1ILb0ELi512ELi4ELb0EfPKffEviT4_llS2_lliPT5_PT3_
                                        ; -- End function
	.set _ZL23rocblas_dot_kernel_inc1ILb0ELi512ELi4ELb0EfPKffEviT4_llS2_lliPT5_PT3_.num_vgpr, 14
	.set _ZL23rocblas_dot_kernel_inc1ILb0ELi512ELi4ELb0EfPKffEviT4_llS2_lliPT5_PT3_.num_agpr, 0
	.set _ZL23rocblas_dot_kernel_inc1ILb0ELi512ELi4ELb0EfPKffEviT4_llS2_lliPT5_PT3_.numbered_sgpr, 28
	.set _ZL23rocblas_dot_kernel_inc1ILb0ELi512ELi4ELb0EfPKffEviT4_llS2_lliPT5_PT3_.num_named_barrier, 0
	.set _ZL23rocblas_dot_kernel_inc1ILb0ELi512ELi4ELb0EfPKffEviT4_llS2_lliPT5_PT3_.private_seg_size, 0
	.set _ZL23rocblas_dot_kernel_inc1ILb0ELi512ELi4ELb0EfPKffEviT4_llS2_lliPT5_PT3_.uses_vcc, 1
	.set _ZL23rocblas_dot_kernel_inc1ILb0ELi512ELi4ELb0EfPKffEviT4_llS2_lliPT5_PT3_.uses_flat_scratch, 0
	.set _ZL23rocblas_dot_kernel_inc1ILb0ELi512ELi4ELb0EfPKffEviT4_llS2_lliPT5_PT3_.has_dyn_sized_stack, 0
	.set _ZL23rocblas_dot_kernel_inc1ILb0ELi512ELi4ELb0EfPKffEviT4_llS2_lliPT5_PT3_.has_recursion, 0
	.set _ZL23rocblas_dot_kernel_inc1ILb0ELi512ELi4ELb0EfPKffEviT4_llS2_lliPT5_PT3_.has_indirect_call, 0
	.section	.AMDGPU.csdata,"",@progbits
; Kernel info:
; codeLenInByte = 912
; TotalNumSgprs: 32
; NumVgprs: 14
; ScratchSize: 0
; MemoryBound: 0
; FloatMode: 240
; IeeeMode: 1
; LDSByteSize: 256 bytes/workgroup (compile time only)
; SGPRBlocks: 3
; VGPRBlocks: 3
; NumSGPRsForWavesPerEU: 32
; NumVGPRsForWavesPerEU: 14
; Occupancy: 10
; WaveLimiterHint : 0
; COMPUTE_PGM_RSRC2:SCRATCH_EN: 0
; COMPUTE_PGM_RSRC2:USER_SGPR: 6
; COMPUTE_PGM_RSRC2:TRAP_HANDLER: 0
; COMPUTE_PGM_RSRC2:TGID_X_EN: 1
; COMPUTE_PGM_RSRC2:TGID_Y_EN: 0
; COMPUTE_PGM_RSRC2:TGID_Z_EN: 1
; COMPUTE_PGM_RSRC2:TIDIG_COMP_CNT: 0
	.section	.text._ZL18rocblas_dot_kernelIiLb0ELi512ELi4ELb0EfPKffEviT5_lT_lS2_lS3_liPT6_PT4_,"axG",@progbits,_ZL18rocblas_dot_kernelIiLb0ELi512ELi4ELb0EfPKffEviT5_lT_lS2_lS3_liPT6_PT4_,comdat
	.globl	_ZL18rocblas_dot_kernelIiLb0ELi512ELi4ELb0EfPKffEviT5_lT_lS2_lS3_liPT6_PT4_ ; -- Begin function _ZL18rocblas_dot_kernelIiLb0ELi512ELi4ELb0EfPKffEviT5_lT_lS2_lS3_liPT6_PT4_
	.p2align	8
	.type	_ZL18rocblas_dot_kernelIiLb0ELi512ELi4ELb0EfPKffEviT5_lT_lS2_lS3_liPT6_PT4_,@function
_ZL18rocblas_dot_kernelIiLb0ELi512ELi4ELb0EfPKffEviT5_lT_lS2_lS3_liPT6_PT4_: ; @_ZL18rocblas_dot_kernelIiLb0ELi512ELi4ELb0EfPKffEviT5_lT_lS2_lS3_liPT6_PT4_
; %bb.0:
	s_mov_b32 s12, s7
	s_load_dword s18, s[4:5], 0x60
	s_load_dword s7, s[4:5], 0x0
	s_load_dwordx4 s[8:11], s[4:5], 0x50
	v_lshl_or_b32 v3, s6, 9, v0
	s_mov_b32 s13, 0
	v_mov_b32_e32 v6, 0
	s_waitcnt lgkmcnt(0)
	v_cmp_gt_i32_e32 vcc, s7, v3
	s_and_saveexec_b64 s[14:15], vcc
	s_cbranch_execz .LBB22_4
; %bb.1:
	s_load_dword s26, s[4:5], 0x18
	s_load_dwordx4 s[20:23], s[4:5], 0x8
	s_load_dwordx4 s[0:3], s[4:5], 0x20
	s_load_dwordx2 s[16:17], s[4:5], 0x30
	s_lshl_b32 s19, s18, 9
	s_waitcnt lgkmcnt(0)
	v_mad_i64_i32 v[1:2], s[24:25], s26, v3, 0
	s_load_dword s27, s[4:5], 0x38
	s_load_dwordx2 s[24:25], s[4:5], 0x40
	s_mul_i32 s1, s1, s12
	s_mul_hi_u32 s4, s0, s12
	s_add_i32 s1, s4, s1
	s_mul_i32 s0, s0, s12
	s_lshl_b64 s[0:1], s[0:1], 2
	s_lshl_b64 s[4:5], s[22:23], 2
	s_add_u32 s4, s20, s4
	s_addc_u32 s5, s21, s5
	v_lshlrev_b64 v[1:2], 2, v[1:2]
	s_add_u32 s0, s4, s0
	s_addc_u32 s1, s5, s1
	v_mov_b32_e32 v4, s1
	v_add_co_u32_e32 v1, vcc, s0, v1
	v_add_u32_e32 v5, s19, v3
	v_addc_co_u32_e32 v2, vcc, v4, v2, vcc
	s_waitcnt lgkmcnt(0)
	v_mad_i64_i32 v[3:4], s[0:1], s27, v3, 0
	s_mul_hi_i32 s1, s26, s19
	s_mul_i32 s0, s26, s19
	s_lshl_b64 s[4:5], s[0:1], 2
	s_mul_i32 s0, s25, s12
	s_mul_hi_u32 s1, s24, s12
	s_add_i32 s1, s1, s0
	s_mul_i32 s0, s24, s12
	s_lshl_b64 s[0:1], s[0:1], 2
	s_lshl_b64 s[16:17], s[16:17], 2
	s_add_u32 s2, s2, s16
	s_addc_u32 s3, s3, s17
	v_lshlrev_b64 v[3:4], 2, v[3:4]
	s_add_u32 s0, s2, s0
	s_addc_u32 s1, s3, s1
	v_mov_b32_e32 v6, s1
	v_add_co_u32_e32 v3, vcc, s0, v3
	s_mul_hi_i32 s1, s27, s19
	s_mul_i32 s0, s27, s19
	s_lshl_b64 s[2:3], s[0:1], 2
	v_addc_co_u32_e32 v4, vcc, v6, v4, vcc
	v_mov_b32_e32 v6, 0
	s_mov_b64 s[16:17], 0
	v_mov_b32_e32 v7, s5
	v_mov_b32_e32 v8, s3
	s_mov_b32 s3, s13
.LBB22_2:                               ; =>This Inner Loop Header: Depth=1
	global_load_dword v9, v[3:4], off
	global_load_dword v10, v[1:2], off
	v_add_co_u32_e64 v1, s[0:1], s4, v1
	v_addc_co_u32_e64 v2, s[0:1], v2, v7, s[0:1]
	s_add_i32 s5, s3, 1
	v_add_co_u32_e64 v3, s[0:1], s2, v3
	v_addc_co_u32_e64 v4, s[0:1], v4, v8, s[0:1]
	s_cmp_gt_u32 s3, 2
	v_cmp_le_i32_e32 vcc, s7, v5
	s_cselect_b64 s[0:1], -1, 0
	s_or_b64 s[0:1], s[0:1], vcc
	s_and_b64 s[0:1], exec, s[0:1]
	v_add_u32_e32 v5, s19, v5
	s_mov_b32 s3, s5
	s_or_b64 s[16:17], s[0:1], s[16:17]
	s_waitcnt vmcnt(0)
	v_fmac_f32_e32 v6, v9, v10
	s_andn2_b64 exec, exec, s[16:17]
	s_cbranch_execnz .LBB22_2
; %bb.3:
	s_or_b64 exec, exec, s[16:17]
.LBB22_4:
	s_or_b64 exec, exec, s[14:15]
	v_and_b32_e32 v2, 63, v0
	v_cmp_gt_u32_e32 vcc, 64, v0
	v_lshlrev_b32_e32 v1, 2, v2
	s_and_saveexec_b64 s[0:1], vcc
; %bb.5:
	v_mov_b32_e32 v3, 0
	ds_write_b32 v1, v3
; %bb.6:
	s_or_b64 exec, exec, s[0:1]
	v_mbcnt_lo_u32_b32 v3, -1, 0
	v_mbcnt_hi_u32_b32 v5, -1, v3
	v_mov_b32_e32 v3, 0x80
	v_lshl_or_b32 v3, v5, 2, v3
	ds_bpermute_b32 v3, v3, v6
	v_and_b32_e32 v7, 63, v5
	v_cmp_gt_u32_e64 s[0:1], 48, v7
	v_cndmask_b32_e64 v4, 0, 16, s[0:1]
	v_add_lshl_u32 v4, v4, v5, 2
	s_waitcnt lgkmcnt(0)
	v_add_f32_e32 v3, v6, v3
	ds_bpermute_b32 v4, v4, v3
	v_cmp_gt_u32_e64 s[0:1], 56, v7
	v_cndmask_b32_e64 v6, 0, 8, s[0:1]
	v_add_lshl_u32 v6, v6, v5, 2
	v_cmp_gt_u32_e64 s[0:1], 60, v7
	s_waitcnt lgkmcnt(0)
	v_add_f32_e32 v4, v3, v4
	ds_bpermute_b32 v6, v6, v4
	v_cndmask_b32_e64 v3, 0, 4, s[0:1]
	v_add_lshl_u32 v3, v3, v5, 2
	v_cmp_gt_u32_e64 s[0:1], 62, v7
	s_waitcnt lgkmcnt(0)
	v_add_f32_e32 v6, v4, v6
	ds_bpermute_b32 v8, v3, v6
	v_cndmask_b32_e64 v4, 0, 2, s[0:1]
	v_add_lshl_u32 v4, v4, v5, 2
	v_cmp_ne_u32_e64 s[0:1], 63, v7
	v_addc_co_u32_e64 v5, s[0:1], 0, v5, s[0:1]
	s_waitcnt lgkmcnt(0)
	v_add_f32_e32 v6, v6, v8
	ds_bpermute_b32 v8, v4, v6
	v_lshlrev_b32_e32 v5, 2, v5
	v_cmp_eq_u32_e64 s[0:1], 0, v2
	s_waitcnt lgkmcnt(0)
	s_barrier
	v_add_f32_e32 v6, v6, v8
	ds_bpermute_b32 v7, v5, v6
	s_and_saveexec_b64 s[2:3], s[0:1]
	s_cbranch_execz .LBB22_8
; %bb.7:
	s_waitcnt lgkmcnt(0)
	v_add_f32_e32 v2, v6, v7
	v_lshrrev_b32_e32 v6, 4, v0
	v_and_b32_e32 v6, 28, v6
	ds_write_b32 v6, v2
.LBB22_8:
	s_or_b64 exec, exec, s[2:3]
	v_cmp_gt_u32_e64 s[0:1], 8, v0
	v_mov_b32_e32 v2, 0
	s_waitcnt lgkmcnt(0)
	s_barrier
	s_and_saveexec_b64 s[2:3], s[0:1]
	s_cbranch_execnz .LBB22_12
; %bb.9:
	s_or_b64 exec, exec, s[2:3]
	s_and_saveexec_b64 s[0:1], vcc
	s_cbranch_execnz .LBB22_13
.LBB22_10:
	s_or_b64 exec, exec, s[0:1]
	v_cmp_eq_u32_e32 vcc, 0, v0
	s_and_saveexec_b64 s[0:1], vcc
	s_cbranch_execnz .LBB22_14
.LBB22_11:
	s_endpgm
.LBB22_12:
	ds_read_b32 v2, v1
	s_or_b64 exec, exec, s[2:3]
	s_and_saveexec_b64 s[0:1], vcc
	s_cbranch_execz .LBB22_10
.LBB22_13:
	s_waitcnt lgkmcnt(0)
	ds_bpermute_b32 v1, v3, v2
	s_waitcnt lgkmcnt(0)
	v_add_f32_e32 v1, v2, v1
	ds_bpermute_b32 v2, v4, v1
	s_waitcnt lgkmcnt(0)
	v_add_f32_e32 v1, v1, v2
	;; [unrolled: 3-line block ×3, first 2 shown]
	s_or_b64 exec, exec, s[0:1]
	v_cmp_eq_u32_e32 vcc, 0, v0
	s_and_saveexec_b64 s[0:1], vcc
	s_cbranch_execz .LBB22_11
.LBB22_14:
	s_cmp_lg_u32 s18, 1
	s_mov_b64 s[0:1], -1
	s_cbranch_scc0 .LBB22_16
; %bb.15:
	s_mul_hi_u32 s1, s18, s12
	s_mul_i32 s0, s18, s12
	s_lshl_b64 s[0:1], s[0:1], 2
	s_mov_b32 s7, 0
	s_add_u32 s2, s8, s0
	s_addc_u32 s3, s9, s1
	s_lshl_b64 s[0:1], s[6:7], 2
	s_add_u32 s0, s2, s0
	s_addc_u32 s1, s3, s1
	v_mov_b32_e32 v0, 0
	s_waitcnt lgkmcnt(0)
	global_store_dword v0, v2, s[0:1]
	s_mov_b64 s[0:1], 0
.LBB22_16:
	s_andn2_b64 vcc, exec, s[0:1]
	s_cbranch_vccnz .LBB22_11
; %bb.17:
	s_lshl_b64 s[0:1], s[12:13], 2
	s_add_u32 s0, s10, s0
	s_addc_u32 s1, s11, s1
	v_mov_b32_e32 v0, 0
	s_waitcnt lgkmcnt(0)
	global_store_dword v0, v2, s[0:1]
	s_endpgm
	.section	.rodata,"a",@progbits
	.p2align	6, 0x0
	.amdhsa_kernel _ZL18rocblas_dot_kernelIiLb0ELi512ELi4ELb0EfPKffEviT5_lT_lS2_lS3_liPT6_PT4_
		.amdhsa_group_segment_fixed_size 256
		.amdhsa_private_segment_fixed_size 0
		.amdhsa_kernarg_size 352
		.amdhsa_user_sgpr_count 6
		.amdhsa_user_sgpr_private_segment_buffer 1
		.amdhsa_user_sgpr_dispatch_ptr 0
		.amdhsa_user_sgpr_queue_ptr 0
		.amdhsa_user_sgpr_kernarg_segment_ptr 1
		.amdhsa_user_sgpr_dispatch_id 0
		.amdhsa_user_sgpr_flat_scratch_init 0
		.amdhsa_user_sgpr_private_segment_size 0
		.amdhsa_uses_dynamic_stack 0
		.amdhsa_system_sgpr_private_segment_wavefront_offset 0
		.amdhsa_system_sgpr_workgroup_id_x 1
		.amdhsa_system_sgpr_workgroup_id_y 0
		.amdhsa_system_sgpr_workgroup_id_z 1
		.amdhsa_system_sgpr_workgroup_info 0
		.amdhsa_system_vgpr_workitem_id 0
		.amdhsa_next_free_vgpr 11
		.amdhsa_next_free_sgpr 28
		.amdhsa_reserve_vcc 1
		.amdhsa_reserve_flat_scratch 0
		.amdhsa_float_round_mode_32 0
		.amdhsa_float_round_mode_16_64 0
		.amdhsa_float_denorm_mode_32 3
		.amdhsa_float_denorm_mode_16_64 3
		.amdhsa_dx10_clamp 1
		.amdhsa_ieee_mode 1
		.amdhsa_fp16_overflow 0
		.amdhsa_exception_fp_ieee_invalid_op 0
		.amdhsa_exception_fp_denorm_src 0
		.amdhsa_exception_fp_ieee_div_zero 0
		.amdhsa_exception_fp_ieee_overflow 0
		.amdhsa_exception_fp_ieee_underflow 0
		.amdhsa_exception_fp_ieee_inexact 0
		.amdhsa_exception_int_div_zero 0
	.end_amdhsa_kernel
	.section	.text._ZL18rocblas_dot_kernelIiLb0ELi512ELi4ELb0EfPKffEviT5_lT_lS2_lS3_liPT6_PT4_,"axG",@progbits,_ZL18rocblas_dot_kernelIiLb0ELi512ELi4ELb0EfPKffEviT5_lT_lS2_lS3_liPT6_PT4_,comdat
.Lfunc_end22:
	.size	_ZL18rocblas_dot_kernelIiLb0ELi512ELi4ELb0EfPKffEviT5_lT_lS2_lS3_liPT6_PT4_, .Lfunc_end22-_ZL18rocblas_dot_kernelIiLb0ELi512ELi4ELb0EfPKffEviT5_lT_lS2_lS3_liPT6_PT4_
                                        ; -- End function
	.set _ZL18rocblas_dot_kernelIiLb0ELi512ELi4ELb0EfPKffEviT5_lT_lS2_lS3_liPT6_PT4_.num_vgpr, 11
	.set _ZL18rocblas_dot_kernelIiLb0ELi512ELi4ELb0EfPKffEviT5_lT_lS2_lS3_liPT6_PT4_.num_agpr, 0
	.set _ZL18rocblas_dot_kernelIiLb0ELi512ELi4ELb0EfPKffEviT5_lT_lS2_lS3_liPT6_PT4_.numbered_sgpr, 28
	.set _ZL18rocblas_dot_kernelIiLb0ELi512ELi4ELb0EfPKffEviT5_lT_lS2_lS3_liPT6_PT4_.num_named_barrier, 0
	.set _ZL18rocblas_dot_kernelIiLb0ELi512ELi4ELb0EfPKffEviT5_lT_lS2_lS3_liPT6_PT4_.private_seg_size, 0
	.set _ZL18rocblas_dot_kernelIiLb0ELi512ELi4ELb0EfPKffEviT5_lT_lS2_lS3_liPT6_PT4_.uses_vcc, 1
	.set _ZL18rocblas_dot_kernelIiLb0ELi512ELi4ELb0EfPKffEviT5_lT_lS2_lS3_liPT6_PT4_.uses_flat_scratch, 0
	.set _ZL18rocblas_dot_kernelIiLb0ELi512ELi4ELb0EfPKffEviT5_lT_lS2_lS3_liPT6_PT4_.has_dyn_sized_stack, 0
	.set _ZL18rocblas_dot_kernelIiLb0ELi512ELi4ELb0EfPKffEviT5_lT_lS2_lS3_liPT6_PT4_.has_recursion, 0
	.set _ZL18rocblas_dot_kernelIiLb0ELi512ELi4ELb0EfPKffEviT5_lT_lS2_lS3_liPT6_PT4_.has_indirect_call, 0
	.section	.AMDGPU.csdata,"",@progbits
; Kernel info:
; codeLenInByte = 988
; TotalNumSgprs: 32
; NumVgprs: 11
; ScratchSize: 0
; MemoryBound: 0
; FloatMode: 240
; IeeeMode: 1
; LDSByteSize: 256 bytes/workgroup (compile time only)
; SGPRBlocks: 3
; VGPRBlocks: 2
; NumSGPRsForWavesPerEU: 32
; NumVGPRsForWavesPerEU: 11
; Occupancy: 10
; WaveLimiterHint : 0
; COMPUTE_PGM_RSRC2:SCRATCH_EN: 0
; COMPUTE_PGM_RSRC2:USER_SGPR: 6
; COMPUTE_PGM_RSRC2:TRAP_HANDLER: 0
; COMPUTE_PGM_RSRC2:TGID_X_EN: 1
; COMPUTE_PGM_RSRC2:TGID_Y_EN: 0
; COMPUTE_PGM_RSRC2:TGID_Z_EN: 1
; COMPUTE_PGM_RSRC2:TIDIG_COMP_CNT: 0
	.section	.text._ZL24rocblas_dot_kernel_magsqIiLb0ELi512ELi4ELb0EfPKffEviT5_lT_liPT6_PT4_,"axG",@progbits,_ZL24rocblas_dot_kernel_magsqIiLb0ELi512ELi4ELb0EfPKffEviT5_lT_liPT6_PT4_,comdat
	.globl	_ZL24rocblas_dot_kernel_magsqIiLb0ELi512ELi4ELb0EfPKffEviT5_lT_liPT6_PT4_ ; -- Begin function _ZL24rocblas_dot_kernel_magsqIiLb0ELi512ELi4ELb0EfPKffEviT5_lT_liPT6_PT4_
	.p2align	8
	.type	_ZL24rocblas_dot_kernel_magsqIiLb0ELi512ELi4ELb0EfPKffEviT5_lT_liPT6_PT4_,@function
_ZL24rocblas_dot_kernel_magsqIiLb0ELi512ELi4ELb0EfPKffEviT5_lT_liPT6_PT4_: ; @_ZL24rocblas_dot_kernel_magsqIiLb0ELi512ELi4ELb0EfPKffEviT5_lT_liPT6_PT4_
; %bb.0:
	s_mov_b32 s2, s7
	s_load_dword s7, s[4:5], 0x0
	s_load_dwordx4 s[8:11], s[4:5], 0x30
	s_load_dword s16, s[4:5], 0x40
	v_lshl_or_b32 v1, s6, 9, v0
	s_mov_b32 s3, 0
	s_waitcnt lgkmcnt(0)
	v_cmp_gt_i32_e32 vcc, s7, v1
	v_mov_b32_e32 v3, 0
	s_and_saveexec_b64 s[12:13], vcc
	s_cbranch_execz .LBB23_4
; %bb.1:
	s_load_dword s14, s[4:5], 0x18
	s_load_dwordx4 s[20:23], s[4:5], 0x8
	s_load_dwordx2 s[0:1], s[4:5], 0x20
	s_lshl_b32 s17, s16, 9
	v_add_u32_e32 v4, s17, v1
	s_waitcnt lgkmcnt(0)
	v_mad_i64_i32 v[2:3], s[4:5], s14, v1, 0
	s_mul_i32 s1, s1, s2
	s_mul_hi_u32 s4, s0, s2
	s_add_i32 s1, s4, s1
	s_mul_i32 s0, s0, s2
	s_lshl_b64 s[0:1], s[0:1], 2
	s_lshl_b64 s[4:5], s[22:23], 2
	s_add_u32 s4, s20, s4
	s_addc_u32 s5, s21, s5
	v_lshlrev_b64 v[1:2], 2, v[2:3]
	s_add_u32 s0, s4, s0
	s_addc_u32 s1, s5, s1
	v_mov_b32_e32 v3, s1
	v_add_co_u32_e32 v1, vcc, s0, v1
	s_mul_hi_i32 s1, s14, s17
	s_mul_i32 s0, s14, s17
	s_lshl_b64 s[4:5], s[0:1], 2
	v_addc_co_u32_e32 v2, vcc, v3, v2, vcc
	v_mov_b32_e32 v3, 0
	s_mov_b64 s[14:15], 0
	v_mov_b32_e32 v5, s5
	s_mov_b32 s5, s3
.LBB23_2:                               ; =>This Inner Loop Header: Depth=1
	global_load_dword v6, v[1:2], off
	s_add_i32 s18, s5, 1
	v_add_co_u32_e64 v1, s[0:1], s4, v1
	v_addc_co_u32_e64 v2, s[0:1], v2, v5, s[0:1]
	s_cmp_gt_u32 s5, 2
	v_cmp_le_i32_e32 vcc, s7, v4
	s_cselect_b64 s[0:1], -1, 0
	s_or_b64 s[0:1], s[0:1], vcc
	s_and_b64 s[0:1], exec, s[0:1]
	v_add_u32_e32 v4, s17, v4
	s_mov_b32 s5, s18
	s_or_b64 s[14:15], s[0:1], s[14:15]
	s_waitcnt vmcnt(0)
	v_fmac_f32_e32 v3, v6, v6
	s_andn2_b64 exec, exec, s[14:15]
	s_cbranch_execnz .LBB23_2
; %bb.3:
	s_or_b64 exec, exec, s[14:15]
.LBB23_4:
	s_or_b64 exec, exec, s[12:13]
	v_and_b32_e32 v2, 63, v0
	v_cmp_gt_u32_e32 vcc, 64, v0
	v_lshlrev_b32_e32 v1, 2, v2
	s_and_saveexec_b64 s[0:1], vcc
; %bb.5:
	v_mov_b32_e32 v4, 0
	ds_write_b32 v1, v4
; %bb.6:
	s_or_b64 exec, exec, s[0:1]
	v_mbcnt_lo_u32_b32 v4, -1, 0
	v_mbcnt_hi_u32_b32 v5, -1, v4
	v_mov_b32_e32 v4, 0x80
	v_lshl_or_b32 v4, v5, 2, v4
	ds_bpermute_b32 v4, v4, v3
	v_and_b32_e32 v6, 63, v5
	v_cmp_gt_u32_e64 s[0:1], 48, v6
	v_cndmask_b32_e64 v7, 0, 16, s[0:1]
	v_cmp_gt_u32_e64 s[0:1], 56, v6
	s_waitcnt lgkmcnt(0)
	v_add_f32_e32 v3, v3, v4
	v_add_lshl_u32 v4, v7, v5, 2
	ds_bpermute_b32 v4, v4, v3
	v_cndmask_b32_e64 v7, 0, 8, s[0:1]
	v_add_lshl_u32 v7, v7, v5, 2
	v_cmp_gt_u32_e64 s[0:1], 60, v6
	s_waitcnt lgkmcnt(0)
	v_add_f32_e32 v4, v3, v4
	ds_bpermute_b32 v7, v7, v4
	v_cndmask_b32_e64 v3, 0, 4, s[0:1]
	v_add_lshl_u32 v3, v3, v5, 2
	v_cmp_gt_u32_e64 s[0:1], 62, v6
	s_waitcnt lgkmcnt(0)
	s_barrier
	v_add_f32_e32 v7, v4, v7
	ds_bpermute_b32 v8, v3, v7
	v_cndmask_b32_e64 v4, 0, 2, s[0:1]
	v_add_lshl_u32 v4, v4, v5, 2
	v_cmp_ne_u32_e64 s[0:1], 63, v6
	v_addc_co_u32_e64 v5, s[0:1], 0, v5, s[0:1]
	s_waitcnt lgkmcnt(0)
	v_add_f32_e32 v7, v7, v8
	ds_bpermute_b32 v8, v4, v7
	v_lshlrev_b32_e32 v5, 2, v5
	v_cmp_eq_u32_e64 s[0:1], 0, v2
	s_waitcnt lgkmcnt(0)
	v_add_f32_e32 v6, v7, v8
	ds_bpermute_b32 v7, v5, v6
	s_and_saveexec_b64 s[4:5], s[0:1]
	s_cbranch_execz .LBB23_8
; %bb.7:
	s_waitcnt lgkmcnt(0)
	v_add_f32_e32 v2, v6, v7
	v_lshrrev_b32_e32 v6, 4, v0
	v_and_b32_e32 v6, 28, v6
	ds_write_b32 v6, v2
.LBB23_8:
	s_or_b64 exec, exec, s[4:5]
	v_cmp_gt_u32_e64 s[0:1], 8, v0
	v_mov_b32_e32 v2, 0
	s_waitcnt lgkmcnt(0)
	s_barrier
	s_and_saveexec_b64 s[4:5], s[0:1]
	s_cbranch_execnz .LBB23_12
; %bb.9:
	s_or_b64 exec, exec, s[4:5]
	s_and_saveexec_b64 s[0:1], vcc
	s_cbranch_execnz .LBB23_13
.LBB23_10:
	s_or_b64 exec, exec, s[0:1]
	v_cmp_eq_u32_e32 vcc, 0, v0
	s_and_saveexec_b64 s[0:1], vcc
	s_cbranch_execnz .LBB23_14
.LBB23_11:
	s_endpgm
.LBB23_12:
	ds_read_b32 v2, v1
	s_or_b64 exec, exec, s[4:5]
	s_and_saveexec_b64 s[0:1], vcc
	s_cbranch_execz .LBB23_10
.LBB23_13:
	s_waitcnt lgkmcnt(0)
	ds_bpermute_b32 v1, v3, v2
	s_waitcnt lgkmcnt(0)
	v_add_f32_e32 v1, v2, v1
	ds_bpermute_b32 v2, v4, v1
	s_waitcnt lgkmcnt(0)
	v_add_f32_e32 v1, v1, v2
	ds_bpermute_b32 v2, v5, v1
	s_waitcnt lgkmcnt(0)
	v_add_f32_e32 v2, v1, v2
	s_or_b64 exec, exec, s[0:1]
	v_cmp_eq_u32_e32 vcc, 0, v0
	s_and_saveexec_b64 s[0:1], vcc
	s_cbranch_execz .LBB23_11
.LBB23_14:
	s_cmp_lg_u32 s16, 1
	s_mov_b64 s[0:1], -1
	s_cbranch_scc0 .LBB23_16
; %bb.15:
	s_mul_hi_u32 s1, s16, s2
	s_mul_i32 s0, s16, s2
	s_lshl_b64 s[0:1], s[0:1], 2
	s_mov_b32 s7, 0
	s_add_u32 s4, s8, s0
	s_addc_u32 s5, s9, s1
	s_lshl_b64 s[0:1], s[6:7], 2
	s_add_u32 s0, s4, s0
	s_addc_u32 s1, s5, s1
	v_mov_b32_e32 v0, 0
	s_waitcnt lgkmcnt(0)
	global_store_dword v0, v2, s[0:1]
	s_mov_b64 s[0:1], 0
.LBB23_16:
	s_andn2_b64 vcc, exec, s[0:1]
	s_cbranch_vccnz .LBB23_11
; %bb.17:
	s_lshl_b64 s[0:1], s[2:3], 2
	s_add_u32 s0, s10, s0
	s_addc_u32 s1, s11, s1
	v_mov_b32_e32 v0, 0
	s_waitcnt lgkmcnt(0)
	global_store_dword v0, v2, s[0:1]
	s_endpgm
	.section	.rodata,"a",@progbits
	.p2align	6, 0x0
	.amdhsa_kernel _ZL24rocblas_dot_kernel_magsqIiLb0ELi512ELi4ELb0EfPKffEviT5_lT_liPT6_PT4_
		.amdhsa_group_segment_fixed_size 256
		.amdhsa_private_segment_fixed_size 0
		.amdhsa_kernarg_size 320
		.amdhsa_user_sgpr_count 6
		.amdhsa_user_sgpr_private_segment_buffer 1
		.amdhsa_user_sgpr_dispatch_ptr 0
		.amdhsa_user_sgpr_queue_ptr 0
		.amdhsa_user_sgpr_kernarg_segment_ptr 1
		.amdhsa_user_sgpr_dispatch_id 0
		.amdhsa_user_sgpr_flat_scratch_init 0
		.amdhsa_user_sgpr_private_segment_size 0
		.amdhsa_uses_dynamic_stack 0
		.amdhsa_system_sgpr_private_segment_wavefront_offset 0
		.amdhsa_system_sgpr_workgroup_id_x 1
		.amdhsa_system_sgpr_workgroup_id_y 0
		.amdhsa_system_sgpr_workgroup_id_z 1
		.amdhsa_system_sgpr_workgroup_info 0
		.amdhsa_system_vgpr_workitem_id 0
		.amdhsa_next_free_vgpr 9
		.amdhsa_next_free_sgpr 24
		.amdhsa_reserve_vcc 1
		.amdhsa_reserve_flat_scratch 0
		.amdhsa_float_round_mode_32 0
		.amdhsa_float_round_mode_16_64 0
		.amdhsa_float_denorm_mode_32 3
		.amdhsa_float_denorm_mode_16_64 3
		.amdhsa_dx10_clamp 1
		.amdhsa_ieee_mode 1
		.amdhsa_fp16_overflow 0
		.amdhsa_exception_fp_ieee_invalid_op 0
		.amdhsa_exception_fp_denorm_src 0
		.amdhsa_exception_fp_ieee_div_zero 0
		.amdhsa_exception_fp_ieee_overflow 0
		.amdhsa_exception_fp_ieee_underflow 0
		.amdhsa_exception_fp_ieee_inexact 0
		.amdhsa_exception_int_div_zero 0
	.end_amdhsa_kernel
	.section	.text._ZL24rocblas_dot_kernel_magsqIiLb0ELi512ELi4ELb0EfPKffEviT5_lT_liPT6_PT4_,"axG",@progbits,_ZL24rocblas_dot_kernel_magsqIiLb0ELi512ELi4ELb0EfPKffEviT5_lT_liPT6_PT4_,comdat
.Lfunc_end23:
	.size	_ZL24rocblas_dot_kernel_magsqIiLb0ELi512ELi4ELb0EfPKffEviT5_lT_liPT6_PT4_, .Lfunc_end23-_ZL24rocblas_dot_kernel_magsqIiLb0ELi512ELi4ELb0EfPKffEviT5_lT_liPT6_PT4_
                                        ; -- End function
	.set _ZL24rocblas_dot_kernel_magsqIiLb0ELi512ELi4ELb0EfPKffEviT5_lT_liPT6_PT4_.num_vgpr, 9
	.set _ZL24rocblas_dot_kernel_magsqIiLb0ELi512ELi4ELb0EfPKffEviT5_lT_liPT6_PT4_.num_agpr, 0
	.set _ZL24rocblas_dot_kernel_magsqIiLb0ELi512ELi4ELb0EfPKffEviT5_lT_liPT6_PT4_.numbered_sgpr, 24
	.set _ZL24rocblas_dot_kernel_magsqIiLb0ELi512ELi4ELb0EfPKffEviT5_lT_liPT6_PT4_.num_named_barrier, 0
	.set _ZL24rocblas_dot_kernel_magsqIiLb0ELi512ELi4ELb0EfPKffEviT5_lT_liPT6_PT4_.private_seg_size, 0
	.set _ZL24rocblas_dot_kernel_magsqIiLb0ELi512ELi4ELb0EfPKffEviT5_lT_liPT6_PT4_.uses_vcc, 1
	.set _ZL24rocblas_dot_kernel_magsqIiLb0ELi512ELi4ELb0EfPKffEviT5_lT_liPT6_PT4_.uses_flat_scratch, 0
	.set _ZL24rocblas_dot_kernel_magsqIiLb0ELi512ELi4ELb0EfPKffEviT5_lT_liPT6_PT4_.has_dyn_sized_stack, 0
	.set _ZL24rocblas_dot_kernel_magsqIiLb0ELi512ELi4ELb0EfPKffEviT5_lT_liPT6_PT4_.has_recursion, 0
	.set _ZL24rocblas_dot_kernel_magsqIiLb0ELi512ELi4ELb0EfPKffEviT5_lT_liPT6_PT4_.has_indirect_call, 0
	.section	.AMDGPU.csdata,"",@progbits
; Kernel info:
; codeLenInByte = 852
; TotalNumSgprs: 28
; NumVgprs: 9
; ScratchSize: 0
; MemoryBound: 0
; FloatMode: 240
; IeeeMode: 1
; LDSByteSize: 256 bytes/workgroup (compile time only)
; SGPRBlocks: 3
; VGPRBlocks: 2
; NumSGPRsForWavesPerEU: 28
; NumVGPRsForWavesPerEU: 9
; Occupancy: 10
; WaveLimiterHint : 0
; COMPUTE_PGM_RSRC2:SCRATCH_EN: 0
; COMPUTE_PGM_RSRC2:USER_SGPR: 6
; COMPUTE_PGM_RSRC2:TRAP_HANDLER: 0
; COMPUTE_PGM_RSRC2:TGID_X_EN: 1
; COMPUTE_PGM_RSRC2:TGID_Y_EN: 0
; COMPUTE_PGM_RSRC2:TGID_Z_EN: 1
; COMPUTE_PGM_RSRC2:TIDIG_COMP_CNT: 0
	.section	.text._ZL28rocblas_dot_batched_4_kernelIiLi32ELi4ELb0EddPKdEviT5_lT_lS2_lS3_liPT4_,"axG",@progbits,_ZL28rocblas_dot_batched_4_kernelIiLi32ELi4ELb0EddPKdEviT5_lT_lS2_lS3_liPT4_,comdat
	.globl	_ZL28rocblas_dot_batched_4_kernelIiLi32ELi4ELb0EddPKdEviT5_lT_lS2_lS3_liPT4_ ; -- Begin function _ZL28rocblas_dot_batched_4_kernelIiLi32ELi4ELb0EddPKdEviT5_lT_lS2_lS3_liPT4_
	.p2align	8
	.type	_ZL28rocblas_dot_batched_4_kernelIiLi32ELi4ELb0EddPKdEviT5_lT_lS2_lS3_liPT4_,@function
_ZL28rocblas_dot_batched_4_kernelIiLi32ELi4ELb0EddPKdEviT5_lT_lS2_lS3_liPT4_: ; @_ZL28rocblas_dot_batched_4_kernelIiLi32ELi4ELb0EddPKdEviT5_lT_lS2_lS3_liPT4_
; %bb.0:
	s_load_dword s0, s[4:5], 0x48
	v_lshl_add_u32 v1, s6, 2, v1
	s_waitcnt lgkmcnt(0)
	v_cmp_gt_u32_e32 vcc, s0, v1
	s_and_saveexec_b64 s[0:1], vcc
	s_cbranch_execz .LBB24_7
; %bb.1:
	s_load_dword s12, s[4:5], 0x0
	s_load_dwordx2 s[6:7], s[4:5], 0x50
	v_mov_b32_e32 v3, 0
	v_mov_b32_e32 v2, 0
	;; [unrolled: 1-line block ×3, first 2 shown]
	s_waitcnt lgkmcnt(0)
	v_cmp_gt_i32_e32 vcc, s12, v0
	s_and_saveexec_b64 s[8:9], vcc
	s_cbranch_execz .LBB24_5
; %bb.2:
	s_load_dwordx4 s[0:3], s[4:5], 0x20
	s_load_dwordx4 s[16:19], s[4:5], 0x8
	s_load_dword s10, s[4:5], 0x18
	s_load_dwordx2 s[14:15], s[4:5], 0x30
	s_waitcnt lgkmcnt(0)
	v_mad_u64_u32 v[3:4], s[20:21], s0, v1, 0
	s_load_dword s0, s[4:5], 0x38
	s_load_dwordx2 s[20:21], s[4:5], 0x40
	v_mad_i64_i32 v[5:6], s[4:5], s10, v0, 0
	s_ashr_i32 s11, s10, 31
	v_mad_u64_u32 v[7:8], s[4:5], s1, v1, v[4:5]
	v_lshlrev_b64 v[5:6], 3, v[5:6]
	s_waitcnt lgkmcnt(0)
	s_ashr_i32 s1, s0, 31
	v_mov_b32_e32 v4, v7
	v_lshlrev_b64 v[3:4], 3, v[3:4]
	s_lshl_b64 s[4:5], s[18:19], 3
	v_add_co_u32_e32 v9, vcc, v5, v3
	s_add_u32 s13, s16, s4
	v_addc_co_u32_e32 v6, vcc, v6, v4, vcc
	s_addc_u32 s16, s17, s5
	v_mad_u64_u32 v[3:4], s[4:5], s20, v1, 0
	v_mad_i64_i32 v[7:8], s[4:5], s0, v0, 0
	v_mad_u64_u32 v[4:5], s[4:5], s21, v1, v[4:5]
	v_mov_b32_e32 v10, s16
	v_add_co_u32_e32 v5, vcc, s13, v9
	v_lshlrev_b64 v[7:8], 3, v[7:8]
	v_lshlrev_b64 v[3:4], 3, v[3:4]
	v_addc_co_u32_e32 v6, vcc, v10, v6, vcc
	s_lshl_b64 s[4:5], s[10:11], 8
	s_lshl_b64 s[10:11], s[14:15], 3
	v_add_co_u32_e32 v3, vcc, v7, v3
	s_add_u32 s2, s2, s10
	v_addc_co_u32_e32 v4, vcc, v8, v4, vcc
	s_addc_u32 s3, s3, s11
	v_mov_b32_e32 v8, s3
	v_add_co_u32_e32 v7, vcc, s2, v3
	v_addc_co_u32_e32 v8, vcc, v8, v4, vcc
	v_mov_b32_e32 v3, 0
	s_lshl_b64 s[2:3], s[0:1], 8
	v_mov_b32_e32 v4, 0
	s_mov_b64 s[10:11], 0
	v_mov_b32_e32 v9, v0
.LBB24_3:                               ; =>This Inner Loop Header: Depth=1
	global_load_dwordx2 v[10:11], v[5:6], off
	global_load_dwordx2 v[12:13], v[7:8], off
	v_mov_b32_e32 v14, s5
	v_add_co_u32_e64 v5, s[0:1], s4, v5
	v_add_u32_e32 v9, 32, v9
	v_addc_co_u32_e64 v6, s[0:1], v6, v14, s[0:1]
	v_mov_b32_e32 v15, s3
	v_add_co_u32_e32 v7, vcc, s2, v7
	v_cmp_le_i32_e64 s[0:1], s12, v9
	s_or_b64 s[10:11], s[0:1], s[10:11]
	v_addc_co_u32_e32 v8, vcc, v8, v15, vcc
	s_waitcnt vmcnt(0)
	v_fma_f64 v[3:4], v[10:11], v[12:13], v[3:4]
	s_andn2_b64 exec, exec, s[10:11]
	s_cbranch_execnz .LBB24_3
; %bb.4:
	s_or_b64 exec, exec, s[10:11]
.LBB24_5:
	s_or_b64 exec, exec, s[8:9]
	v_mbcnt_lo_u32_b32 v5, -1, 0
	v_mbcnt_hi_u32_b32 v7, -1, v5
	v_and_b32_e32 v8, 63, v7
	v_cmp_gt_u32_e32 vcc, 48, v8
	v_cndmask_b32_e64 v5, 0, 16, vcc
	v_add_lshl_u32 v6, v5, v7, 2
	ds_bpermute_b32 v5, v6, v3
	ds_bpermute_b32 v6, v6, v4
	v_cmp_gt_u32_e32 vcc, 56, v8
	s_waitcnt lgkmcnt(0)
	s_barrier
	v_add_f64 v[3:4], v[3:4], v[5:6]
	v_cndmask_b32_e64 v5, 0, 8, vcc
	v_add_lshl_u32 v6, v5, v7, 2
	v_cmp_gt_u32_e32 vcc, 60, v8
	ds_bpermute_b32 v5, v6, v3
	ds_bpermute_b32 v6, v6, v4
	s_waitcnt lgkmcnt(0)
	v_add_f64 v[3:4], v[3:4], v[5:6]
	v_cndmask_b32_e64 v5, 0, 4, vcc
	v_add_lshl_u32 v6, v5, v7, 2
	v_cmp_gt_u32_e32 vcc, 62, v8
	ds_bpermute_b32 v5, v6, v3
	ds_bpermute_b32 v6, v6, v4
	s_waitcnt lgkmcnt(0)
	v_add_f64 v[3:4], v[3:4], v[5:6]
	v_cndmask_b32_e64 v5, 0, 2, vcc
	v_add_lshl_u32 v6, v5, v7, 2
	v_cmp_ne_u32_e32 vcc, 63, v8
	ds_bpermute_b32 v5, v6, v3
	ds_bpermute_b32 v6, v6, v4
	s_waitcnt lgkmcnt(0)
	v_add_f64 v[3:4], v[3:4], v[5:6]
	v_addc_co_u32_e32 v5, vcc, 0, v7, vcc
	v_lshlrev_b32_e32 v6, 2, v5
	v_cmp_eq_u32_e32 vcc, 0, v0
	ds_bpermute_b32 v5, v6, v3
	ds_bpermute_b32 v6, v6, v4
	s_and_b64 exec, exec, vcc
	s_cbranch_execz .LBB24_7
; %bb.6:
	s_waitcnt lgkmcnt(0)
	v_add_f64 v[3:4], v[3:4], v[5:6]
	v_lshlrev_b64 v[0:1], 3, v[1:2]
	v_mov_b32_e32 v2, s7
	v_add_co_u32_e32 v0, vcc, s6, v0
	v_addc_co_u32_e32 v1, vcc, v2, v1, vcc
	global_store_dwordx2 v[0:1], v[3:4], off
.LBB24_7:
	s_endpgm
	.section	.rodata,"a",@progbits
	.p2align	6, 0x0
	.amdhsa_kernel _ZL28rocblas_dot_batched_4_kernelIiLi32ELi4ELb0EddPKdEviT5_lT_lS2_lS3_liPT4_
		.amdhsa_group_segment_fixed_size 0
		.amdhsa_private_segment_fixed_size 0
		.amdhsa_kernarg_size 88
		.amdhsa_user_sgpr_count 6
		.amdhsa_user_sgpr_private_segment_buffer 1
		.amdhsa_user_sgpr_dispatch_ptr 0
		.amdhsa_user_sgpr_queue_ptr 0
		.amdhsa_user_sgpr_kernarg_segment_ptr 1
		.amdhsa_user_sgpr_dispatch_id 0
		.amdhsa_user_sgpr_flat_scratch_init 0
		.amdhsa_user_sgpr_private_segment_size 0
		.amdhsa_uses_dynamic_stack 0
		.amdhsa_system_sgpr_private_segment_wavefront_offset 0
		.amdhsa_system_sgpr_workgroup_id_x 1
		.amdhsa_system_sgpr_workgroup_id_y 0
		.amdhsa_system_sgpr_workgroup_id_z 0
		.amdhsa_system_sgpr_workgroup_info 0
		.amdhsa_system_vgpr_workitem_id 1
		.amdhsa_next_free_vgpr 16
		.amdhsa_next_free_sgpr 22
		.amdhsa_reserve_vcc 1
		.amdhsa_reserve_flat_scratch 0
		.amdhsa_float_round_mode_32 0
		.amdhsa_float_round_mode_16_64 0
		.amdhsa_float_denorm_mode_32 3
		.amdhsa_float_denorm_mode_16_64 3
		.amdhsa_dx10_clamp 1
		.amdhsa_ieee_mode 1
		.amdhsa_fp16_overflow 0
		.amdhsa_exception_fp_ieee_invalid_op 0
		.amdhsa_exception_fp_denorm_src 0
		.amdhsa_exception_fp_ieee_div_zero 0
		.amdhsa_exception_fp_ieee_overflow 0
		.amdhsa_exception_fp_ieee_underflow 0
		.amdhsa_exception_fp_ieee_inexact 0
		.amdhsa_exception_int_div_zero 0
	.end_amdhsa_kernel
	.section	.text._ZL28rocblas_dot_batched_4_kernelIiLi32ELi4ELb0EddPKdEviT5_lT_lS2_lS3_liPT4_,"axG",@progbits,_ZL28rocblas_dot_batched_4_kernelIiLi32ELi4ELb0EddPKdEviT5_lT_lS2_lS3_liPT4_,comdat
.Lfunc_end24:
	.size	_ZL28rocblas_dot_batched_4_kernelIiLi32ELi4ELb0EddPKdEviT5_lT_lS2_lS3_liPT4_, .Lfunc_end24-_ZL28rocblas_dot_batched_4_kernelIiLi32ELi4ELb0EddPKdEviT5_lT_lS2_lS3_liPT4_
                                        ; -- End function
	.set _ZL28rocblas_dot_batched_4_kernelIiLi32ELi4ELb0EddPKdEviT5_lT_lS2_lS3_liPT4_.num_vgpr, 16
	.set _ZL28rocblas_dot_batched_4_kernelIiLi32ELi4ELb0EddPKdEviT5_lT_lS2_lS3_liPT4_.num_agpr, 0
	.set _ZL28rocblas_dot_batched_4_kernelIiLi32ELi4ELb0EddPKdEviT5_lT_lS2_lS3_liPT4_.numbered_sgpr, 22
	.set _ZL28rocblas_dot_batched_4_kernelIiLi32ELi4ELb0EddPKdEviT5_lT_lS2_lS3_liPT4_.num_named_barrier, 0
	.set _ZL28rocblas_dot_batched_4_kernelIiLi32ELi4ELb0EddPKdEviT5_lT_lS2_lS3_liPT4_.private_seg_size, 0
	.set _ZL28rocblas_dot_batched_4_kernelIiLi32ELi4ELb0EddPKdEviT5_lT_lS2_lS3_liPT4_.uses_vcc, 1
	.set _ZL28rocblas_dot_batched_4_kernelIiLi32ELi4ELb0EddPKdEviT5_lT_lS2_lS3_liPT4_.uses_flat_scratch, 0
	.set _ZL28rocblas_dot_batched_4_kernelIiLi32ELi4ELb0EddPKdEviT5_lT_lS2_lS3_liPT4_.has_dyn_sized_stack, 0
	.set _ZL28rocblas_dot_batched_4_kernelIiLi32ELi4ELb0EddPKdEviT5_lT_lS2_lS3_liPT4_.has_recursion, 0
	.set _ZL28rocblas_dot_batched_4_kernelIiLi32ELi4ELb0EddPKdEviT5_lT_lS2_lS3_liPT4_.has_indirect_call, 0
	.section	.AMDGPU.csdata,"",@progbits
; Kernel info:
; codeLenInByte = 704
; TotalNumSgprs: 26
; NumVgprs: 16
; ScratchSize: 0
; MemoryBound: 0
; FloatMode: 240
; IeeeMode: 1
; LDSByteSize: 0 bytes/workgroup (compile time only)
; SGPRBlocks: 3
; VGPRBlocks: 3
; NumSGPRsForWavesPerEU: 26
; NumVGPRsForWavesPerEU: 16
; Occupancy: 10
; WaveLimiterHint : 0
; COMPUTE_PGM_RSRC2:SCRATCH_EN: 0
; COMPUTE_PGM_RSRC2:USER_SGPR: 6
; COMPUTE_PGM_RSRC2:TRAP_HANDLER: 0
; COMPUTE_PGM_RSRC2:TGID_X_EN: 1
; COMPUTE_PGM_RSRC2:TGID_Y_EN: 0
; COMPUTE_PGM_RSRC2:TGID_Z_EN: 0
; COMPUTE_PGM_RSRC2:TIDIG_COMP_CNT: 1
	.section	.text._ZL28rocblas_dot_batched_4_kernelIiLi64ELi4ELb0EddPKdEviT5_lT_lS2_lS3_liPT4_,"axG",@progbits,_ZL28rocblas_dot_batched_4_kernelIiLi64ELi4ELb0EddPKdEviT5_lT_lS2_lS3_liPT4_,comdat
	.globl	_ZL28rocblas_dot_batched_4_kernelIiLi64ELi4ELb0EddPKdEviT5_lT_lS2_lS3_liPT4_ ; -- Begin function _ZL28rocblas_dot_batched_4_kernelIiLi64ELi4ELb0EddPKdEviT5_lT_lS2_lS3_liPT4_
	.p2align	8
	.type	_ZL28rocblas_dot_batched_4_kernelIiLi64ELi4ELb0EddPKdEviT5_lT_lS2_lS3_liPT4_,@function
_ZL28rocblas_dot_batched_4_kernelIiLi64ELi4ELb0EddPKdEviT5_lT_lS2_lS3_liPT4_: ; @_ZL28rocblas_dot_batched_4_kernelIiLi64ELi4ELb0EddPKdEviT5_lT_lS2_lS3_liPT4_
; %bb.0:
	s_load_dword s0, s[4:5], 0x48
	v_lshl_add_u32 v1, s6, 2, v1
	s_waitcnt lgkmcnt(0)
	v_cmp_gt_u32_e32 vcc, s0, v1
	s_and_saveexec_b64 s[0:1], vcc
	s_cbranch_execz .LBB25_7
; %bb.1:
	s_load_dword s12, s[4:5], 0x0
	s_load_dwordx2 s[6:7], s[4:5], 0x50
	v_mov_b32_e32 v3, 0
	v_mov_b32_e32 v2, 0
	;; [unrolled: 1-line block ×3, first 2 shown]
	s_waitcnt lgkmcnt(0)
	v_cmp_gt_i32_e32 vcc, s12, v0
	s_and_saveexec_b64 s[8:9], vcc
	s_cbranch_execz .LBB25_5
; %bb.2:
	s_load_dwordx4 s[0:3], s[4:5], 0x20
	s_load_dwordx4 s[16:19], s[4:5], 0x8
	s_load_dword s10, s[4:5], 0x18
	s_load_dwordx2 s[14:15], s[4:5], 0x30
	s_waitcnt lgkmcnt(0)
	v_mad_u64_u32 v[3:4], s[20:21], s0, v1, 0
	s_load_dword s0, s[4:5], 0x38
	s_load_dwordx2 s[20:21], s[4:5], 0x40
	v_mad_i64_i32 v[5:6], s[4:5], s10, v0, 0
	s_ashr_i32 s11, s10, 31
	v_mad_u64_u32 v[7:8], s[4:5], s1, v1, v[4:5]
	v_lshlrev_b64 v[5:6], 3, v[5:6]
	s_waitcnt lgkmcnt(0)
	s_ashr_i32 s1, s0, 31
	v_mov_b32_e32 v4, v7
	v_lshlrev_b64 v[3:4], 3, v[3:4]
	s_lshl_b64 s[4:5], s[18:19], 3
	v_add_co_u32_e32 v9, vcc, v5, v3
	s_add_u32 s13, s16, s4
	v_addc_co_u32_e32 v6, vcc, v6, v4, vcc
	s_addc_u32 s16, s17, s5
	v_mad_u64_u32 v[3:4], s[4:5], s20, v1, 0
	v_mad_i64_i32 v[7:8], s[4:5], s0, v0, 0
	v_mad_u64_u32 v[4:5], s[4:5], s21, v1, v[4:5]
	v_mov_b32_e32 v10, s16
	v_add_co_u32_e32 v5, vcc, s13, v9
	v_lshlrev_b64 v[7:8], 3, v[7:8]
	v_lshlrev_b64 v[3:4], 3, v[3:4]
	v_addc_co_u32_e32 v6, vcc, v10, v6, vcc
	s_lshl_b64 s[4:5], s[10:11], 9
	s_lshl_b64 s[10:11], s[14:15], 3
	v_add_co_u32_e32 v3, vcc, v7, v3
	s_add_u32 s2, s2, s10
	v_addc_co_u32_e32 v4, vcc, v8, v4, vcc
	s_addc_u32 s3, s3, s11
	v_mov_b32_e32 v8, s3
	v_add_co_u32_e32 v7, vcc, s2, v3
	v_addc_co_u32_e32 v8, vcc, v8, v4, vcc
	v_mov_b32_e32 v3, 0
	s_lshl_b64 s[2:3], s[0:1], 9
	v_mov_b32_e32 v4, 0
	s_mov_b64 s[10:11], 0
	v_mov_b32_e32 v9, v0
.LBB25_3:                               ; =>This Inner Loop Header: Depth=1
	global_load_dwordx2 v[10:11], v[5:6], off
	global_load_dwordx2 v[12:13], v[7:8], off
	v_mov_b32_e32 v14, s5
	v_add_co_u32_e64 v5, s[0:1], s4, v5
	v_add_u32_e32 v9, 64, v9
	v_addc_co_u32_e64 v6, s[0:1], v6, v14, s[0:1]
	v_mov_b32_e32 v15, s3
	v_add_co_u32_e32 v7, vcc, s2, v7
	v_cmp_le_i32_e64 s[0:1], s12, v9
	s_or_b64 s[10:11], s[0:1], s[10:11]
	v_addc_co_u32_e32 v8, vcc, v8, v15, vcc
	s_waitcnt vmcnt(0)
	v_fma_f64 v[3:4], v[10:11], v[12:13], v[3:4]
	s_andn2_b64 exec, exec, s[10:11]
	s_cbranch_execnz .LBB25_3
; %bb.4:
	s_or_b64 exec, exec, s[10:11]
.LBB25_5:
	s_or_b64 exec, exec, s[8:9]
	v_mbcnt_lo_u32_b32 v5, -1, 0
	v_mbcnt_hi_u32_b32 v7, -1, v5
	v_mov_b32_e32 v5, 0x80
	v_lshl_or_b32 v6, v7, 2, v5
	ds_bpermute_b32 v5, v6, v3
	ds_bpermute_b32 v6, v6, v4
	v_and_b32_e32 v8, 63, v7
	v_cmp_gt_u32_e32 vcc, 48, v8
	s_waitcnt lgkmcnt(0)
	s_barrier
	v_add_f64 v[3:4], v[3:4], v[5:6]
	v_cndmask_b32_e64 v5, 0, 16, vcc
	v_add_lshl_u32 v6, v5, v7, 2
	v_cmp_gt_u32_e32 vcc, 56, v8
	ds_bpermute_b32 v5, v6, v3
	ds_bpermute_b32 v6, v6, v4
	s_waitcnt lgkmcnt(0)
	v_add_f64 v[3:4], v[3:4], v[5:6]
	v_cndmask_b32_e64 v5, 0, 8, vcc
	v_add_lshl_u32 v6, v5, v7, 2
	v_cmp_gt_u32_e32 vcc, 60, v8
	ds_bpermute_b32 v5, v6, v3
	ds_bpermute_b32 v6, v6, v4
	s_waitcnt lgkmcnt(0)
	;; [unrolled: 7-line block ×3, first 2 shown]
	v_add_f64 v[3:4], v[3:4], v[5:6]
	v_cndmask_b32_e64 v5, 0, 2, vcc
	v_add_lshl_u32 v6, v5, v7, 2
	v_cmp_ne_u32_e32 vcc, 63, v8
	ds_bpermute_b32 v5, v6, v3
	ds_bpermute_b32 v6, v6, v4
	s_waitcnt lgkmcnt(0)
	v_add_f64 v[3:4], v[3:4], v[5:6]
	v_addc_co_u32_e32 v5, vcc, 0, v7, vcc
	v_lshlrev_b32_e32 v6, 2, v5
	v_cmp_eq_u32_e32 vcc, 0, v0
	ds_bpermute_b32 v5, v6, v3
	ds_bpermute_b32 v6, v6, v4
	s_and_b64 exec, exec, vcc
	s_cbranch_execz .LBB25_7
; %bb.6:
	s_waitcnt lgkmcnt(0)
	v_add_f64 v[3:4], v[3:4], v[5:6]
	v_lshlrev_b64 v[0:1], 3, v[1:2]
	v_mov_b32_e32 v2, s7
	v_add_co_u32_e32 v0, vcc, s6, v0
	v_addc_co_u32_e32 v1, vcc, v2, v1, vcc
	global_store_dwordx2 v[0:1], v[3:4], off
.LBB25_7:
	s_endpgm
	.section	.rodata,"a",@progbits
	.p2align	6, 0x0
	.amdhsa_kernel _ZL28rocblas_dot_batched_4_kernelIiLi64ELi4ELb0EddPKdEviT5_lT_lS2_lS3_liPT4_
		.amdhsa_group_segment_fixed_size 0
		.amdhsa_private_segment_fixed_size 0
		.amdhsa_kernarg_size 88
		.amdhsa_user_sgpr_count 6
		.amdhsa_user_sgpr_private_segment_buffer 1
		.amdhsa_user_sgpr_dispatch_ptr 0
		.amdhsa_user_sgpr_queue_ptr 0
		.amdhsa_user_sgpr_kernarg_segment_ptr 1
		.amdhsa_user_sgpr_dispatch_id 0
		.amdhsa_user_sgpr_flat_scratch_init 0
		.amdhsa_user_sgpr_private_segment_size 0
		.amdhsa_uses_dynamic_stack 0
		.amdhsa_system_sgpr_private_segment_wavefront_offset 0
		.amdhsa_system_sgpr_workgroup_id_x 1
		.amdhsa_system_sgpr_workgroup_id_y 0
		.amdhsa_system_sgpr_workgroup_id_z 0
		.amdhsa_system_sgpr_workgroup_info 0
		.amdhsa_system_vgpr_workitem_id 1
		.amdhsa_next_free_vgpr 16
		.amdhsa_next_free_sgpr 22
		.amdhsa_reserve_vcc 1
		.amdhsa_reserve_flat_scratch 0
		.amdhsa_float_round_mode_32 0
		.amdhsa_float_round_mode_16_64 0
		.amdhsa_float_denorm_mode_32 3
		.amdhsa_float_denorm_mode_16_64 3
		.amdhsa_dx10_clamp 1
		.amdhsa_ieee_mode 1
		.amdhsa_fp16_overflow 0
		.amdhsa_exception_fp_ieee_invalid_op 0
		.amdhsa_exception_fp_denorm_src 0
		.amdhsa_exception_fp_ieee_div_zero 0
		.amdhsa_exception_fp_ieee_overflow 0
		.amdhsa_exception_fp_ieee_underflow 0
		.amdhsa_exception_fp_ieee_inexact 0
		.amdhsa_exception_int_div_zero 0
	.end_amdhsa_kernel
	.section	.text._ZL28rocblas_dot_batched_4_kernelIiLi64ELi4ELb0EddPKdEviT5_lT_lS2_lS3_liPT4_,"axG",@progbits,_ZL28rocblas_dot_batched_4_kernelIiLi64ELi4ELb0EddPKdEviT5_lT_lS2_lS3_liPT4_,comdat
.Lfunc_end25:
	.size	_ZL28rocblas_dot_batched_4_kernelIiLi64ELi4ELb0EddPKdEviT5_lT_lS2_lS3_liPT4_, .Lfunc_end25-_ZL28rocblas_dot_batched_4_kernelIiLi64ELi4ELb0EddPKdEviT5_lT_lS2_lS3_liPT4_
                                        ; -- End function
	.set _ZL28rocblas_dot_batched_4_kernelIiLi64ELi4ELb0EddPKdEviT5_lT_lS2_lS3_liPT4_.num_vgpr, 16
	.set _ZL28rocblas_dot_batched_4_kernelIiLi64ELi4ELb0EddPKdEviT5_lT_lS2_lS3_liPT4_.num_agpr, 0
	.set _ZL28rocblas_dot_batched_4_kernelIiLi64ELi4ELb0EddPKdEviT5_lT_lS2_lS3_liPT4_.numbered_sgpr, 22
	.set _ZL28rocblas_dot_batched_4_kernelIiLi64ELi4ELb0EddPKdEviT5_lT_lS2_lS3_liPT4_.num_named_barrier, 0
	.set _ZL28rocblas_dot_batched_4_kernelIiLi64ELi4ELb0EddPKdEviT5_lT_lS2_lS3_liPT4_.private_seg_size, 0
	.set _ZL28rocblas_dot_batched_4_kernelIiLi64ELi4ELb0EddPKdEviT5_lT_lS2_lS3_liPT4_.uses_vcc, 1
	.set _ZL28rocblas_dot_batched_4_kernelIiLi64ELi4ELb0EddPKdEviT5_lT_lS2_lS3_liPT4_.uses_flat_scratch, 0
	.set _ZL28rocblas_dot_batched_4_kernelIiLi64ELi4ELb0EddPKdEviT5_lT_lS2_lS3_liPT4_.has_dyn_sized_stack, 0
	.set _ZL28rocblas_dot_batched_4_kernelIiLi64ELi4ELb0EddPKdEviT5_lT_lS2_lS3_liPT4_.has_recursion, 0
	.set _ZL28rocblas_dot_batched_4_kernelIiLi64ELi4ELb0EddPKdEviT5_lT_lS2_lS3_liPT4_.has_indirect_call, 0
	.section	.AMDGPU.csdata,"",@progbits
; Kernel info:
; codeLenInByte = 748
; TotalNumSgprs: 26
; NumVgprs: 16
; ScratchSize: 0
; MemoryBound: 0
; FloatMode: 240
; IeeeMode: 1
; LDSByteSize: 0 bytes/workgroup (compile time only)
; SGPRBlocks: 3
; VGPRBlocks: 3
; NumSGPRsForWavesPerEU: 26
; NumVGPRsForWavesPerEU: 16
; Occupancy: 10
; WaveLimiterHint : 0
; COMPUTE_PGM_RSRC2:SCRATCH_EN: 0
; COMPUTE_PGM_RSRC2:USER_SGPR: 6
; COMPUTE_PGM_RSRC2:TRAP_HANDLER: 0
; COMPUTE_PGM_RSRC2:TGID_X_EN: 1
; COMPUTE_PGM_RSRC2:TGID_Y_EN: 0
; COMPUTE_PGM_RSRC2:TGID_Z_EN: 0
; COMPUTE_PGM_RSRC2:TIDIG_COMP_CNT: 1
	.section	.text._ZL26rocblas_dot_kernel_inc1by2ILb1ELi1024ELi32ELb0EdPKddEviT4_llS2_lliPT5_PT3_,"axG",@progbits,_ZL26rocblas_dot_kernel_inc1by2ILb1ELi1024ELi32ELb0EdPKddEviT4_llS2_lliPT5_PT3_,comdat
	.globl	_ZL26rocblas_dot_kernel_inc1by2ILb1ELi1024ELi32ELb0EdPKddEviT4_llS2_lliPT5_PT3_ ; -- Begin function _ZL26rocblas_dot_kernel_inc1by2ILb1ELi1024ELi32ELb0EdPKddEviT4_llS2_lliPT5_PT3_
	.p2align	8
	.type	_ZL26rocblas_dot_kernel_inc1by2ILb1ELi1024ELi32ELb0EdPKddEviT4_llS2_lliPT5_PT3_,@function
_ZL26rocblas_dot_kernel_inc1by2ILb1ELi1024ELi32ELb0EdPKddEviT4_llS2_lliPT5_PT3_: ; @_ZL26rocblas_dot_kernel_inc1by2ILb1ELi1024ELi32ELb0EdPKddEviT4_llS2_lliPT5_PT3_
; %bb.0:
	s_mov_b32 s2, s7
	s_load_dword s10, s[4:5], 0x0
	s_load_dwordx2 s[6:7], s[4:5], 0x48
	v_mov_b32_e32 v1, 0
	s_mov_b32 s3, 0
	v_mov_b32_e32 v2, 0
	s_waitcnt lgkmcnt(0)
	v_cmp_gt_i32_e32 vcc, s10, v0
	s_and_saveexec_b64 s[8:9], vcc
	s_cbranch_execz .LBB26_4
; %bb.1:
	s_load_dwordx4 s[12:15], s[4:5], 0x28
	s_load_dwordx2 s[0:1], s[4:5], 0x20
	s_load_dwordx2 s[20:21], s[4:5], 0x8
	s_load_dwordx4 s[16:19], s[4:5], 0x10
	v_lshlrev_b32_e32 v1, 3, v0
	s_waitcnt lgkmcnt(0)
	s_mul_i32 s4, s15, s2
	s_mul_hi_u32 s5, s14, s2
	s_add_i32 s5, s5, s4
	s_mul_i32 s4, s14, s2
	s_lshl_b64 s[4:5], s[4:5], 3
	s_lshl_b64 s[12:13], s[12:13], 3
	s_add_u32 s4, s4, s12
	s_addc_u32 s5, s5, s13
	s_add_u32 s0, s0, s4
	s_addc_u32 s1, s1, s5
	v_mov_b32_e32 v2, s1
	v_add_co_u32_e32 v3, vcc, s0, v1
	s_mul_i32 s0, s19, s2
	s_mul_hi_u32 s1, s18, s2
	s_add_i32 s1, s1, s0
	s_mul_i32 s0, s18, s2
	s_lshl_b64 s[0:1], s[0:1], 3
	s_lshl_b64 s[4:5], s[16:17], 3
	s_add_u32 s0, s0, s4
	s_addc_u32 s1, s1, s5
	s_add_u32 s0, s20, s0
	v_addc_co_u32_e32 v4, vcc, 0, v2, vcc
	s_addc_u32 s1, s21, s1
	v_mov_b32_e32 v2, s1
	v_add_co_u32_e32 v5, vcc, s0, v1
	v_addc_co_u32_e32 v6, vcc, 0, v2, vcc
	v_mov_b32_e32 v1, 0
	v_or_b32_e32 v7, 0x400, v0
	v_mov_b32_e32 v2, 0
	s_mov_b64 s[4:5], 0
	s_mov_b32 s11, s3
.LBB26_2:                               ; =>This Inner Loop Header: Depth=1
	global_load_dwordx2 v[8:9], v[3:4], off
	global_load_dwordx2 v[10:11], v[5:6], off
	s_add_i32 s12, s11, 1
	s_cmp_gt_u32 s11, 30
	v_cmp_le_i32_e64 s[0:1], s10, v7
	v_add_co_u32_e32 v3, vcc, 0x2000, v3
	s_mov_b32 s11, s12
	s_cselect_b64 s[12:13], -1, 0
	v_addc_co_u32_e32 v4, vcc, 0, v4, vcc
	s_or_b64 s[0:1], s[12:13], s[0:1]
	v_add_co_u32_e32 v5, vcc, 0x2000, v5
	s_and_b64 s[0:1], exec, s[0:1]
	v_add_u32_e32 v7, 0x400, v7
	s_or_b64 s[4:5], s[0:1], s[4:5]
	v_addc_co_u32_e32 v6, vcc, 0, v6, vcc
	s_waitcnt vmcnt(0)
	v_fma_f64 v[1:2], v[8:9], v[10:11], v[1:2]
	s_andn2_b64 exec, exec, s[4:5]
	s_cbranch_execnz .LBB26_2
; %bb.3:
	s_or_b64 exec, exec, s[4:5]
.LBB26_4:
	s_or_b64 exec, exec, s[8:9]
	v_and_b32_e32 v8, 63, v0
	v_cmp_gt_u32_e32 vcc, 64, v0
	v_lshlrev_b32_e32 v5, 3, v8
	s_and_saveexec_b64 s[0:1], vcc
; %bb.5:
	v_mov_b32_e32 v3, 0
	v_mov_b32_e32 v4, v3
	ds_write_b64 v5, v[3:4]
; %bb.6:
	s_or_b64 exec, exec, s[0:1]
	v_mbcnt_lo_u32_b32 v3, -1, 0
	v_mbcnt_hi_u32_b32 v10, -1, v3
	v_mov_b32_e32 v3, 0x80
	v_lshl_or_b32 v4, v10, 2, v3
	ds_bpermute_b32 v3, v4, v1
	ds_bpermute_b32 v4, v4, v2
	v_and_b32_e32 v11, 63, v10
	v_cmp_gt_u32_e64 s[0:1], 48, v11
	s_waitcnt lgkmcnt(0)
	s_barrier
	v_add_f64 v[1:2], v[1:2], v[3:4]
	v_cndmask_b32_e64 v3, 0, 16, s[0:1]
	v_add_lshl_u32 v4, v3, v10, 2
	v_cmp_gt_u32_e64 s[0:1], 56, v11
	ds_bpermute_b32 v3, v4, v1
	ds_bpermute_b32 v4, v4, v2
	s_waitcnt lgkmcnt(0)
	v_add_f64 v[1:2], v[1:2], v[3:4]
	v_cndmask_b32_e64 v3, 0, 8, s[0:1]
	v_add_lshl_u32 v6, v3, v10, 2
	v_cmp_gt_u32_e64 s[0:1], 60, v11
	ds_bpermute_b32 v3, v6, v1
	ds_bpermute_b32 v4, v6, v2
	s_waitcnt lgkmcnt(0)
	;; [unrolled: 7-line block ×3, first 2 shown]
	v_add_f64 v[1:2], v[1:2], v[3:4]
	v_cndmask_b32_e64 v3, 0, 2, s[0:1]
	v_add_lshl_u32 v9, v3, v10, 2
	v_cmp_ne_u32_e64 s[0:1], 63, v11
	ds_bpermute_b32 v3, v9, v1
	ds_bpermute_b32 v4, v9, v2
	s_waitcnt lgkmcnt(0)
	v_add_f64 v[1:2], v[1:2], v[3:4]
	v_addc_co_u32_e64 v3, s[0:1], 0, v10, s[0:1]
	v_lshlrev_b32_e32 v10, 2, v3
	v_cmp_eq_u32_e64 s[0:1], 0, v8
	ds_bpermute_b32 v3, v10, v1
	ds_bpermute_b32 v4, v10, v2
	s_and_saveexec_b64 s[4:5], s[0:1]
	s_cbranch_execz .LBB26_8
; %bb.7:
	s_waitcnt lgkmcnt(0)
	v_add_f64 v[1:2], v[1:2], v[3:4]
	v_lshrrev_b32_e32 v3, 3, v0
	v_and_b32_e32 v3, 0x78, v3
	ds_write_b64 v3, v[1:2]
.LBB26_8:
	s_or_b64 exec, exec, s[4:5]
	v_mov_b32_e32 v1, 0
	v_mov_b32_e32 v2, 0
	v_cmp_gt_u32_e64 s[0:1], 16, v0
	s_waitcnt lgkmcnt(0)
	s_barrier
	s_and_saveexec_b64 s[4:5], s[0:1]
	s_cbranch_execnz .LBB26_12
; %bb.9:
	s_or_b64 exec, exec, s[4:5]
	s_and_saveexec_b64 s[0:1], vcc
	s_cbranch_execnz .LBB26_13
.LBB26_10:
	s_or_b64 exec, exec, s[0:1]
	v_cmp_eq_u32_e32 vcc, 0, v0
	s_and_saveexec_b64 s[0:1], vcc
	s_cbranch_execnz .LBB26_14
.LBB26_11:
	s_endpgm
.LBB26_12:
	ds_read_b64 v[1:2], v5
	s_or_b64 exec, exec, s[4:5]
	s_and_saveexec_b64 s[0:1], vcc
	s_cbranch_execz .LBB26_10
.LBB26_13:
	s_waitcnt lgkmcnt(0)
	ds_bpermute_b32 v3, v6, v1
	ds_bpermute_b32 v4, v6, v2
	s_waitcnt lgkmcnt(0)
	v_add_f64 v[1:2], v[1:2], v[3:4]
	ds_bpermute_b32 v3, v7, v1
	ds_bpermute_b32 v4, v7, v2
	s_waitcnt lgkmcnt(0)
	v_add_f64 v[1:2], v[1:2], v[3:4]
	;; [unrolled: 4-line block ×4, first 2 shown]
	s_or_b64 exec, exec, s[0:1]
	v_cmp_eq_u32_e32 vcc, 0, v0
	s_and_saveexec_b64 s[0:1], vcc
	s_cbranch_execz .LBB26_11
.LBB26_14:
	s_lshl_b64 s[0:1], s[2:3], 3
	s_add_u32 s0, s6, s0
	s_addc_u32 s1, s7, s1
	v_mov_b32_e32 v0, 0
	s_waitcnt lgkmcnt(0)
	global_store_dwordx2 v0, v[1:2], s[0:1]
	s_endpgm
	.section	.rodata,"a",@progbits
	.p2align	6, 0x0
	.amdhsa_kernel _ZL26rocblas_dot_kernel_inc1by2ILb1ELi1024ELi32ELb0EdPKddEviT4_llS2_lliPT5_PT3_
		.amdhsa_group_segment_fixed_size 512
		.amdhsa_private_segment_fixed_size 0
		.amdhsa_kernarg_size 80
		.amdhsa_user_sgpr_count 6
		.amdhsa_user_sgpr_private_segment_buffer 1
		.amdhsa_user_sgpr_dispatch_ptr 0
		.amdhsa_user_sgpr_queue_ptr 0
		.amdhsa_user_sgpr_kernarg_segment_ptr 1
		.amdhsa_user_sgpr_dispatch_id 0
		.amdhsa_user_sgpr_flat_scratch_init 0
		.amdhsa_user_sgpr_private_segment_size 0
		.amdhsa_uses_dynamic_stack 0
		.amdhsa_system_sgpr_private_segment_wavefront_offset 0
		.amdhsa_system_sgpr_workgroup_id_x 1
		.amdhsa_system_sgpr_workgroup_id_y 0
		.amdhsa_system_sgpr_workgroup_id_z 1
		.amdhsa_system_sgpr_workgroup_info 0
		.amdhsa_system_vgpr_workitem_id 0
		.amdhsa_next_free_vgpr 12
		.amdhsa_next_free_sgpr 22
		.amdhsa_reserve_vcc 1
		.amdhsa_reserve_flat_scratch 0
		.amdhsa_float_round_mode_32 0
		.amdhsa_float_round_mode_16_64 0
		.amdhsa_float_denorm_mode_32 3
		.amdhsa_float_denorm_mode_16_64 3
		.amdhsa_dx10_clamp 1
		.amdhsa_ieee_mode 1
		.amdhsa_fp16_overflow 0
		.amdhsa_exception_fp_ieee_invalid_op 0
		.amdhsa_exception_fp_denorm_src 0
		.amdhsa_exception_fp_ieee_div_zero 0
		.amdhsa_exception_fp_ieee_overflow 0
		.amdhsa_exception_fp_ieee_underflow 0
		.amdhsa_exception_fp_ieee_inexact 0
		.amdhsa_exception_int_div_zero 0
	.end_amdhsa_kernel
	.section	.text._ZL26rocblas_dot_kernel_inc1by2ILb1ELi1024ELi32ELb0EdPKddEviT4_llS2_lliPT5_PT3_,"axG",@progbits,_ZL26rocblas_dot_kernel_inc1by2ILb1ELi1024ELi32ELb0EdPKddEviT4_llS2_lliPT5_PT3_,comdat
.Lfunc_end26:
	.size	_ZL26rocblas_dot_kernel_inc1by2ILb1ELi1024ELi32ELb0EdPKddEviT4_llS2_lliPT5_PT3_, .Lfunc_end26-_ZL26rocblas_dot_kernel_inc1by2ILb1ELi1024ELi32ELb0EdPKddEviT4_llS2_lliPT5_PT3_
                                        ; -- End function
	.set _ZL26rocblas_dot_kernel_inc1by2ILb1ELi1024ELi32ELb0EdPKddEviT4_llS2_lliPT5_PT3_.num_vgpr, 12
	.set _ZL26rocblas_dot_kernel_inc1by2ILb1ELi1024ELi32ELb0EdPKddEviT4_llS2_lliPT5_PT3_.num_agpr, 0
	.set _ZL26rocblas_dot_kernel_inc1by2ILb1ELi1024ELi32ELb0EdPKddEviT4_llS2_lliPT5_PT3_.numbered_sgpr, 22
	.set _ZL26rocblas_dot_kernel_inc1by2ILb1ELi1024ELi32ELb0EdPKddEviT4_llS2_lliPT5_PT3_.num_named_barrier, 0
	.set _ZL26rocblas_dot_kernel_inc1by2ILb1ELi1024ELi32ELb0EdPKddEviT4_llS2_lliPT5_PT3_.private_seg_size, 0
	.set _ZL26rocblas_dot_kernel_inc1by2ILb1ELi1024ELi32ELb0EdPKddEviT4_llS2_lliPT5_PT3_.uses_vcc, 1
	.set _ZL26rocblas_dot_kernel_inc1by2ILb1ELi1024ELi32ELb0EdPKddEviT4_llS2_lliPT5_PT3_.uses_flat_scratch, 0
	.set _ZL26rocblas_dot_kernel_inc1by2ILb1ELi1024ELi32ELb0EdPKddEviT4_llS2_lliPT5_PT3_.has_dyn_sized_stack, 0
	.set _ZL26rocblas_dot_kernel_inc1by2ILb1ELi1024ELi32ELb0EdPKddEviT4_llS2_lliPT5_PT3_.has_recursion, 0
	.set _ZL26rocblas_dot_kernel_inc1by2ILb1ELi1024ELi32ELb0EdPKddEviT4_llS2_lliPT5_PT3_.has_indirect_call, 0
	.section	.AMDGPU.csdata,"",@progbits
; Kernel info:
; codeLenInByte = 976
; TotalNumSgprs: 26
; NumVgprs: 12
; ScratchSize: 0
; MemoryBound: 0
; FloatMode: 240
; IeeeMode: 1
; LDSByteSize: 512 bytes/workgroup (compile time only)
; SGPRBlocks: 3
; VGPRBlocks: 2
; NumSGPRsForWavesPerEU: 26
; NumVGPRsForWavesPerEU: 12
; Occupancy: 10
; WaveLimiterHint : 0
; COMPUTE_PGM_RSRC2:SCRATCH_EN: 0
; COMPUTE_PGM_RSRC2:USER_SGPR: 6
; COMPUTE_PGM_RSRC2:TRAP_HANDLER: 0
; COMPUTE_PGM_RSRC2:TGID_X_EN: 1
; COMPUTE_PGM_RSRC2:TGID_Y_EN: 0
; COMPUTE_PGM_RSRC2:TGID_Z_EN: 1
; COMPUTE_PGM_RSRC2:TIDIG_COMP_CNT: 0
	.section	.text._ZL18rocblas_dot_kernelIiLb1ELi1024ELi32ELb0EdPKddEviT5_lT_lS2_lS3_liPT6_PT4_,"axG",@progbits,_ZL18rocblas_dot_kernelIiLb1ELi1024ELi32ELb0EdPKddEviT5_lT_lS2_lS3_liPT6_PT4_,comdat
	.globl	_ZL18rocblas_dot_kernelIiLb1ELi1024ELi32ELb0EdPKddEviT5_lT_lS2_lS3_liPT6_PT4_ ; -- Begin function _ZL18rocblas_dot_kernelIiLb1ELi1024ELi32ELb0EdPKddEviT5_lT_lS2_lS3_liPT6_PT4_
	.p2align	8
	.type	_ZL18rocblas_dot_kernelIiLb1ELi1024ELi32ELb0EdPKddEviT5_lT_lS2_lS3_liPT6_PT4_,@function
_ZL18rocblas_dot_kernelIiLb1ELi1024ELi32ELb0EdPKddEviT5_lT_lS2_lS3_liPT6_PT4_: ; @_ZL18rocblas_dot_kernelIiLb1ELi1024ELi32ELb0EdPKddEviT5_lT_lS2_lS3_liPT6_PT4_
; %bb.0:
	s_load_dword s14, s[4:5], 0x0
	s_load_dwordx2 s[8:9], s[4:5], 0x58
	v_mov_b32_e32 v1, 0
	s_mov_b32 s6, s7
	s_mov_b32 s7, 0
	v_mov_b32_e32 v2, 0
	s_waitcnt lgkmcnt(0)
	v_cmp_gt_i32_e32 vcc, s14, v0
	s_and_saveexec_b64 s[10:11], vcc
	s_cbranch_execz .LBB27_4
; %bb.1:
	s_load_dword s22, s[4:5], 0x38
	s_load_dwordx2 s[12:13], s[4:5], 0x40
	s_load_dword s15, s[4:5], 0x60
	s_load_dwordx4 s[0:3], s[4:5], 0x20
	s_load_dwordx4 s[16:19], s[4:5], 0x8
	s_load_dword s23, s[4:5], 0x18
	s_load_dwordx2 s[20:21], s[4:5], 0x30
	s_waitcnt lgkmcnt(0)
	s_lshl_b32 s15, s15, 10
	s_mul_i32 s1, s1, s6
	s_mul_hi_u32 s24, s0, s6
	v_mad_i64_i32 v[1:2], s[4:5], s23, v0, 0
	s_add_i32 s1, s24, s1
	s_mul_i32 s0, s0, s6
	s_lshl_b64 s[0:1], s[0:1], 3
	s_lshl_b64 s[4:5], s[18:19], 3
	s_add_u32 s4, s16, s4
	s_addc_u32 s5, s17, s5
	v_lshlrev_b64 v[1:2], 3, v[1:2]
	s_add_u32 s0, s4, s0
	s_addc_u32 s1, s5, s1
	v_mov_b32_e32 v4, s1
	v_add_co_u32_e32 v3, vcc, s0, v1
	s_mul_hi_i32 s1, s23, s15
	s_mul_i32 s0, s23, s15
	v_addc_co_u32_e32 v4, vcc, v4, v2, vcc
	s_lshl_b64 s[4:5], s[0:1], 3
	s_mul_i32 s13, s13, s6
	s_mul_hi_u32 s16, s12, s6
	v_mad_i64_i32 v[1:2], s[0:1], s22, v0, 0
	s_add_i32 s1, s16, s13
	s_mul_i32 s0, s12, s6
	s_lshl_b64 s[0:1], s[0:1], 3
	s_lshl_b64 s[12:13], s[20:21], 3
	s_add_u32 s2, s2, s12
	s_addc_u32 s3, s3, s13
	v_lshlrev_b64 v[1:2], 3, v[1:2]
	s_add_u32 s0, s2, s0
	s_addc_u32 s1, s3, s1
	v_mov_b32_e32 v6, s1
	v_add_co_u32_e32 v5, vcc, s0, v1
	s_mul_hi_i32 s1, s22, s15
	s_mul_i32 s0, s22, s15
	v_addc_co_u32_e32 v6, vcc, v6, v2, vcc
	s_lshl_b64 s[2:3], s[0:1], 3
	v_mov_b32_e32 v1, 0
	v_or_b32_e32 v7, s15, v0
	v_mov_b32_e32 v2, 0
	s_mov_b64 s[12:13], 0
	v_mov_b32_e32 v8, s5
	v_mov_b32_e32 v9, s3
	s_mov_b32 s3, s7
.LBB27_2:                               ; =>This Inner Loop Header: Depth=1
	global_load_dwordx2 v[10:11], v[5:6], off
	global_load_dwordx2 v[12:13], v[3:4], off
	v_add_co_u32_e64 v3, s[0:1], s4, v3
	v_addc_co_u32_e64 v4, s[0:1], v4, v8, s[0:1]
	s_add_i32 s5, s3, 1
	v_add_co_u32_e64 v5, s[0:1], s2, v5
	v_addc_co_u32_e64 v6, s[0:1], v6, v9, s[0:1]
	s_cmp_gt_u32 s3, 30
	v_cmp_le_i32_e32 vcc, s14, v7
	s_cselect_b64 s[0:1], -1, 0
	s_or_b64 s[0:1], s[0:1], vcc
	s_and_b64 s[0:1], exec, s[0:1]
	v_add_u32_e32 v7, s15, v7
	s_or_b64 s[12:13], s[0:1], s[12:13]
	s_mov_b32 s3, s5
	s_waitcnt vmcnt(0)
	v_fma_f64 v[1:2], v[10:11], v[12:13], v[1:2]
	s_andn2_b64 exec, exec, s[12:13]
	s_cbranch_execnz .LBB27_2
; %bb.3:
	s_or_b64 exec, exec, s[12:13]
.LBB27_4:
	s_or_b64 exec, exec, s[10:11]
	v_and_b32_e32 v8, 63, v0
	v_cmp_gt_u32_e32 vcc, 64, v0
	v_lshlrev_b32_e32 v5, 3, v8
	s_and_saveexec_b64 s[0:1], vcc
; %bb.5:
	v_mov_b32_e32 v3, 0
	v_mov_b32_e32 v4, v3
	ds_write_b64 v5, v[3:4]
; %bb.6:
	s_or_b64 exec, exec, s[0:1]
	v_mbcnt_lo_u32_b32 v3, -1, 0
	v_mbcnt_hi_u32_b32 v10, -1, v3
	v_mov_b32_e32 v3, 0x80
	v_lshl_or_b32 v4, v10, 2, v3
	ds_bpermute_b32 v3, v4, v1
	ds_bpermute_b32 v4, v4, v2
	v_and_b32_e32 v11, 63, v10
	v_cmp_gt_u32_e64 s[0:1], 48, v11
	s_waitcnt lgkmcnt(0)
	s_barrier
	v_add_f64 v[1:2], v[1:2], v[3:4]
	v_cndmask_b32_e64 v3, 0, 16, s[0:1]
	v_add_lshl_u32 v4, v3, v10, 2
	v_cmp_gt_u32_e64 s[0:1], 56, v11
	ds_bpermute_b32 v3, v4, v1
	ds_bpermute_b32 v4, v4, v2
	s_waitcnt lgkmcnt(0)
	v_add_f64 v[1:2], v[1:2], v[3:4]
	v_cndmask_b32_e64 v3, 0, 8, s[0:1]
	v_add_lshl_u32 v6, v3, v10, 2
	v_cmp_gt_u32_e64 s[0:1], 60, v11
	ds_bpermute_b32 v3, v6, v1
	ds_bpermute_b32 v4, v6, v2
	s_waitcnt lgkmcnt(0)
	;; [unrolled: 7-line block ×3, first 2 shown]
	v_add_f64 v[1:2], v[1:2], v[3:4]
	v_cndmask_b32_e64 v3, 0, 2, s[0:1]
	v_add_lshl_u32 v9, v3, v10, 2
	v_cmp_ne_u32_e64 s[0:1], 63, v11
	ds_bpermute_b32 v3, v9, v1
	ds_bpermute_b32 v4, v9, v2
	s_waitcnt lgkmcnt(0)
	v_add_f64 v[1:2], v[1:2], v[3:4]
	v_addc_co_u32_e64 v3, s[0:1], 0, v10, s[0:1]
	v_lshlrev_b32_e32 v10, 2, v3
	v_cmp_eq_u32_e64 s[0:1], 0, v8
	ds_bpermute_b32 v3, v10, v1
	ds_bpermute_b32 v4, v10, v2
	s_and_saveexec_b64 s[2:3], s[0:1]
	s_cbranch_execz .LBB27_8
; %bb.7:
	s_waitcnt lgkmcnt(0)
	v_add_f64 v[1:2], v[1:2], v[3:4]
	v_lshrrev_b32_e32 v3, 3, v0
	v_and_b32_e32 v3, 0x78, v3
	ds_write_b64 v3, v[1:2]
.LBB27_8:
	s_or_b64 exec, exec, s[2:3]
	v_mov_b32_e32 v1, 0
	v_mov_b32_e32 v2, 0
	v_cmp_gt_u32_e64 s[0:1], 16, v0
	s_waitcnt lgkmcnt(0)
	s_barrier
	s_and_saveexec_b64 s[2:3], s[0:1]
	s_cbranch_execnz .LBB27_12
; %bb.9:
	s_or_b64 exec, exec, s[2:3]
	s_and_saveexec_b64 s[0:1], vcc
	s_cbranch_execnz .LBB27_13
.LBB27_10:
	s_or_b64 exec, exec, s[0:1]
	v_cmp_eq_u32_e32 vcc, 0, v0
	s_and_saveexec_b64 s[0:1], vcc
	s_cbranch_execnz .LBB27_14
.LBB27_11:
	s_endpgm
.LBB27_12:
	ds_read_b64 v[1:2], v5
	s_or_b64 exec, exec, s[2:3]
	s_and_saveexec_b64 s[0:1], vcc
	s_cbranch_execz .LBB27_10
.LBB27_13:
	s_waitcnt lgkmcnt(0)
	ds_bpermute_b32 v3, v6, v1
	ds_bpermute_b32 v4, v6, v2
	s_waitcnt lgkmcnt(0)
	v_add_f64 v[1:2], v[1:2], v[3:4]
	ds_bpermute_b32 v3, v7, v1
	ds_bpermute_b32 v4, v7, v2
	s_waitcnt lgkmcnt(0)
	v_add_f64 v[1:2], v[1:2], v[3:4]
	;; [unrolled: 4-line block ×4, first 2 shown]
	s_or_b64 exec, exec, s[0:1]
	v_cmp_eq_u32_e32 vcc, 0, v0
	s_and_saveexec_b64 s[0:1], vcc
	s_cbranch_execz .LBB27_11
.LBB27_14:
	s_lshl_b64 s[0:1], s[6:7], 3
	s_add_u32 s0, s8, s0
	s_addc_u32 s1, s9, s1
	v_mov_b32_e32 v0, 0
	s_waitcnt lgkmcnt(0)
	global_store_dwordx2 v0, v[1:2], s[0:1]
	s_endpgm
	.section	.rodata,"a",@progbits
	.p2align	6, 0x0
	.amdhsa_kernel _ZL18rocblas_dot_kernelIiLb1ELi1024ELi32ELb0EdPKddEviT5_lT_lS2_lS3_liPT6_PT4_
		.amdhsa_group_segment_fixed_size 512
		.amdhsa_private_segment_fixed_size 0
		.amdhsa_kernarg_size 352
		.amdhsa_user_sgpr_count 6
		.amdhsa_user_sgpr_private_segment_buffer 1
		.amdhsa_user_sgpr_dispatch_ptr 0
		.amdhsa_user_sgpr_queue_ptr 0
		.amdhsa_user_sgpr_kernarg_segment_ptr 1
		.amdhsa_user_sgpr_dispatch_id 0
		.amdhsa_user_sgpr_flat_scratch_init 0
		.amdhsa_user_sgpr_private_segment_size 0
		.amdhsa_uses_dynamic_stack 0
		.amdhsa_system_sgpr_private_segment_wavefront_offset 0
		.amdhsa_system_sgpr_workgroup_id_x 1
		.amdhsa_system_sgpr_workgroup_id_y 0
		.amdhsa_system_sgpr_workgroup_id_z 1
		.amdhsa_system_sgpr_workgroup_info 0
		.amdhsa_system_vgpr_workitem_id 0
		.amdhsa_next_free_vgpr 14
		.amdhsa_next_free_sgpr 25
		.amdhsa_reserve_vcc 1
		.amdhsa_reserve_flat_scratch 0
		.amdhsa_float_round_mode_32 0
		.amdhsa_float_round_mode_16_64 0
		.amdhsa_float_denorm_mode_32 3
		.amdhsa_float_denorm_mode_16_64 3
		.amdhsa_dx10_clamp 1
		.amdhsa_ieee_mode 1
		.amdhsa_fp16_overflow 0
		.amdhsa_exception_fp_ieee_invalid_op 0
		.amdhsa_exception_fp_denorm_src 0
		.amdhsa_exception_fp_ieee_div_zero 0
		.amdhsa_exception_fp_ieee_overflow 0
		.amdhsa_exception_fp_ieee_underflow 0
		.amdhsa_exception_fp_ieee_inexact 0
		.amdhsa_exception_int_div_zero 0
	.end_amdhsa_kernel
	.section	.text._ZL18rocblas_dot_kernelIiLb1ELi1024ELi32ELb0EdPKddEviT5_lT_lS2_lS3_liPT6_PT4_,"axG",@progbits,_ZL18rocblas_dot_kernelIiLb1ELi1024ELi32ELb0EdPKddEviT5_lT_lS2_lS3_liPT6_PT4_,comdat
.Lfunc_end27:
	.size	_ZL18rocblas_dot_kernelIiLb1ELi1024ELi32ELb0EdPKddEviT5_lT_lS2_lS3_liPT6_PT4_, .Lfunc_end27-_ZL18rocblas_dot_kernelIiLb1ELi1024ELi32ELb0EdPKddEviT5_lT_lS2_lS3_liPT6_PT4_
                                        ; -- End function
	.set _ZL18rocblas_dot_kernelIiLb1ELi1024ELi32ELb0EdPKddEviT5_lT_lS2_lS3_liPT6_PT4_.num_vgpr, 14
	.set _ZL18rocblas_dot_kernelIiLb1ELi1024ELi32ELb0EdPKddEviT5_lT_lS2_lS3_liPT6_PT4_.num_agpr, 0
	.set _ZL18rocblas_dot_kernelIiLb1ELi1024ELi32ELb0EdPKddEviT5_lT_lS2_lS3_liPT6_PT4_.numbered_sgpr, 25
	.set _ZL18rocblas_dot_kernelIiLb1ELi1024ELi32ELb0EdPKddEviT5_lT_lS2_lS3_liPT6_PT4_.num_named_barrier, 0
	.set _ZL18rocblas_dot_kernelIiLb1ELi1024ELi32ELb0EdPKddEviT5_lT_lS2_lS3_liPT6_PT4_.private_seg_size, 0
	.set _ZL18rocblas_dot_kernelIiLb1ELi1024ELi32ELb0EdPKddEviT5_lT_lS2_lS3_liPT6_PT4_.uses_vcc, 1
	.set _ZL18rocblas_dot_kernelIiLb1ELi1024ELi32ELb0EdPKddEviT5_lT_lS2_lS3_liPT6_PT4_.uses_flat_scratch, 0
	.set _ZL18rocblas_dot_kernelIiLb1ELi1024ELi32ELb0EdPKddEviT5_lT_lS2_lS3_liPT6_PT4_.has_dyn_sized_stack, 0
	.set _ZL18rocblas_dot_kernelIiLb1ELi1024ELi32ELb0EdPKddEviT5_lT_lS2_lS3_liPT6_PT4_.has_recursion, 0
	.set _ZL18rocblas_dot_kernelIiLb1ELi1024ELi32ELb0EdPKddEviT5_lT_lS2_lS3_liPT6_PT4_.has_indirect_call, 0
	.section	.AMDGPU.csdata,"",@progbits
; Kernel info:
; codeLenInByte = 1060
; TotalNumSgprs: 29
; NumVgprs: 14
; ScratchSize: 0
; MemoryBound: 0
; FloatMode: 240
; IeeeMode: 1
; LDSByteSize: 512 bytes/workgroup (compile time only)
; SGPRBlocks: 3
; VGPRBlocks: 3
; NumSGPRsForWavesPerEU: 29
; NumVGPRsForWavesPerEU: 14
; Occupancy: 10
; WaveLimiterHint : 0
; COMPUTE_PGM_RSRC2:SCRATCH_EN: 0
; COMPUTE_PGM_RSRC2:USER_SGPR: 6
; COMPUTE_PGM_RSRC2:TRAP_HANDLER: 0
; COMPUTE_PGM_RSRC2:TGID_X_EN: 1
; COMPUTE_PGM_RSRC2:TGID_Y_EN: 0
; COMPUTE_PGM_RSRC2:TGID_Z_EN: 1
; COMPUTE_PGM_RSRC2:TIDIG_COMP_CNT: 0
	.section	.text._ZL24rocblas_dot_kernel_magsqIiLb1ELi1024ELi32ELb0EdPKddEviT5_lT_liPT6_PT4_,"axG",@progbits,_ZL24rocblas_dot_kernel_magsqIiLb1ELi1024ELi32ELb0EdPKddEviT5_lT_liPT6_PT4_,comdat
	.globl	_ZL24rocblas_dot_kernel_magsqIiLb1ELi1024ELi32ELb0EdPKddEviT5_lT_liPT6_PT4_ ; -- Begin function _ZL24rocblas_dot_kernel_magsqIiLb1ELi1024ELi32ELb0EdPKddEviT5_lT_liPT6_PT4_
	.p2align	8
	.type	_ZL24rocblas_dot_kernel_magsqIiLb1ELi1024ELi32ELb0EdPKddEviT5_lT_liPT6_PT4_,@function
_ZL24rocblas_dot_kernel_magsqIiLb1ELi1024ELi32ELb0EdPKddEviT5_lT_liPT6_PT4_: ; @_ZL24rocblas_dot_kernel_magsqIiLb1ELi1024ELi32ELb0EdPKddEviT5_lT_liPT6_PT4_
; %bb.0:
	s_mov_b32 s2, s7
	s_load_dword s12, s[4:5], 0x0
	s_load_dwordx2 s[6:7], s[4:5], 0x38
	v_mov_b32_e32 v1, 0
	s_mov_b32 s3, 0
	v_mov_b32_e32 v2, 0
	s_waitcnt lgkmcnt(0)
	v_cmp_gt_i32_e32 vcc, s12, v0
	s_and_saveexec_b64 s[8:9], vcc
	s_cbranch_execz .LBB28_4
; %bb.1:
	s_load_dword s10, s[4:5], 0x40
	s_load_dwordx2 s[0:1], s[4:5], 0x20
	s_load_dwordx4 s[16:19], s[4:5], 0x8
	s_load_dword s11, s[4:5], 0x18
	s_waitcnt lgkmcnt(0)
	s_lshl_b32 s13, s10, 10
	s_mul_i32 s1, s1, s2
	s_mul_hi_u32 s10, s0, s2
	v_mad_i64_i32 v[1:2], s[4:5], s11, v0, 0
	s_add_i32 s1, s10, s1
	s_mul_i32 s0, s0, s2
	s_lshl_b64 s[0:1], s[0:1], 3
	s_lshl_b64 s[4:5], s[18:19], 3
	s_add_u32 s4, s16, s4
	s_addc_u32 s5, s17, s5
	v_lshlrev_b64 v[1:2], 3, v[1:2]
	s_add_u32 s0, s4, s0
	s_addc_u32 s1, s5, s1
	v_mov_b32_e32 v4, s1
	v_add_co_u32_e32 v3, vcc, s0, v1
	s_mul_hi_i32 s1, s11, s13
	s_mul_i32 s0, s11, s13
	v_addc_co_u32_e32 v4, vcc, v4, v2, vcc
	s_lshl_b64 s[4:5], s[0:1], 3
	v_mov_b32_e32 v1, 0
	v_or_b32_e32 v5, s13, v0
	v_mov_b32_e32 v2, 0
	s_mov_b64 s[10:11], 0
	v_mov_b32_e32 v6, s5
	s_mov_b32 s5, s3
.LBB28_2:                               ; =>This Inner Loop Header: Depth=1
	global_load_dwordx2 v[7:8], v[3:4], off
	s_add_i32 s14, s5, 1
	v_add_co_u32_e64 v3, s[0:1], s4, v3
	v_addc_co_u32_e64 v4, s[0:1], v4, v6, s[0:1]
	s_cmp_gt_u32 s5, 30
	v_cmp_le_i32_e32 vcc, s12, v5
	s_cselect_b64 s[0:1], -1, 0
	s_or_b64 s[0:1], s[0:1], vcc
	s_and_b64 s[0:1], exec, s[0:1]
	v_add_u32_e32 v5, s13, v5
	s_or_b64 s[10:11], s[0:1], s[10:11]
	s_mov_b32 s5, s14
	s_waitcnt vmcnt(0)
	v_fma_f64 v[1:2], v[7:8], v[7:8], v[1:2]
	s_andn2_b64 exec, exec, s[10:11]
	s_cbranch_execnz .LBB28_2
; %bb.3:
	s_or_b64 exec, exec, s[10:11]
.LBB28_4:
	s_or_b64 exec, exec, s[8:9]
	v_and_b32_e32 v8, 63, v0
	v_cmp_gt_u32_e32 vcc, 64, v0
	v_lshlrev_b32_e32 v5, 3, v8
	s_and_saveexec_b64 s[0:1], vcc
; %bb.5:
	v_mov_b32_e32 v3, 0
	v_mov_b32_e32 v4, v3
	ds_write_b64 v5, v[3:4]
; %bb.6:
	s_or_b64 exec, exec, s[0:1]
	v_mbcnt_lo_u32_b32 v3, -1, 0
	v_mbcnt_hi_u32_b32 v10, -1, v3
	v_mov_b32_e32 v3, 0x80
	v_lshl_or_b32 v4, v10, 2, v3
	ds_bpermute_b32 v3, v4, v1
	ds_bpermute_b32 v4, v4, v2
	v_and_b32_e32 v11, 63, v10
	v_cmp_gt_u32_e64 s[0:1], 48, v11
	s_waitcnt lgkmcnt(0)
	s_barrier
	v_add_f64 v[1:2], v[1:2], v[3:4]
	v_cndmask_b32_e64 v3, 0, 16, s[0:1]
	v_add_lshl_u32 v4, v3, v10, 2
	v_cmp_gt_u32_e64 s[0:1], 56, v11
	ds_bpermute_b32 v3, v4, v1
	ds_bpermute_b32 v4, v4, v2
	s_waitcnt lgkmcnt(0)
	v_add_f64 v[1:2], v[1:2], v[3:4]
	v_cndmask_b32_e64 v3, 0, 8, s[0:1]
	v_add_lshl_u32 v6, v3, v10, 2
	v_cmp_gt_u32_e64 s[0:1], 60, v11
	ds_bpermute_b32 v3, v6, v1
	ds_bpermute_b32 v4, v6, v2
	s_waitcnt lgkmcnt(0)
	;; [unrolled: 7-line block ×3, first 2 shown]
	v_add_f64 v[1:2], v[1:2], v[3:4]
	v_cndmask_b32_e64 v3, 0, 2, s[0:1]
	v_add_lshl_u32 v9, v3, v10, 2
	v_cmp_ne_u32_e64 s[0:1], 63, v11
	ds_bpermute_b32 v3, v9, v1
	ds_bpermute_b32 v4, v9, v2
	s_waitcnt lgkmcnt(0)
	v_add_f64 v[1:2], v[1:2], v[3:4]
	v_addc_co_u32_e64 v3, s[0:1], 0, v10, s[0:1]
	v_lshlrev_b32_e32 v10, 2, v3
	v_cmp_eq_u32_e64 s[0:1], 0, v8
	ds_bpermute_b32 v3, v10, v1
	ds_bpermute_b32 v4, v10, v2
	s_and_saveexec_b64 s[4:5], s[0:1]
	s_cbranch_execz .LBB28_8
; %bb.7:
	s_waitcnt lgkmcnt(0)
	v_add_f64 v[1:2], v[1:2], v[3:4]
	v_lshrrev_b32_e32 v3, 3, v0
	v_and_b32_e32 v3, 0x78, v3
	ds_write_b64 v3, v[1:2]
.LBB28_8:
	s_or_b64 exec, exec, s[4:5]
	v_mov_b32_e32 v1, 0
	v_mov_b32_e32 v2, 0
	v_cmp_gt_u32_e64 s[0:1], 16, v0
	s_waitcnt lgkmcnt(0)
	s_barrier
	s_and_saveexec_b64 s[4:5], s[0:1]
	s_cbranch_execnz .LBB28_12
; %bb.9:
	s_or_b64 exec, exec, s[4:5]
	s_and_saveexec_b64 s[0:1], vcc
	s_cbranch_execnz .LBB28_13
.LBB28_10:
	s_or_b64 exec, exec, s[0:1]
	v_cmp_eq_u32_e32 vcc, 0, v0
	s_and_saveexec_b64 s[0:1], vcc
	s_cbranch_execnz .LBB28_14
.LBB28_11:
	s_endpgm
.LBB28_12:
	ds_read_b64 v[1:2], v5
	s_or_b64 exec, exec, s[4:5]
	s_and_saveexec_b64 s[0:1], vcc
	s_cbranch_execz .LBB28_10
.LBB28_13:
	s_waitcnt lgkmcnt(0)
	ds_bpermute_b32 v3, v6, v1
	ds_bpermute_b32 v4, v6, v2
	s_waitcnt lgkmcnt(0)
	v_add_f64 v[1:2], v[1:2], v[3:4]
	ds_bpermute_b32 v3, v7, v1
	ds_bpermute_b32 v4, v7, v2
	s_waitcnt lgkmcnt(0)
	v_add_f64 v[1:2], v[1:2], v[3:4]
	ds_bpermute_b32 v3, v9, v1
	ds_bpermute_b32 v4, v9, v2
	s_waitcnt lgkmcnt(0)
	v_add_f64 v[1:2], v[1:2], v[3:4]
	ds_bpermute_b32 v3, v10, v1
	ds_bpermute_b32 v4, v10, v2
	s_waitcnt lgkmcnt(0)
	v_add_f64 v[1:2], v[1:2], v[3:4]
	s_or_b64 exec, exec, s[0:1]
	v_cmp_eq_u32_e32 vcc, 0, v0
	s_and_saveexec_b64 s[0:1], vcc
	s_cbranch_execz .LBB28_11
.LBB28_14:
	s_lshl_b64 s[0:1], s[2:3], 3
	s_add_u32 s0, s6, s0
	s_addc_u32 s1, s7, s1
	v_mov_b32_e32 v0, 0
	s_waitcnt lgkmcnt(0)
	global_store_dwordx2 v0, v[1:2], s[0:1]
	s_endpgm
	.section	.rodata,"a",@progbits
	.p2align	6, 0x0
	.amdhsa_kernel _ZL24rocblas_dot_kernel_magsqIiLb1ELi1024ELi32ELb0EdPKddEviT5_lT_liPT6_PT4_
		.amdhsa_group_segment_fixed_size 512
		.amdhsa_private_segment_fixed_size 0
		.amdhsa_kernarg_size 320
		.amdhsa_user_sgpr_count 6
		.amdhsa_user_sgpr_private_segment_buffer 1
		.amdhsa_user_sgpr_dispatch_ptr 0
		.amdhsa_user_sgpr_queue_ptr 0
		.amdhsa_user_sgpr_kernarg_segment_ptr 1
		.amdhsa_user_sgpr_dispatch_id 0
		.amdhsa_user_sgpr_flat_scratch_init 0
		.amdhsa_user_sgpr_private_segment_size 0
		.amdhsa_uses_dynamic_stack 0
		.amdhsa_system_sgpr_private_segment_wavefront_offset 0
		.amdhsa_system_sgpr_workgroup_id_x 1
		.amdhsa_system_sgpr_workgroup_id_y 0
		.amdhsa_system_sgpr_workgroup_id_z 1
		.amdhsa_system_sgpr_workgroup_info 0
		.amdhsa_system_vgpr_workitem_id 0
		.amdhsa_next_free_vgpr 12
		.amdhsa_next_free_sgpr 20
		.amdhsa_reserve_vcc 1
		.amdhsa_reserve_flat_scratch 0
		.amdhsa_float_round_mode_32 0
		.amdhsa_float_round_mode_16_64 0
		.amdhsa_float_denorm_mode_32 3
		.amdhsa_float_denorm_mode_16_64 3
		.amdhsa_dx10_clamp 1
		.amdhsa_ieee_mode 1
		.amdhsa_fp16_overflow 0
		.amdhsa_exception_fp_ieee_invalid_op 0
		.amdhsa_exception_fp_denorm_src 0
		.amdhsa_exception_fp_ieee_div_zero 0
		.amdhsa_exception_fp_ieee_overflow 0
		.amdhsa_exception_fp_ieee_underflow 0
		.amdhsa_exception_fp_ieee_inexact 0
		.amdhsa_exception_int_div_zero 0
	.end_amdhsa_kernel
	.section	.text._ZL24rocblas_dot_kernel_magsqIiLb1ELi1024ELi32ELb0EdPKddEviT5_lT_liPT6_PT4_,"axG",@progbits,_ZL24rocblas_dot_kernel_magsqIiLb1ELi1024ELi32ELb0EdPKddEviT5_lT_liPT6_PT4_,comdat
.Lfunc_end28:
	.size	_ZL24rocblas_dot_kernel_magsqIiLb1ELi1024ELi32ELb0EdPKddEviT5_lT_liPT6_PT4_, .Lfunc_end28-_ZL24rocblas_dot_kernel_magsqIiLb1ELi1024ELi32ELb0EdPKddEviT5_lT_liPT6_PT4_
                                        ; -- End function
	.set _ZL24rocblas_dot_kernel_magsqIiLb1ELi1024ELi32ELb0EdPKddEviT5_lT_liPT6_PT4_.num_vgpr, 12
	.set _ZL24rocblas_dot_kernel_magsqIiLb1ELi1024ELi32ELb0EdPKddEviT5_lT_liPT6_PT4_.num_agpr, 0
	.set _ZL24rocblas_dot_kernel_magsqIiLb1ELi1024ELi32ELb0EdPKddEviT5_lT_liPT6_PT4_.numbered_sgpr, 20
	.set _ZL24rocblas_dot_kernel_magsqIiLb1ELi1024ELi32ELb0EdPKddEviT5_lT_liPT6_PT4_.num_named_barrier, 0
	.set _ZL24rocblas_dot_kernel_magsqIiLb1ELi1024ELi32ELb0EdPKddEviT5_lT_liPT6_PT4_.private_seg_size, 0
	.set _ZL24rocblas_dot_kernel_magsqIiLb1ELi1024ELi32ELb0EdPKddEviT5_lT_liPT6_PT4_.uses_vcc, 1
	.set _ZL24rocblas_dot_kernel_magsqIiLb1ELi1024ELi32ELb0EdPKddEviT5_lT_liPT6_PT4_.uses_flat_scratch, 0
	.set _ZL24rocblas_dot_kernel_magsqIiLb1ELi1024ELi32ELb0EdPKddEviT5_lT_liPT6_PT4_.has_dyn_sized_stack, 0
	.set _ZL24rocblas_dot_kernel_magsqIiLb1ELi1024ELi32ELb0EdPKddEviT5_lT_liPT6_PT4_.has_recursion, 0
	.set _ZL24rocblas_dot_kernel_magsqIiLb1ELi1024ELi32ELb0EdPKddEviT5_lT_liPT6_PT4_.has_indirect_call, 0
	.section	.AMDGPU.csdata,"",@progbits
; Kernel info:
; codeLenInByte = 928
; TotalNumSgprs: 24
; NumVgprs: 12
; ScratchSize: 0
; MemoryBound: 0
; FloatMode: 240
; IeeeMode: 1
; LDSByteSize: 512 bytes/workgroup (compile time only)
; SGPRBlocks: 2
; VGPRBlocks: 2
; NumSGPRsForWavesPerEU: 24
; NumVGPRsForWavesPerEU: 12
; Occupancy: 10
; WaveLimiterHint : 0
; COMPUTE_PGM_RSRC2:SCRATCH_EN: 0
; COMPUTE_PGM_RSRC2:USER_SGPR: 6
; COMPUTE_PGM_RSRC2:TRAP_HANDLER: 0
; COMPUTE_PGM_RSRC2:TGID_X_EN: 1
; COMPUTE_PGM_RSRC2:TGID_Y_EN: 0
; COMPUTE_PGM_RSRC2:TGID_Z_EN: 1
; COMPUTE_PGM_RSRC2:TIDIG_COMP_CNT: 0
	.section	.text._ZL23rocblas_dot_kernel_inc1ILb0ELi512ELi2ELb0EdPKddEviT4_llS2_lliPT5_PT3_,"axG",@progbits,_ZL23rocblas_dot_kernel_inc1ILb0ELi512ELi2ELb0EdPKddEviT4_llS2_lliPT5_PT3_,comdat
	.globl	_ZL23rocblas_dot_kernel_inc1ILb0ELi512ELi2ELb0EdPKddEviT4_llS2_lliPT5_PT3_ ; -- Begin function _ZL23rocblas_dot_kernel_inc1ILb0ELi512ELi2ELb0EdPKddEviT4_llS2_lliPT5_PT3_
	.p2align	8
	.type	_ZL23rocblas_dot_kernel_inc1ILb0ELi512ELi2ELb0EdPKddEviT4_llS2_lliPT5_PT3_,@function
_ZL23rocblas_dot_kernel_inc1ILb0ELi512ELi2ELb0EdPKddEviT4_llS2_lliPT5_PT3_: ; @_ZL23rocblas_dot_kernel_inc1ILb0ELi512ELi2ELb0EdPKddEviT4_llS2_lliPT5_PT3_
; %bb.0:
	s_mov_b32 s2, s7
	s_load_dword s7, s[4:5], 0x0
	s_load_dword s10, s[4:5], 0x50
	v_lshl_or_b32 v3, s6, 9, v0
	v_mov_b32_e32 v1, 0
	s_mov_b32 s3, 0
	v_mov_b32_e32 v2, 0
	s_waitcnt lgkmcnt(0)
	v_cmp_gt_i32_e32 vcc, s7, v3
	s_and_saveexec_b64 s[0:1], vcc
	s_cbranch_execz .LBB29_4
; %bb.1:
	s_load_dwordx4 s[12:15], s[4:5], 0x10
	s_load_dwordx2 s[8:9], s[4:5], 0x8
	s_load_dwordx2 s[20:21], s[4:5], 0x20
	s_load_dwordx4 s[16:19], s[4:5], 0x28
	v_ashrrev_i32_e32 v4, 31, v3
	s_waitcnt lgkmcnt(0)
	s_mul_i32 s11, s15, s2
	s_mul_hi_u32 s15, s14, s2
	s_add_i32 s15, s15, s11
	s_mul_i32 s14, s14, s2
	s_lshl_b64 s[14:15], s[14:15], 3
	s_add_u32 s11, s8, s14
	s_addc_u32 s14, s9, s15
	s_lshl_b64 s[8:9], s[12:13], 3
	s_add_u32 s11, s11, s8
	s_addc_u32 s12, s14, s9
	s_mul_i32 s8, s19, s2
	s_mul_hi_u32 s9, s18, s2
	s_add_i32 s9, s9, s8
	s_mul_i32 s8, s18, s2
	s_lshl_b64 s[8:9], s[8:9], 3
	s_add_u32 s13, s20, s8
	s_addc_u32 s14, s21, s9
	s_lshl_b64 s[8:9], s[16:17], 3
	s_add_u32 s13, s13, s8
	v_lshlrev_b64 v[1:2], 3, v[3:4]
	s_addc_u32 s14, s14, s9
	v_mov_b32_e32 v4, s14
	v_add_co_u32_e32 v3, vcc, s13, v1
	v_addc_co_u32_e32 v4, vcc, v4, v2, vcc
	v_mov_b32_e32 v5, s12
	v_add_co_u32_e32 v1, vcc, s11, v1
	v_addc_co_u32_e32 v2, vcc, v5, v2, vcc
	global_load_dwordx2 v[3:4], v[3:4], off
	s_add_i32 s8, s6, s10
	global_load_dwordx2 v[1:2], v[1:2], off
	s_waitcnt vmcnt(0)
	v_fma_f64 v[1:2], v[3:4], v[1:2], 0
	v_lshl_or_b32 v3, s8, 9, v0
	v_cmp_gt_i32_e32 vcc, s7, v3
	s_and_saveexec_b64 s[8:9], vcc
	s_cbranch_execz .LBB29_3
; %bb.2:
	v_ashrrev_i32_e32 v4, 31, v3
	v_lshlrev_b64 v[3:4], 3, v[3:4]
	v_mov_b32_e32 v6, s14
	v_add_co_u32_e32 v5, vcc, s13, v3
	v_addc_co_u32_e32 v6, vcc, v6, v4, vcc
	v_mov_b32_e32 v7, s12
	v_add_co_u32_e32 v3, vcc, s11, v3
	v_addc_co_u32_e32 v4, vcc, v7, v4, vcc
	global_load_dwordx2 v[5:6], v[5:6], off
	s_nop 0
	global_load_dwordx2 v[3:4], v[3:4], off
	s_waitcnt vmcnt(0)
	v_fma_f64 v[1:2], v[5:6], v[3:4], v[1:2]
.LBB29_3:
	s_or_b64 exec, exec, s[8:9]
.LBB29_4:
	s_or_b64 exec, exec, s[0:1]
	v_and_b32_e32 v6, 63, v0
	v_cmp_gt_u32_e32 vcc, 64, v0
	v_lshlrev_b32_e32 v5, 3, v6
	s_and_saveexec_b64 s[0:1], vcc
; %bb.5:
	v_mov_b32_e32 v3, 0
	v_mov_b32_e32 v4, v3
	ds_write_b64 v5, v[3:4]
; %bb.6:
	s_or_b64 exec, exec, s[0:1]
	v_mbcnt_lo_u32_b32 v3, -1, 0
	v_mbcnt_hi_u32_b32 v9, -1, v3
	v_mov_b32_e32 v3, 0x80
	v_lshl_or_b32 v4, v9, 2, v3
	ds_bpermute_b32 v3, v4, v1
	ds_bpermute_b32 v4, v4, v2
	v_and_b32_e32 v10, 63, v9
	v_cmp_gt_u32_e64 s[0:1], 48, v10
	s_waitcnt lgkmcnt(0)
	s_barrier
	v_add_f64 v[1:2], v[1:2], v[3:4]
	v_cndmask_b32_e64 v3, 0, 16, s[0:1]
	v_add_lshl_u32 v4, v3, v9, 2
	v_cmp_gt_u32_e64 s[0:1], 56, v10
	ds_bpermute_b32 v3, v4, v1
	ds_bpermute_b32 v4, v4, v2
	s_waitcnt lgkmcnt(0)
	v_add_f64 v[1:2], v[1:2], v[3:4]
	v_cndmask_b32_e64 v3, 0, 8, s[0:1]
	v_add_lshl_u32 v4, v3, v9, 2
	v_cmp_gt_u32_e64 s[0:1], 60, v10
	ds_bpermute_b32 v3, v4, v1
	ds_bpermute_b32 v4, v4, v2
	s_waitcnt lgkmcnt(0)
	;; [unrolled: 7-line block ×3, first 2 shown]
	v_add_f64 v[1:2], v[1:2], v[3:4]
	v_cndmask_b32_e64 v3, 0, 2, s[0:1]
	v_add_lshl_u32 v8, v3, v9, 2
	v_cmp_ne_u32_e64 s[0:1], 63, v10
	ds_bpermute_b32 v3, v8, v1
	ds_bpermute_b32 v4, v8, v2
	s_waitcnt lgkmcnt(0)
	v_add_f64 v[1:2], v[1:2], v[3:4]
	v_addc_co_u32_e64 v3, s[0:1], 0, v9, s[0:1]
	v_lshlrev_b32_e32 v9, 2, v3
	v_cmp_eq_u32_e64 s[0:1], 0, v6
	ds_bpermute_b32 v3, v9, v1
	ds_bpermute_b32 v4, v9, v2
	s_and_saveexec_b64 s[8:9], s[0:1]
	s_cbranch_execz .LBB29_8
; %bb.7:
	s_waitcnt lgkmcnt(0)
	v_add_f64 v[1:2], v[1:2], v[3:4]
	v_lshrrev_b32_e32 v3, 3, v0
	v_and_b32_e32 v3, 56, v3
	ds_write_b64 v3, v[1:2]
.LBB29_8:
	s_or_b64 exec, exec, s[8:9]
	v_mov_b32_e32 v1, 0
	v_mov_b32_e32 v2, 0
	v_cmp_gt_u32_e64 s[0:1], 8, v0
	s_waitcnt lgkmcnt(0)
	s_barrier
	s_and_saveexec_b64 s[8:9], s[0:1]
	s_cbranch_execnz .LBB29_12
; %bb.9:
	s_or_b64 exec, exec, s[8:9]
	s_and_saveexec_b64 s[0:1], vcc
	s_cbranch_execnz .LBB29_13
.LBB29_10:
	s_or_b64 exec, exec, s[0:1]
	v_cmp_eq_u32_e32 vcc, 0, v0
	s_and_saveexec_b64 s[0:1], vcc
	s_cbranch_execnz .LBB29_14
.LBB29_11:
	s_endpgm
.LBB29_12:
	ds_read_b64 v[1:2], v5
	s_or_b64 exec, exec, s[8:9]
	s_and_saveexec_b64 s[0:1], vcc
	s_cbranch_execz .LBB29_10
.LBB29_13:
	s_waitcnt lgkmcnt(0)
	ds_bpermute_b32 v3, v7, v1
	ds_bpermute_b32 v4, v7, v2
	s_waitcnt lgkmcnt(0)
	v_add_f64 v[1:2], v[1:2], v[3:4]
	ds_bpermute_b32 v3, v8, v1
	ds_bpermute_b32 v4, v8, v2
	s_waitcnt lgkmcnt(0)
	v_add_f64 v[1:2], v[1:2], v[3:4]
	;; [unrolled: 4-line block ×3, first 2 shown]
	s_or_b64 exec, exec, s[0:1]
	v_cmp_eq_u32_e32 vcc, 0, v0
	s_and_saveexec_b64 s[0:1], vcc
	s_cbranch_execz .LBB29_11
.LBB29_14:
	s_cmp_lg_u32 s10, 1
	s_mov_b64 s[0:1], -1
	s_cbranch_scc0 .LBB29_16
; %bb.15:
	s_load_dwordx2 s[0:1], s[4:5], 0x40
	s_mul_hi_u32 s9, s10, s2
	s_mul_i32 s8, s10, s2
	s_lshl_b64 s[8:9], s[8:9], 3
	s_mov_b32 s7, 0
	s_waitcnt lgkmcnt(0)
	s_add_u32 s8, s0, s8
	s_addc_u32 s9, s1, s9
	s_lshl_b64 s[0:1], s[6:7], 3
	s_add_u32 s0, s8, s0
	s_addc_u32 s1, s9, s1
	v_mov_b32_e32 v0, 0
	global_store_dwordx2 v0, v[1:2], s[0:1]
	s_mov_b64 s[0:1], 0
.LBB29_16:
	s_andn2_b64 vcc, exec, s[0:1]
	s_cbranch_vccnz .LBB29_11
; %bb.17:
	s_load_dwordx2 s[0:1], s[4:5], 0x48
	s_lshl_b64 s[2:3], s[2:3], 3
	v_mov_b32_e32 v0, 0
	s_waitcnt lgkmcnt(0)
	s_add_u32 s0, s0, s2
	s_addc_u32 s1, s1, s3
	global_store_dwordx2 v0, v[1:2], s[0:1]
	s_endpgm
	.section	.rodata,"a",@progbits
	.p2align	6, 0x0
	.amdhsa_kernel _ZL23rocblas_dot_kernel_inc1ILb0ELi512ELi2ELb0EdPKddEviT4_llS2_lliPT5_PT3_
		.amdhsa_group_segment_fixed_size 512
		.amdhsa_private_segment_fixed_size 0
		.amdhsa_kernarg_size 336
		.amdhsa_user_sgpr_count 6
		.amdhsa_user_sgpr_private_segment_buffer 1
		.amdhsa_user_sgpr_dispatch_ptr 0
		.amdhsa_user_sgpr_queue_ptr 0
		.amdhsa_user_sgpr_kernarg_segment_ptr 1
		.amdhsa_user_sgpr_dispatch_id 0
		.amdhsa_user_sgpr_flat_scratch_init 0
		.amdhsa_user_sgpr_private_segment_size 0
		.amdhsa_uses_dynamic_stack 0
		.amdhsa_system_sgpr_private_segment_wavefront_offset 0
		.amdhsa_system_sgpr_workgroup_id_x 1
		.amdhsa_system_sgpr_workgroup_id_y 0
		.amdhsa_system_sgpr_workgroup_id_z 1
		.amdhsa_system_sgpr_workgroup_info 0
		.amdhsa_system_vgpr_workitem_id 0
		.amdhsa_next_free_vgpr 11
		.amdhsa_next_free_sgpr 22
		.amdhsa_reserve_vcc 1
		.amdhsa_reserve_flat_scratch 0
		.amdhsa_float_round_mode_32 0
		.amdhsa_float_round_mode_16_64 0
		.amdhsa_float_denorm_mode_32 3
		.amdhsa_float_denorm_mode_16_64 3
		.amdhsa_dx10_clamp 1
		.amdhsa_ieee_mode 1
		.amdhsa_fp16_overflow 0
		.amdhsa_exception_fp_ieee_invalid_op 0
		.amdhsa_exception_fp_denorm_src 0
		.amdhsa_exception_fp_ieee_div_zero 0
		.amdhsa_exception_fp_ieee_overflow 0
		.amdhsa_exception_fp_ieee_underflow 0
		.amdhsa_exception_fp_ieee_inexact 0
		.amdhsa_exception_int_div_zero 0
	.end_amdhsa_kernel
	.section	.text._ZL23rocblas_dot_kernel_inc1ILb0ELi512ELi2ELb0EdPKddEviT4_llS2_lliPT5_PT3_,"axG",@progbits,_ZL23rocblas_dot_kernel_inc1ILb0ELi512ELi2ELb0EdPKddEviT4_llS2_lliPT5_PT3_,comdat
.Lfunc_end29:
	.size	_ZL23rocblas_dot_kernel_inc1ILb0ELi512ELi2ELb0EdPKddEviT4_llS2_lliPT5_PT3_, .Lfunc_end29-_ZL23rocblas_dot_kernel_inc1ILb0ELi512ELi2ELb0EdPKddEviT4_llS2_lliPT5_PT3_
                                        ; -- End function
	.set _ZL23rocblas_dot_kernel_inc1ILb0ELi512ELi2ELb0EdPKddEviT4_llS2_lliPT5_PT3_.num_vgpr, 11
	.set _ZL23rocblas_dot_kernel_inc1ILb0ELi512ELi2ELb0EdPKddEviT4_llS2_lliPT5_PT3_.num_agpr, 0
	.set _ZL23rocblas_dot_kernel_inc1ILb0ELi512ELi2ELb0EdPKddEviT4_llS2_lliPT5_PT3_.numbered_sgpr, 22
	.set _ZL23rocblas_dot_kernel_inc1ILb0ELi512ELi2ELb0EdPKddEviT4_llS2_lliPT5_PT3_.num_named_barrier, 0
	.set _ZL23rocblas_dot_kernel_inc1ILb0ELi512ELi2ELb0EdPKddEviT4_llS2_lliPT5_PT3_.private_seg_size, 0
	.set _ZL23rocblas_dot_kernel_inc1ILb0ELi512ELi2ELb0EdPKddEviT4_llS2_lliPT5_PT3_.uses_vcc, 1
	.set _ZL23rocblas_dot_kernel_inc1ILb0ELi512ELi2ELb0EdPKddEviT4_llS2_lliPT5_PT3_.uses_flat_scratch, 0
	.set _ZL23rocblas_dot_kernel_inc1ILb0ELi512ELi2ELb0EdPKddEviT4_llS2_lliPT5_PT3_.has_dyn_sized_stack, 0
	.set _ZL23rocblas_dot_kernel_inc1ILb0ELi512ELi2ELb0EdPKddEviT4_llS2_lliPT5_PT3_.has_recursion, 0
	.set _ZL23rocblas_dot_kernel_inc1ILb0ELi512ELi2ELb0EdPKddEviT4_llS2_lliPT5_PT3_.has_indirect_call, 0
	.section	.AMDGPU.csdata,"",@progbits
; Kernel info:
; codeLenInByte = 1044
; TotalNumSgprs: 26
; NumVgprs: 11
; ScratchSize: 0
; MemoryBound: 0
; FloatMode: 240
; IeeeMode: 1
; LDSByteSize: 512 bytes/workgroup (compile time only)
; SGPRBlocks: 3
; VGPRBlocks: 2
; NumSGPRsForWavesPerEU: 26
; NumVGPRsForWavesPerEU: 11
; Occupancy: 10
; WaveLimiterHint : 0
; COMPUTE_PGM_RSRC2:SCRATCH_EN: 0
; COMPUTE_PGM_RSRC2:USER_SGPR: 6
; COMPUTE_PGM_RSRC2:TRAP_HANDLER: 0
; COMPUTE_PGM_RSRC2:TGID_X_EN: 1
; COMPUTE_PGM_RSRC2:TGID_Y_EN: 0
; COMPUTE_PGM_RSRC2:TGID_Z_EN: 1
; COMPUTE_PGM_RSRC2:TIDIG_COMP_CNT: 0
	.section	.text._ZL18rocblas_dot_kernelIiLb0ELi512ELi2ELb0EdPKddEviT5_lT_lS2_lS3_liPT6_PT4_,"axG",@progbits,_ZL18rocblas_dot_kernelIiLb0ELi512ELi2ELb0EdPKddEviT5_lT_lS2_lS3_liPT6_PT4_,comdat
	.globl	_ZL18rocblas_dot_kernelIiLb0ELi512ELi2ELb0EdPKddEviT5_lT_lS2_lS3_liPT6_PT4_ ; -- Begin function _ZL18rocblas_dot_kernelIiLb0ELi512ELi2ELb0EdPKddEviT5_lT_lS2_lS3_liPT6_PT4_
	.p2align	8
	.type	_ZL18rocblas_dot_kernelIiLb0ELi512ELi2ELb0EdPKddEviT5_lT_lS2_lS3_liPT6_PT4_,@function
_ZL18rocblas_dot_kernelIiLb0ELi512ELi2ELb0EdPKddEviT5_lT_lS2_lS3_liPT6_PT4_: ; @_ZL18rocblas_dot_kernelIiLb0ELi512ELi2ELb0EdPKddEviT5_lT_lS2_lS3_liPT6_PT4_
; %bb.0:
	s_mov_b32 s2, s7
	s_load_dword s7, s[4:5], 0x0
	s_load_dword s10, s[4:5], 0x60
	v_lshl_or_b32 v3, s6, 9, v0
	v_mov_b32_e32 v1, 0
	s_mov_b32 s3, 0
	v_mov_b32_e32 v2, 0
	s_waitcnt lgkmcnt(0)
	v_cmp_gt_i32_e32 vcc, s7, v3
	s_and_saveexec_b64 s[0:1], vcc
	s_cbranch_execz .LBB30_4
; %bb.1:
	s_load_dwordx4 s[16:19], s[4:5], 0x20
	s_load_dwordx4 s[20:23], s[4:5], 0x8
	s_load_dword s11, s[4:5], 0x18
	s_load_dwordx2 s[8:9], s[4:5], 0x30
	s_load_dword s14, s[4:5], 0x38
	s_load_dwordx2 s[24:25], s[4:5], 0x40
	s_waitcnt lgkmcnt(0)
	s_mul_i32 s12, s17, s2
	s_mul_hi_u32 s13, s16, s2
	s_add_i32 s13, s13, s12
	s_mul_i32 s12, s16, s2
	s_lshl_b64 s[12:13], s[12:13], 3
	s_add_u32 s15, s20, s12
	s_addc_u32 s16, s21, s13
	s_lshl_b64 s[12:13], s[22:23], 3
	s_add_u32 s12, s15, s12
	s_addc_u32 s13, s16, s13
	s_mul_i32 s15, s25, s2
	s_mul_hi_u32 s16, s24, s2
	s_add_i32 s17, s16, s15
	s_mul_i32 s16, s24, s2
	s_lshl_b64 s[16:17], s[16:17], 3
	s_add_u32 s15, s18, s16
	s_addc_u32 s18, s19, s17
	v_mad_i64_i32 v[1:2], s[16:17], v3, s14, 0
	s_lshl_b64 s[8:9], s[8:9], 3
	s_add_u32 s15, s15, s8
	s_addc_u32 s16, s18, s9
	v_mad_i64_i32 v[3:4], s[8:9], v3, s11, 0
	v_lshlrev_b64 v[1:2], 3, v[1:2]
	v_mov_b32_e32 v5, s16
	v_add_co_u32_e32 v1, vcc, s15, v1
	v_lshlrev_b64 v[3:4], 3, v[3:4]
	v_addc_co_u32_e32 v2, vcc, v5, v2, vcc
	v_mov_b32_e32 v5, s13
	v_add_co_u32_e32 v3, vcc, s12, v3
	v_addc_co_u32_e32 v4, vcc, v5, v4, vcc
	global_load_dwordx2 v[1:2], v[1:2], off
	s_add_i32 s8, s6, s10
	global_load_dwordx2 v[3:4], v[3:4], off
	s_waitcnt vmcnt(0)
	v_fma_f64 v[1:2], v[1:2], v[3:4], 0
	v_lshl_or_b32 v3, s8, 9, v0
	v_cmp_gt_i32_e32 vcc, s7, v3
	s_and_saveexec_b64 s[8:9], vcc
	s_cbranch_execz .LBB30_3
; %bb.2:
	v_mad_i64_i32 v[4:5], s[18:19], v3, s14, 0
	v_mov_b32_e32 v8, s16
	v_mad_i64_i32 v[6:7], s[16:17], v3, s11, 0
	v_lshlrev_b64 v[4:5], 3, v[4:5]
	v_add_co_u32_e32 v3, vcc, s15, v4
	v_addc_co_u32_e32 v4, vcc, v8, v5, vcc
	v_lshlrev_b64 v[5:6], 3, v[6:7]
	v_mov_b32_e32 v7, s13
	v_add_co_u32_e32 v5, vcc, s12, v5
	v_addc_co_u32_e32 v6, vcc, v7, v6, vcc
	global_load_dwordx2 v[3:4], v[3:4], off
	s_nop 0
	global_load_dwordx2 v[5:6], v[5:6], off
	s_waitcnt vmcnt(0)
	v_fma_f64 v[1:2], v[3:4], v[5:6], v[1:2]
.LBB30_3:
	s_or_b64 exec, exec, s[8:9]
.LBB30_4:
	s_or_b64 exec, exec, s[0:1]
	v_and_b32_e32 v6, 63, v0
	v_cmp_gt_u32_e32 vcc, 64, v0
	v_lshlrev_b32_e32 v5, 3, v6
	s_and_saveexec_b64 s[0:1], vcc
; %bb.5:
	v_mov_b32_e32 v3, 0
	v_mov_b32_e32 v4, v3
	ds_write_b64 v5, v[3:4]
; %bb.6:
	s_or_b64 exec, exec, s[0:1]
	v_mbcnt_lo_u32_b32 v3, -1, 0
	v_mbcnt_hi_u32_b32 v9, -1, v3
	v_mov_b32_e32 v3, 0x80
	v_lshl_or_b32 v4, v9, 2, v3
	ds_bpermute_b32 v3, v4, v1
	ds_bpermute_b32 v4, v4, v2
	v_and_b32_e32 v10, 63, v9
	v_cmp_gt_u32_e64 s[0:1], 48, v10
	s_waitcnt lgkmcnt(0)
	s_barrier
	v_add_f64 v[1:2], v[1:2], v[3:4]
	v_cndmask_b32_e64 v3, 0, 16, s[0:1]
	v_add_lshl_u32 v4, v3, v9, 2
	v_cmp_gt_u32_e64 s[0:1], 56, v10
	ds_bpermute_b32 v3, v4, v1
	ds_bpermute_b32 v4, v4, v2
	s_waitcnt lgkmcnt(0)
	v_add_f64 v[1:2], v[1:2], v[3:4]
	v_cndmask_b32_e64 v3, 0, 8, s[0:1]
	v_add_lshl_u32 v4, v3, v9, 2
	v_cmp_gt_u32_e64 s[0:1], 60, v10
	ds_bpermute_b32 v3, v4, v1
	ds_bpermute_b32 v4, v4, v2
	s_waitcnt lgkmcnt(0)
	;; [unrolled: 7-line block ×3, first 2 shown]
	v_add_f64 v[1:2], v[1:2], v[3:4]
	v_cndmask_b32_e64 v3, 0, 2, s[0:1]
	v_add_lshl_u32 v8, v3, v9, 2
	v_cmp_ne_u32_e64 s[0:1], 63, v10
	ds_bpermute_b32 v3, v8, v1
	ds_bpermute_b32 v4, v8, v2
	s_waitcnt lgkmcnt(0)
	v_add_f64 v[1:2], v[1:2], v[3:4]
	v_addc_co_u32_e64 v3, s[0:1], 0, v9, s[0:1]
	v_lshlrev_b32_e32 v9, 2, v3
	v_cmp_eq_u32_e64 s[0:1], 0, v6
	ds_bpermute_b32 v3, v9, v1
	ds_bpermute_b32 v4, v9, v2
	s_and_saveexec_b64 s[8:9], s[0:1]
	s_cbranch_execz .LBB30_8
; %bb.7:
	s_waitcnt lgkmcnt(0)
	v_add_f64 v[1:2], v[1:2], v[3:4]
	v_lshrrev_b32_e32 v3, 3, v0
	v_and_b32_e32 v3, 56, v3
	ds_write_b64 v3, v[1:2]
.LBB30_8:
	s_or_b64 exec, exec, s[8:9]
	v_mov_b32_e32 v1, 0
	v_mov_b32_e32 v2, 0
	v_cmp_gt_u32_e64 s[0:1], 8, v0
	s_waitcnt lgkmcnt(0)
	s_barrier
	s_and_saveexec_b64 s[8:9], s[0:1]
	s_cbranch_execnz .LBB30_12
; %bb.9:
	s_or_b64 exec, exec, s[8:9]
	s_and_saveexec_b64 s[0:1], vcc
	s_cbranch_execnz .LBB30_13
.LBB30_10:
	s_or_b64 exec, exec, s[0:1]
	v_cmp_eq_u32_e32 vcc, 0, v0
	s_and_saveexec_b64 s[0:1], vcc
	s_cbranch_execnz .LBB30_14
.LBB30_11:
	s_endpgm
.LBB30_12:
	ds_read_b64 v[1:2], v5
	s_or_b64 exec, exec, s[8:9]
	s_and_saveexec_b64 s[0:1], vcc
	s_cbranch_execz .LBB30_10
.LBB30_13:
	s_waitcnt lgkmcnt(0)
	ds_bpermute_b32 v3, v7, v1
	ds_bpermute_b32 v4, v7, v2
	s_waitcnt lgkmcnt(0)
	v_add_f64 v[1:2], v[1:2], v[3:4]
	ds_bpermute_b32 v3, v8, v1
	ds_bpermute_b32 v4, v8, v2
	s_waitcnt lgkmcnt(0)
	v_add_f64 v[1:2], v[1:2], v[3:4]
	;; [unrolled: 4-line block ×3, first 2 shown]
	s_or_b64 exec, exec, s[0:1]
	v_cmp_eq_u32_e32 vcc, 0, v0
	s_and_saveexec_b64 s[0:1], vcc
	s_cbranch_execz .LBB30_11
.LBB30_14:
	s_cmp_lg_u32 s10, 1
	s_mov_b64 s[0:1], -1
	s_cbranch_scc0 .LBB30_16
; %bb.15:
	s_load_dwordx2 s[0:1], s[4:5], 0x50
	s_mul_hi_u32 s9, s10, s2
	s_mul_i32 s8, s10, s2
	s_lshl_b64 s[8:9], s[8:9], 3
	s_mov_b32 s7, 0
	s_waitcnt lgkmcnt(0)
	s_add_u32 s8, s0, s8
	s_addc_u32 s9, s1, s9
	s_lshl_b64 s[0:1], s[6:7], 3
	s_add_u32 s0, s8, s0
	s_addc_u32 s1, s9, s1
	v_mov_b32_e32 v0, 0
	global_store_dwordx2 v0, v[1:2], s[0:1]
	s_mov_b64 s[0:1], 0
.LBB30_16:
	s_andn2_b64 vcc, exec, s[0:1]
	s_cbranch_vccnz .LBB30_11
; %bb.17:
	s_load_dwordx2 s[0:1], s[4:5], 0x58
	s_lshl_b64 s[2:3], s[2:3], 3
	v_mov_b32_e32 v0, 0
	s_waitcnt lgkmcnt(0)
	s_add_u32 s0, s0, s2
	s_addc_u32 s1, s1, s3
	global_store_dwordx2 v0, v[1:2], s[0:1]
	s_endpgm
	.section	.rodata,"a",@progbits
	.p2align	6, 0x0
	.amdhsa_kernel _ZL18rocblas_dot_kernelIiLb0ELi512ELi2ELb0EdPKddEviT5_lT_lS2_lS3_liPT6_PT4_
		.amdhsa_group_segment_fixed_size 512
		.amdhsa_private_segment_fixed_size 0
		.amdhsa_kernarg_size 352
		.amdhsa_user_sgpr_count 6
		.amdhsa_user_sgpr_private_segment_buffer 1
		.amdhsa_user_sgpr_dispatch_ptr 0
		.amdhsa_user_sgpr_queue_ptr 0
		.amdhsa_user_sgpr_kernarg_segment_ptr 1
		.amdhsa_user_sgpr_dispatch_id 0
		.amdhsa_user_sgpr_flat_scratch_init 0
		.amdhsa_user_sgpr_private_segment_size 0
		.amdhsa_uses_dynamic_stack 0
		.amdhsa_system_sgpr_private_segment_wavefront_offset 0
		.amdhsa_system_sgpr_workgroup_id_x 1
		.amdhsa_system_sgpr_workgroup_id_y 0
		.amdhsa_system_sgpr_workgroup_id_z 1
		.amdhsa_system_sgpr_workgroup_info 0
		.amdhsa_system_vgpr_workitem_id 0
		.amdhsa_next_free_vgpr 11
		.amdhsa_next_free_sgpr 26
		.amdhsa_reserve_vcc 1
		.amdhsa_reserve_flat_scratch 0
		.amdhsa_float_round_mode_32 0
		.amdhsa_float_round_mode_16_64 0
		.amdhsa_float_denorm_mode_32 3
		.amdhsa_float_denorm_mode_16_64 3
		.amdhsa_dx10_clamp 1
		.amdhsa_ieee_mode 1
		.amdhsa_fp16_overflow 0
		.amdhsa_exception_fp_ieee_invalid_op 0
		.amdhsa_exception_fp_denorm_src 0
		.amdhsa_exception_fp_ieee_div_zero 0
		.amdhsa_exception_fp_ieee_overflow 0
		.amdhsa_exception_fp_ieee_underflow 0
		.amdhsa_exception_fp_ieee_inexact 0
		.amdhsa_exception_int_div_zero 0
	.end_amdhsa_kernel
	.section	.text._ZL18rocblas_dot_kernelIiLb0ELi512ELi2ELb0EdPKddEviT5_lT_lS2_lS3_liPT6_PT4_,"axG",@progbits,_ZL18rocblas_dot_kernelIiLb0ELi512ELi2ELb0EdPKddEviT5_lT_lS2_lS3_liPT6_PT4_,comdat
.Lfunc_end30:
	.size	_ZL18rocblas_dot_kernelIiLb0ELi512ELi2ELb0EdPKddEviT5_lT_lS2_lS3_liPT6_PT4_, .Lfunc_end30-_ZL18rocblas_dot_kernelIiLb0ELi512ELi2ELb0EdPKddEviT5_lT_lS2_lS3_liPT6_PT4_
                                        ; -- End function
	.set _ZL18rocblas_dot_kernelIiLb0ELi512ELi2ELb0EdPKddEviT5_lT_lS2_lS3_liPT6_PT4_.num_vgpr, 11
	.set _ZL18rocblas_dot_kernelIiLb0ELi512ELi2ELb0EdPKddEviT5_lT_lS2_lS3_liPT6_PT4_.num_agpr, 0
	.set _ZL18rocblas_dot_kernelIiLb0ELi512ELi2ELb0EdPKddEviT5_lT_lS2_lS3_liPT6_PT4_.numbered_sgpr, 26
	.set _ZL18rocblas_dot_kernelIiLb0ELi512ELi2ELb0EdPKddEviT5_lT_lS2_lS3_liPT6_PT4_.num_named_barrier, 0
	.set _ZL18rocblas_dot_kernelIiLb0ELi512ELi2ELb0EdPKddEviT5_lT_lS2_lS3_liPT6_PT4_.private_seg_size, 0
	.set _ZL18rocblas_dot_kernelIiLb0ELi512ELi2ELb0EdPKddEviT5_lT_lS2_lS3_liPT6_PT4_.uses_vcc, 1
	.set _ZL18rocblas_dot_kernelIiLb0ELi512ELi2ELb0EdPKddEviT5_lT_lS2_lS3_liPT6_PT4_.uses_flat_scratch, 0
	.set _ZL18rocblas_dot_kernelIiLb0ELi512ELi2ELb0EdPKddEviT5_lT_lS2_lS3_liPT6_PT4_.has_dyn_sized_stack, 0
	.set _ZL18rocblas_dot_kernelIiLb0ELi512ELi2ELb0EdPKddEviT5_lT_lS2_lS3_liPT6_PT4_.has_recursion, 0
	.set _ZL18rocblas_dot_kernelIiLb0ELi512ELi2ELb0EdPKddEviT5_lT_lS2_lS3_liPT6_PT4_.has_indirect_call, 0
	.section	.AMDGPU.csdata,"",@progbits
; Kernel info:
; codeLenInByte = 1100
; TotalNumSgprs: 30
; NumVgprs: 11
; ScratchSize: 0
; MemoryBound: 0
; FloatMode: 240
; IeeeMode: 1
; LDSByteSize: 512 bytes/workgroup (compile time only)
; SGPRBlocks: 3
; VGPRBlocks: 2
; NumSGPRsForWavesPerEU: 30
; NumVGPRsForWavesPerEU: 11
; Occupancy: 10
; WaveLimiterHint : 0
; COMPUTE_PGM_RSRC2:SCRATCH_EN: 0
; COMPUTE_PGM_RSRC2:USER_SGPR: 6
; COMPUTE_PGM_RSRC2:TRAP_HANDLER: 0
; COMPUTE_PGM_RSRC2:TGID_X_EN: 1
; COMPUTE_PGM_RSRC2:TGID_Y_EN: 0
; COMPUTE_PGM_RSRC2:TGID_Z_EN: 1
; COMPUTE_PGM_RSRC2:TIDIG_COMP_CNT: 0
	.section	.text._ZL24rocblas_dot_kernel_magsqIiLb0ELi512ELi2ELb0EdPKddEviT5_lT_liPT6_PT4_,"axG",@progbits,_ZL24rocblas_dot_kernel_magsqIiLb0ELi512ELi2ELb0EdPKddEviT5_lT_liPT6_PT4_,comdat
	.globl	_ZL24rocblas_dot_kernel_magsqIiLb0ELi512ELi2ELb0EdPKddEviT5_lT_liPT6_PT4_ ; -- Begin function _ZL24rocblas_dot_kernel_magsqIiLb0ELi512ELi2ELb0EdPKddEviT5_lT_liPT6_PT4_
	.p2align	8
	.type	_ZL24rocblas_dot_kernel_magsqIiLb0ELi512ELi2ELb0EdPKddEviT5_lT_liPT6_PT4_,@function
_ZL24rocblas_dot_kernel_magsqIiLb0ELi512ELi2ELb0EdPKddEviT5_lT_liPT6_PT4_: ; @_ZL24rocblas_dot_kernel_magsqIiLb0ELi512ELi2ELb0EdPKddEviT5_lT_liPT6_PT4_
; %bb.0:
	s_mov_b32 s2, s7
	s_load_dword s7, s[4:5], 0x0
	s_load_dword s10, s[4:5], 0x40
	v_lshl_or_b32 v3, s6, 9, v0
	v_mov_b32_e32 v1, 0
	s_mov_b32 s3, 0
	v_mov_b32_e32 v2, 0
	s_waitcnt lgkmcnt(0)
	v_cmp_gt_i32_e32 vcc, s7, v3
	s_and_saveexec_b64 s[0:1], vcc
	s_cbranch_execz .LBB31_4
; %bb.1:
	s_load_dwordx2 s[8:9], s[4:5], 0x20
	s_load_dwordx4 s[12:15], s[4:5], 0x8
	s_load_dword s11, s[4:5], 0x18
	s_waitcnt lgkmcnt(0)
	s_mul_i32 s9, s9, s2
	s_mul_hi_u32 s16, s8, s2
	s_mul_i32 s8, s8, s2
	s_add_i32 s9, s16, s9
	s_lshl_b64 s[8:9], s[8:9], 3
	s_add_u32 s12, s12, s8
	s_addc_u32 s13, s13, s9
	v_mad_i64_i32 v[1:2], s[8:9], v3, s11, 0
	s_lshl_b64 s[8:9], s[14:15], 3
	s_add_u32 s12, s12, s8
	v_lshlrev_b64 v[1:2], 3, v[1:2]
	s_addc_u32 s13, s13, s9
	v_mov_b32_e32 v3, s13
	v_add_co_u32_e32 v1, vcc, s12, v1
	v_addc_co_u32_e32 v2, vcc, v3, v2, vcc
	global_load_dwordx2 v[1:2], v[1:2], off
	s_add_i32 s8, s6, s10
	v_lshl_or_b32 v3, s8, 9, v0
	v_cmp_gt_i32_e32 vcc, s7, v3
	s_waitcnt vmcnt(0)
	v_mul_f64 v[1:2], v[1:2], v[1:2]
	s_and_saveexec_b64 s[8:9], vcc
	s_cbranch_execz .LBB31_3
; %bb.2:
	v_mad_i64_i32 v[3:4], s[14:15], v3, s11, 0
	v_mov_b32_e32 v5, s13
	v_lshlrev_b64 v[3:4], 3, v[3:4]
	v_add_co_u32_e32 v3, vcc, s12, v3
	v_addc_co_u32_e32 v4, vcc, v5, v4, vcc
	global_load_dwordx2 v[3:4], v[3:4], off
	s_waitcnt vmcnt(0)
	v_fma_f64 v[1:2], v[3:4], v[3:4], v[1:2]
.LBB31_3:
	s_or_b64 exec, exec, s[8:9]
.LBB31_4:
	s_or_b64 exec, exec, s[0:1]
	v_and_b32_e32 v6, 63, v0
	v_cmp_gt_u32_e32 vcc, 64, v0
	v_lshlrev_b32_e32 v5, 3, v6
	s_and_saveexec_b64 s[0:1], vcc
; %bb.5:
	v_mov_b32_e32 v3, 0
	v_mov_b32_e32 v4, v3
	ds_write_b64 v5, v[3:4]
; %bb.6:
	s_or_b64 exec, exec, s[0:1]
	v_mbcnt_lo_u32_b32 v3, -1, 0
	v_mbcnt_hi_u32_b32 v9, -1, v3
	v_mov_b32_e32 v3, 0x80
	v_lshl_or_b32 v4, v9, 2, v3
	ds_bpermute_b32 v3, v4, v1
	ds_bpermute_b32 v4, v4, v2
	v_and_b32_e32 v10, 63, v9
	v_cmp_gt_u32_e64 s[0:1], 48, v10
	s_waitcnt lgkmcnt(0)
	s_barrier
	v_add_f64 v[1:2], v[1:2], v[3:4]
	v_cndmask_b32_e64 v3, 0, 16, s[0:1]
	v_add_lshl_u32 v4, v3, v9, 2
	v_cmp_gt_u32_e64 s[0:1], 56, v10
	ds_bpermute_b32 v3, v4, v1
	ds_bpermute_b32 v4, v4, v2
	s_waitcnt lgkmcnt(0)
	v_add_f64 v[1:2], v[1:2], v[3:4]
	v_cndmask_b32_e64 v3, 0, 8, s[0:1]
	v_add_lshl_u32 v4, v3, v9, 2
	v_cmp_gt_u32_e64 s[0:1], 60, v10
	ds_bpermute_b32 v3, v4, v1
	ds_bpermute_b32 v4, v4, v2
	s_waitcnt lgkmcnt(0)
	;; [unrolled: 7-line block ×3, first 2 shown]
	v_add_f64 v[1:2], v[1:2], v[3:4]
	v_cndmask_b32_e64 v3, 0, 2, s[0:1]
	v_add_lshl_u32 v8, v3, v9, 2
	v_cmp_ne_u32_e64 s[0:1], 63, v10
	ds_bpermute_b32 v3, v8, v1
	ds_bpermute_b32 v4, v8, v2
	s_waitcnt lgkmcnt(0)
	v_add_f64 v[1:2], v[1:2], v[3:4]
	v_addc_co_u32_e64 v3, s[0:1], 0, v9, s[0:1]
	v_lshlrev_b32_e32 v9, 2, v3
	v_cmp_eq_u32_e64 s[0:1], 0, v6
	ds_bpermute_b32 v3, v9, v1
	ds_bpermute_b32 v4, v9, v2
	s_and_saveexec_b64 s[8:9], s[0:1]
	s_cbranch_execz .LBB31_8
; %bb.7:
	s_waitcnt lgkmcnt(0)
	v_add_f64 v[1:2], v[1:2], v[3:4]
	v_lshrrev_b32_e32 v3, 3, v0
	v_and_b32_e32 v3, 56, v3
	ds_write_b64 v3, v[1:2]
.LBB31_8:
	s_or_b64 exec, exec, s[8:9]
	v_mov_b32_e32 v1, 0
	v_mov_b32_e32 v2, 0
	v_cmp_gt_u32_e64 s[0:1], 8, v0
	s_waitcnt lgkmcnt(0)
	s_barrier
	s_and_saveexec_b64 s[8:9], s[0:1]
	s_cbranch_execnz .LBB31_12
; %bb.9:
	s_or_b64 exec, exec, s[8:9]
	s_and_saveexec_b64 s[0:1], vcc
	s_cbranch_execnz .LBB31_13
.LBB31_10:
	s_or_b64 exec, exec, s[0:1]
	v_cmp_eq_u32_e32 vcc, 0, v0
	s_and_saveexec_b64 s[0:1], vcc
	s_cbranch_execnz .LBB31_14
.LBB31_11:
	s_endpgm
.LBB31_12:
	ds_read_b64 v[1:2], v5
	s_or_b64 exec, exec, s[8:9]
	s_and_saveexec_b64 s[0:1], vcc
	s_cbranch_execz .LBB31_10
.LBB31_13:
	s_waitcnt lgkmcnt(0)
	ds_bpermute_b32 v3, v7, v1
	ds_bpermute_b32 v4, v7, v2
	s_waitcnt lgkmcnt(0)
	v_add_f64 v[1:2], v[1:2], v[3:4]
	ds_bpermute_b32 v3, v8, v1
	ds_bpermute_b32 v4, v8, v2
	s_waitcnt lgkmcnt(0)
	v_add_f64 v[1:2], v[1:2], v[3:4]
	;; [unrolled: 4-line block ×3, first 2 shown]
	s_or_b64 exec, exec, s[0:1]
	v_cmp_eq_u32_e32 vcc, 0, v0
	s_and_saveexec_b64 s[0:1], vcc
	s_cbranch_execz .LBB31_11
.LBB31_14:
	s_cmp_lg_u32 s10, 1
	s_mov_b64 s[0:1], -1
	s_cbranch_scc0 .LBB31_16
; %bb.15:
	s_load_dwordx2 s[0:1], s[4:5], 0x30
	s_mul_hi_u32 s9, s10, s2
	s_mul_i32 s8, s10, s2
	s_lshl_b64 s[8:9], s[8:9], 3
	s_mov_b32 s7, 0
	s_waitcnt lgkmcnt(0)
	s_add_u32 s8, s0, s8
	s_addc_u32 s9, s1, s9
	s_lshl_b64 s[0:1], s[6:7], 3
	s_add_u32 s0, s8, s0
	s_addc_u32 s1, s9, s1
	v_mov_b32_e32 v0, 0
	global_store_dwordx2 v0, v[1:2], s[0:1]
	s_mov_b64 s[0:1], 0
.LBB31_16:
	s_andn2_b64 vcc, exec, s[0:1]
	s_cbranch_vccnz .LBB31_11
; %bb.17:
	s_load_dwordx2 s[0:1], s[4:5], 0x38
	s_lshl_b64 s[2:3], s[2:3], 3
	v_mov_b32_e32 v0, 0
	s_waitcnt lgkmcnt(0)
	s_add_u32 s0, s0, s2
	s_addc_u32 s1, s1, s3
	global_store_dwordx2 v0, v[1:2], s[0:1]
	s_endpgm
	.section	.rodata,"a",@progbits
	.p2align	6, 0x0
	.amdhsa_kernel _ZL24rocblas_dot_kernel_magsqIiLb0ELi512ELi2ELb0EdPKddEviT5_lT_liPT6_PT4_
		.amdhsa_group_segment_fixed_size 512
		.amdhsa_private_segment_fixed_size 0
		.amdhsa_kernarg_size 320
		.amdhsa_user_sgpr_count 6
		.amdhsa_user_sgpr_private_segment_buffer 1
		.amdhsa_user_sgpr_dispatch_ptr 0
		.amdhsa_user_sgpr_queue_ptr 0
		.amdhsa_user_sgpr_kernarg_segment_ptr 1
		.amdhsa_user_sgpr_dispatch_id 0
		.amdhsa_user_sgpr_flat_scratch_init 0
		.amdhsa_user_sgpr_private_segment_size 0
		.amdhsa_uses_dynamic_stack 0
		.amdhsa_system_sgpr_private_segment_wavefront_offset 0
		.amdhsa_system_sgpr_workgroup_id_x 1
		.amdhsa_system_sgpr_workgroup_id_y 0
		.amdhsa_system_sgpr_workgroup_id_z 1
		.amdhsa_system_sgpr_workgroup_info 0
		.amdhsa_system_vgpr_workitem_id 0
		.amdhsa_next_free_vgpr 11
		.amdhsa_next_free_sgpr 17
		.amdhsa_reserve_vcc 1
		.amdhsa_reserve_flat_scratch 0
		.amdhsa_float_round_mode_32 0
		.amdhsa_float_round_mode_16_64 0
		.amdhsa_float_denorm_mode_32 3
		.amdhsa_float_denorm_mode_16_64 3
		.amdhsa_dx10_clamp 1
		.amdhsa_ieee_mode 1
		.amdhsa_fp16_overflow 0
		.amdhsa_exception_fp_ieee_invalid_op 0
		.amdhsa_exception_fp_denorm_src 0
		.amdhsa_exception_fp_ieee_div_zero 0
		.amdhsa_exception_fp_ieee_overflow 0
		.amdhsa_exception_fp_ieee_underflow 0
		.amdhsa_exception_fp_ieee_inexact 0
		.amdhsa_exception_int_div_zero 0
	.end_amdhsa_kernel
	.section	.text._ZL24rocblas_dot_kernel_magsqIiLb0ELi512ELi2ELb0EdPKddEviT5_lT_liPT6_PT4_,"axG",@progbits,_ZL24rocblas_dot_kernel_magsqIiLb0ELi512ELi2ELb0EdPKddEviT5_lT_liPT6_PT4_,comdat
.Lfunc_end31:
	.size	_ZL24rocblas_dot_kernel_magsqIiLb0ELi512ELi2ELb0EdPKddEviT5_lT_liPT6_PT4_, .Lfunc_end31-_ZL24rocblas_dot_kernel_magsqIiLb0ELi512ELi2ELb0EdPKddEviT5_lT_liPT6_PT4_
                                        ; -- End function
	.set _ZL24rocblas_dot_kernel_magsqIiLb0ELi512ELi2ELb0EdPKddEviT5_lT_liPT6_PT4_.num_vgpr, 11
	.set _ZL24rocblas_dot_kernel_magsqIiLb0ELi512ELi2ELb0EdPKddEviT5_lT_liPT6_PT4_.num_agpr, 0
	.set _ZL24rocblas_dot_kernel_magsqIiLb0ELi512ELi2ELb0EdPKddEviT5_lT_liPT6_PT4_.numbered_sgpr, 17
	.set _ZL24rocblas_dot_kernel_magsqIiLb0ELi512ELi2ELb0EdPKddEviT5_lT_liPT6_PT4_.num_named_barrier, 0
	.set _ZL24rocblas_dot_kernel_magsqIiLb0ELi512ELi2ELb0EdPKddEviT5_lT_liPT6_PT4_.private_seg_size, 0
	.set _ZL24rocblas_dot_kernel_magsqIiLb0ELi512ELi2ELb0EdPKddEviT5_lT_liPT6_PT4_.uses_vcc, 1
	.set _ZL24rocblas_dot_kernel_magsqIiLb0ELi512ELi2ELb0EdPKddEviT5_lT_liPT6_PT4_.uses_flat_scratch, 0
	.set _ZL24rocblas_dot_kernel_magsqIiLb0ELi512ELi2ELb0EdPKddEviT5_lT_liPT6_PT4_.has_dyn_sized_stack, 0
	.set _ZL24rocblas_dot_kernel_magsqIiLb0ELi512ELi2ELb0EdPKddEviT5_lT_liPT6_PT4_.has_recursion, 0
	.set _ZL24rocblas_dot_kernel_magsqIiLb0ELi512ELi2ELb0EdPKddEviT5_lT_liPT6_PT4_.has_indirect_call, 0
	.section	.AMDGPU.csdata,"",@progbits
; Kernel info:
; codeLenInByte = 960
; TotalNumSgprs: 21
; NumVgprs: 11
; ScratchSize: 0
; MemoryBound: 0
; FloatMode: 240
; IeeeMode: 1
; LDSByteSize: 512 bytes/workgroup (compile time only)
; SGPRBlocks: 2
; VGPRBlocks: 2
; NumSGPRsForWavesPerEU: 21
; NumVGPRsForWavesPerEU: 11
; Occupancy: 10
; WaveLimiterHint : 0
; COMPUTE_PGM_RSRC2:SCRATCH_EN: 0
; COMPUTE_PGM_RSRC2:USER_SGPR: 6
; COMPUTE_PGM_RSRC2:TRAP_HANDLER: 0
; COMPUTE_PGM_RSRC2:TGID_X_EN: 1
; COMPUTE_PGM_RSRC2:TGID_Y_EN: 0
; COMPUTE_PGM_RSRC2:TGID_Z_EN: 1
; COMPUTE_PGM_RSRC2:TIDIG_COMP_CNT: 0
	.section	.text._ZL28rocblas_dot_batched_4_kernelIiLi32ELi4ELb0E19rocblas_complex_numIfES1_PKS1_EviT5_lT_lS4_lS5_liPT4_,"axG",@progbits,_ZL28rocblas_dot_batched_4_kernelIiLi32ELi4ELb0E19rocblas_complex_numIfES1_PKS1_EviT5_lT_lS4_lS5_liPT4_,comdat
	.globl	_ZL28rocblas_dot_batched_4_kernelIiLi32ELi4ELb0E19rocblas_complex_numIfES1_PKS1_EviT5_lT_lS4_lS5_liPT4_ ; -- Begin function _ZL28rocblas_dot_batched_4_kernelIiLi32ELi4ELb0E19rocblas_complex_numIfES1_PKS1_EviT5_lT_lS4_lS5_liPT4_
	.p2align	8
	.type	_ZL28rocblas_dot_batched_4_kernelIiLi32ELi4ELb0E19rocblas_complex_numIfES1_PKS1_EviT5_lT_lS4_lS5_liPT4_,@function
_ZL28rocblas_dot_batched_4_kernelIiLi32ELi4ELb0E19rocblas_complex_numIfES1_PKS1_EviT5_lT_lS4_lS5_liPT4_: ; @_ZL28rocblas_dot_batched_4_kernelIiLi32ELi4ELb0E19rocblas_complex_numIfES1_PKS1_EviT5_lT_lS4_lS5_liPT4_
; %bb.0:
	s_load_dword s0, s[4:5], 0x48
	v_lshl_add_u32 v1, s6, 2, v1
	s_waitcnt lgkmcnt(0)
	v_cmp_gt_u32_e32 vcc, s0, v1
	s_and_saveexec_b64 s[0:1], vcc
	s_cbranch_execz .LBB32_7
; %bb.1:
	s_load_dword s12, s[4:5], 0x0
	s_load_dwordx2 s[6:7], s[4:5], 0x50
	v_mov_b32_e32 v2, 0
	v_mov_b32_e32 v7, v2
	;; [unrolled: 1-line block ×3, first 2 shown]
	s_waitcnt lgkmcnt(0)
	v_cmp_gt_i32_e32 vcc, s12, v0
	s_and_saveexec_b64 s[8:9], vcc
	s_cbranch_execz .LBB32_5
; %bb.2:
	s_load_dwordx2 s[10:11], s[4:5], 0x40
	s_load_dword s14, s[4:5], 0x38
	s_load_dwordx4 s[0:3], s[4:5], 0x8
	s_load_dword s20, s[4:5], 0x18
	s_waitcnt lgkmcnt(0)
	v_mad_u64_u32 v[3:4], s[16:17], s10, v1, 0
	s_load_dwordx4 s[16:19], s[4:5], 0x20
	s_load_dwordx2 s[22:23], s[4:5], 0x30
	v_mad_i64_i32 v[5:6], s[4:5], s14, v0, 0
	s_ashr_i32 s21, s20, 31
	s_ashr_i32 s15, s14, 31
	v_mad_u64_u32 v[7:8], s[4:5], s11, v1, v[4:5]
	v_lshlrev_b64 v[5:6], 3, v[5:6]
	s_waitcnt lgkmcnt(0)
	s_lshl_b64 s[4:5], s[22:23], 3
	v_mov_b32_e32 v4, v7
	v_lshlrev_b64 v[3:4], 3, v[3:4]
	s_add_u32 s10, s18, s4
	v_add_co_u32_e32 v3, vcc, v5, v3
	s_addc_u32 s4, s19, s5
	v_addc_co_u32_e32 v4, vcc, v6, v4, vcc
	v_mov_b32_e32 v7, s4
	v_mad_u64_u32 v[5:6], s[4:5], s16, v1, 0
	v_add_co_u32_e32 v11, vcc, s10, v3
	v_addc_co_u32_e32 v4, vcc, v7, v4, vcc
	v_mov_b32_e32 v3, v6
	v_mad_u64_u32 v[9:10], s[4:5], s17, v1, v[3:4]
	v_mad_i64_i32 v[7:8], s[4:5], s20, v0, 0
	v_mov_b32_e32 v6, v9
	v_add_co_u32_e32 v3, vcc, 4, v11
	v_lshlrev_b64 v[7:8], 3, v[7:8]
	v_lshlrev_b64 v[5:6], 3, v[5:6]
	v_addc_co_u32_e32 v4, vcc, 0, v4, vcc
	s_lshl_b64 s[4:5], s[14:15], 8
	s_lshl_b64 s[2:3], s[2:3], 3
	v_add_co_u32_e32 v5, vcc, v7, v5
	s_add_u32 s0, s0, s2
	v_addc_co_u32_e32 v6, vcc, v8, v6, vcc
	s_addc_u32 s1, s1, s3
	v_mov_b32_e32 v7, s1
	v_add_co_u32_e32 v5, vcc, s0, v5
	v_addc_co_u32_e32 v6, vcc, v7, v6, vcc
	v_add_co_u32_e32 v5, vcc, 4, v5
	v_addc_co_u32_e32 v6, vcc, 0, v6, vcc
	s_lshl_b64 s[2:3], s[20:21], 8
	v_mov_b32_e32 v7, 0
	s_mov_b64 s[10:11], 0
	v_mov_b32_e32 v9, v0
	v_mov_b32_e32 v8, 0
.LBB32_3:                               ; =>This Inner Loop Header: Depth=1
	global_load_dwordx2 v[10:11], v[5:6], off offset:-4
	global_load_dwordx2 v[12:13], v[3:4], off offset:-4
	v_mov_b32_e32 v14, s5
	v_mov_b32_e32 v15, s3
	v_add_co_u32_e32 v5, vcc, s2, v5
	v_add_co_u32_e64 v3, s[0:1], s4, v3
	v_add_u32_e32 v9, 32, v9
	v_addc_co_u32_e64 v4, s[0:1], v4, v14, s[0:1]
	v_addc_co_u32_e32 v6, vcc, v6, v15, vcc
	v_cmp_le_i32_e32 vcc, s12, v9
	s_or_b64 s[10:11], vcc, s[10:11]
	s_waitcnt vmcnt(0)
	v_mul_f32_e32 v14, v11, v13
	v_mul_f32_e32 v13, v10, v13
	v_fma_f32 v10, v10, v12, -v14
	v_fmac_f32_e32 v13, v11, v12
	v_add_f32_e32 v7, v7, v10
	v_add_f32_e32 v8, v8, v13
	s_andn2_b64 exec, exec, s[10:11]
	s_cbranch_execnz .LBB32_3
; %bb.4:
	s_or_b64 exec, exec, s[10:11]
.LBB32_5:
	s_or_b64 exec, exec, s[8:9]
	v_mbcnt_lo_u32_b32 v3, -1, 0
	v_mbcnt_hi_u32_b32 v5, -1, v3
	v_and_b32_e32 v6, 63, v5
	v_cmp_gt_u32_e32 vcc, 48, v6
	v_cndmask_b32_e64 v3, 0, 16, vcc
	v_add_lshl_u32 v3, v3, v5, 2
	ds_bpermute_b32 v4, v3, v7
	ds_bpermute_b32 v3, v3, v8
	v_cmp_gt_u32_e32 vcc, 56, v6
	s_waitcnt lgkmcnt(0)
	s_barrier
	v_add_f32_e32 v4, v7, v4
	v_cndmask_b32_e64 v7, 0, 8, vcc
	v_add_f32_e32 v3, v8, v3
	v_add_lshl_u32 v7, v7, v5, 2
	ds_bpermute_b32 v8, v7, v4
	ds_bpermute_b32 v7, v7, v3
	v_cmp_gt_u32_e32 vcc, 60, v6
	s_waitcnt lgkmcnt(0)
	v_add_f32_e32 v4, v4, v8
	v_add_f32_e32 v3, v3, v7
	v_cndmask_b32_e64 v7, 0, 4, vcc
	v_add_lshl_u32 v7, v7, v5, 2
	ds_bpermute_b32 v8, v7, v4
	ds_bpermute_b32 v7, v7, v3
	v_cmp_gt_u32_e32 vcc, 62, v6
	s_waitcnt lgkmcnt(1)
	v_add_f32_e32 v4, v4, v8
	s_waitcnt lgkmcnt(0)
	v_add_f32_e32 v7, v3, v7
	v_cndmask_b32_e64 v3, 0, 2, vcc
	v_add_lshl_u32 v3, v3, v5, 2
	ds_bpermute_b32 v8, v3, v4
	ds_bpermute_b32 v9, v3, v7
	v_cmp_ne_u32_e32 vcc, 63, v6
	v_addc_co_u32_e32 v5, vcc, 0, v5, vcc
	s_waitcnt lgkmcnt(1)
	v_add_f32_e32 v3, v4, v8
	s_waitcnt lgkmcnt(0)
	v_add_f32_e32 v4, v7, v9
	v_lshlrev_b32_e32 v6, 2, v5
	ds_bpermute_b32 v5, v6, v3
	ds_bpermute_b32 v6, v6, v4
	v_cmp_eq_u32_e32 vcc, 0, v0
	s_and_b64 exec, exec, vcc
	s_cbranch_execz .LBB32_7
; %bb.6:
	v_lshlrev_b64 v[0:1], 3, v[1:2]
	v_mov_b32_e32 v2, s7
	v_add_co_u32_e32 v0, vcc, s6, v0
	v_addc_co_u32_e32 v1, vcc, v2, v1, vcc
	s_waitcnt lgkmcnt(0)
	v_add_f32_e32 v4, v4, v6
	v_add_f32_e32 v3, v3, v5
	global_store_dwordx2 v[0:1], v[3:4], off
.LBB32_7:
	s_endpgm
	.section	.rodata,"a",@progbits
	.p2align	6, 0x0
	.amdhsa_kernel _ZL28rocblas_dot_batched_4_kernelIiLi32ELi4ELb0E19rocblas_complex_numIfES1_PKS1_EviT5_lT_lS4_lS5_liPT4_
		.amdhsa_group_segment_fixed_size 0
		.amdhsa_private_segment_fixed_size 0
		.amdhsa_kernarg_size 88
		.amdhsa_user_sgpr_count 6
		.amdhsa_user_sgpr_private_segment_buffer 1
		.amdhsa_user_sgpr_dispatch_ptr 0
		.amdhsa_user_sgpr_queue_ptr 0
		.amdhsa_user_sgpr_kernarg_segment_ptr 1
		.amdhsa_user_sgpr_dispatch_id 0
		.amdhsa_user_sgpr_flat_scratch_init 0
		.amdhsa_user_sgpr_private_segment_size 0
		.amdhsa_uses_dynamic_stack 0
		.amdhsa_system_sgpr_private_segment_wavefront_offset 0
		.amdhsa_system_sgpr_workgroup_id_x 1
		.amdhsa_system_sgpr_workgroup_id_y 0
		.amdhsa_system_sgpr_workgroup_id_z 0
		.amdhsa_system_sgpr_workgroup_info 0
		.amdhsa_system_vgpr_workitem_id 1
		.amdhsa_next_free_vgpr 16
		.amdhsa_next_free_sgpr 24
		.amdhsa_reserve_vcc 1
		.amdhsa_reserve_flat_scratch 0
		.amdhsa_float_round_mode_32 0
		.amdhsa_float_round_mode_16_64 0
		.amdhsa_float_denorm_mode_32 3
		.amdhsa_float_denorm_mode_16_64 3
		.amdhsa_dx10_clamp 1
		.amdhsa_ieee_mode 1
		.amdhsa_fp16_overflow 0
		.amdhsa_exception_fp_ieee_invalid_op 0
		.amdhsa_exception_fp_denorm_src 0
		.amdhsa_exception_fp_ieee_div_zero 0
		.amdhsa_exception_fp_ieee_overflow 0
		.amdhsa_exception_fp_ieee_underflow 0
		.amdhsa_exception_fp_ieee_inexact 0
		.amdhsa_exception_int_div_zero 0
	.end_amdhsa_kernel
	.section	.text._ZL28rocblas_dot_batched_4_kernelIiLi32ELi4ELb0E19rocblas_complex_numIfES1_PKS1_EviT5_lT_lS4_lS5_liPT4_,"axG",@progbits,_ZL28rocblas_dot_batched_4_kernelIiLi32ELi4ELb0E19rocblas_complex_numIfES1_PKS1_EviT5_lT_lS4_lS5_liPT4_,comdat
.Lfunc_end32:
	.size	_ZL28rocblas_dot_batched_4_kernelIiLi32ELi4ELb0E19rocblas_complex_numIfES1_PKS1_EviT5_lT_lS4_lS5_liPT4_, .Lfunc_end32-_ZL28rocblas_dot_batched_4_kernelIiLi32ELi4ELb0E19rocblas_complex_numIfES1_PKS1_EviT5_lT_lS4_lS5_liPT4_
                                        ; -- End function
	.set _ZL28rocblas_dot_batched_4_kernelIiLi32ELi4ELb0E19rocblas_complex_numIfES1_PKS1_EviT5_lT_lS4_lS5_liPT4_.num_vgpr, 16
	.set _ZL28rocblas_dot_batched_4_kernelIiLi32ELi4ELb0E19rocblas_complex_numIfES1_PKS1_EviT5_lT_lS4_lS5_liPT4_.num_agpr, 0
	.set _ZL28rocblas_dot_batched_4_kernelIiLi32ELi4ELb0E19rocblas_complex_numIfES1_PKS1_EviT5_lT_lS4_lS5_liPT4_.numbered_sgpr, 24
	.set _ZL28rocblas_dot_batched_4_kernelIiLi32ELi4ELb0E19rocblas_complex_numIfES1_PKS1_EviT5_lT_lS4_lS5_liPT4_.num_named_barrier, 0
	.set _ZL28rocblas_dot_batched_4_kernelIiLi32ELi4ELb0E19rocblas_complex_numIfES1_PKS1_EviT5_lT_lS4_lS5_liPT4_.private_seg_size, 0
	.set _ZL28rocblas_dot_batched_4_kernelIiLi32ELi4ELb0E19rocblas_complex_numIfES1_PKS1_EviT5_lT_lS4_lS5_liPT4_.uses_vcc, 1
	.set _ZL28rocblas_dot_batched_4_kernelIiLi32ELi4ELb0E19rocblas_complex_numIfES1_PKS1_EviT5_lT_lS4_lS5_liPT4_.uses_flat_scratch, 0
	.set _ZL28rocblas_dot_batched_4_kernelIiLi32ELi4ELb0E19rocblas_complex_numIfES1_PKS1_EviT5_lT_lS4_lS5_liPT4_.has_dyn_sized_stack, 0
	.set _ZL28rocblas_dot_batched_4_kernelIiLi32ELi4ELb0E19rocblas_complex_numIfES1_PKS1_EviT5_lT_lS4_lS5_liPT4_.has_recursion, 0
	.set _ZL28rocblas_dot_batched_4_kernelIiLi32ELi4ELb0E19rocblas_complex_numIfES1_PKS1_EviT5_lT_lS4_lS5_liPT4_.has_indirect_call, 0
	.section	.AMDGPU.csdata,"",@progbits
; Kernel info:
; codeLenInByte = 752
; TotalNumSgprs: 28
; NumVgprs: 16
; ScratchSize: 0
; MemoryBound: 0
; FloatMode: 240
; IeeeMode: 1
; LDSByteSize: 0 bytes/workgroup (compile time only)
; SGPRBlocks: 3
; VGPRBlocks: 3
; NumSGPRsForWavesPerEU: 28
; NumVGPRsForWavesPerEU: 16
; Occupancy: 10
; WaveLimiterHint : 0
; COMPUTE_PGM_RSRC2:SCRATCH_EN: 0
; COMPUTE_PGM_RSRC2:USER_SGPR: 6
; COMPUTE_PGM_RSRC2:TRAP_HANDLER: 0
; COMPUTE_PGM_RSRC2:TGID_X_EN: 1
; COMPUTE_PGM_RSRC2:TGID_Y_EN: 0
; COMPUTE_PGM_RSRC2:TGID_Z_EN: 0
; COMPUTE_PGM_RSRC2:TIDIG_COMP_CNT: 1
	.section	.text._ZL28rocblas_dot_batched_4_kernelIiLi64ELi4ELb0E19rocblas_complex_numIfES1_PKS1_EviT5_lT_lS4_lS5_liPT4_,"axG",@progbits,_ZL28rocblas_dot_batched_4_kernelIiLi64ELi4ELb0E19rocblas_complex_numIfES1_PKS1_EviT5_lT_lS4_lS5_liPT4_,comdat
	.globl	_ZL28rocblas_dot_batched_4_kernelIiLi64ELi4ELb0E19rocblas_complex_numIfES1_PKS1_EviT5_lT_lS4_lS5_liPT4_ ; -- Begin function _ZL28rocblas_dot_batched_4_kernelIiLi64ELi4ELb0E19rocblas_complex_numIfES1_PKS1_EviT5_lT_lS4_lS5_liPT4_
	.p2align	8
	.type	_ZL28rocblas_dot_batched_4_kernelIiLi64ELi4ELb0E19rocblas_complex_numIfES1_PKS1_EviT5_lT_lS4_lS5_liPT4_,@function
_ZL28rocblas_dot_batched_4_kernelIiLi64ELi4ELb0E19rocblas_complex_numIfES1_PKS1_EviT5_lT_lS4_lS5_liPT4_: ; @_ZL28rocblas_dot_batched_4_kernelIiLi64ELi4ELb0E19rocblas_complex_numIfES1_PKS1_EviT5_lT_lS4_lS5_liPT4_
; %bb.0:
	s_load_dword s0, s[4:5], 0x48
	v_lshl_add_u32 v1, s6, 2, v1
	s_waitcnt lgkmcnt(0)
	v_cmp_gt_u32_e32 vcc, s0, v1
	s_and_saveexec_b64 s[0:1], vcc
	s_cbranch_execz .LBB33_7
; %bb.1:
	s_load_dword s12, s[4:5], 0x0
	s_load_dwordx2 s[6:7], s[4:5], 0x50
	v_mov_b32_e32 v2, 0
	v_mov_b32_e32 v7, v2
	;; [unrolled: 1-line block ×3, first 2 shown]
	s_waitcnt lgkmcnt(0)
	v_cmp_gt_i32_e32 vcc, s12, v0
	s_and_saveexec_b64 s[8:9], vcc
	s_cbranch_execz .LBB33_5
; %bb.2:
	s_load_dwordx2 s[10:11], s[4:5], 0x40
	s_load_dword s14, s[4:5], 0x38
	s_load_dwordx4 s[0:3], s[4:5], 0x8
	s_load_dword s20, s[4:5], 0x18
	s_waitcnt lgkmcnt(0)
	v_mad_u64_u32 v[3:4], s[16:17], s10, v1, 0
	s_load_dwordx4 s[16:19], s[4:5], 0x20
	s_load_dwordx2 s[22:23], s[4:5], 0x30
	v_mad_i64_i32 v[5:6], s[4:5], s14, v0, 0
	s_ashr_i32 s21, s20, 31
	s_ashr_i32 s15, s14, 31
	v_mad_u64_u32 v[7:8], s[4:5], s11, v1, v[4:5]
	v_lshlrev_b64 v[5:6], 3, v[5:6]
	s_waitcnt lgkmcnt(0)
	s_lshl_b64 s[4:5], s[22:23], 3
	v_mov_b32_e32 v4, v7
	v_lshlrev_b64 v[3:4], 3, v[3:4]
	s_add_u32 s10, s18, s4
	v_add_co_u32_e32 v3, vcc, v5, v3
	s_addc_u32 s4, s19, s5
	v_addc_co_u32_e32 v4, vcc, v6, v4, vcc
	v_mov_b32_e32 v7, s4
	v_mad_u64_u32 v[5:6], s[4:5], s16, v1, 0
	v_add_co_u32_e32 v11, vcc, s10, v3
	v_addc_co_u32_e32 v4, vcc, v7, v4, vcc
	v_mov_b32_e32 v3, v6
	v_mad_u64_u32 v[9:10], s[4:5], s17, v1, v[3:4]
	v_mad_i64_i32 v[7:8], s[4:5], s20, v0, 0
	v_mov_b32_e32 v6, v9
	v_add_co_u32_e32 v3, vcc, 4, v11
	v_lshlrev_b64 v[7:8], 3, v[7:8]
	v_lshlrev_b64 v[5:6], 3, v[5:6]
	v_addc_co_u32_e32 v4, vcc, 0, v4, vcc
	s_lshl_b64 s[4:5], s[14:15], 9
	s_lshl_b64 s[2:3], s[2:3], 3
	v_add_co_u32_e32 v5, vcc, v7, v5
	s_add_u32 s0, s0, s2
	v_addc_co_u32_e32 v6, vcc, v8, v6, vcc
	s_addc_u32 s1, s1, s3
	v_mov_b32_e32 v7, s1
	v_add_co_u32_e32 v5, vcc, s0, v5
	v_addc_co_u32_e32 v6, vcc, v7, v6, vcc
	v_add_co_u32_e32 v5, vcc, 4, v5
	v_addc_co_u32_e32 v6, vcc, 0, v6, vcc
	s_lshl_b64 s[2:3], s[20:21], 9
	v_mov_b32_e32 v7, 0
	s_mov_b64 s[10:11], 0
	v_mov_b32_e32 v9, v0
	v_mov_b32_e32 v8, 0
.LBB33_3:                               ; =>This Inner Loop Header: Depth=1
	global_load_dwordx2 v[10:11], v[5:6], off offset:-4
	global_load_dwordx2 v[12:13], v[3:4], off offset:-4
	v_mov_b32_e32 v14, s5
	v_mov_b32_e32 v15, s3
	v_add_co_u32_e32 v5, vcc, s2, v5
	v_add_co_u32_e64 v3, s[0:1], s4, v3
	v_add_u32_e32 v9, 64, v9
	v_addc_co_u32_e64 v4, s[0:1], v4, v14, s[0:1]
	v_addc_co_u32_e32 v6, vcc, v6, v15, vcc
	v_cmp_le_i32_e32 vcc, s12, v9
	s_or_b64 s[10:11], vcc, s[10:11]
	s_waitcnt vmcnt(0)
	v_mul_f32_e32 v14, v11, v13
	v_mul_f32_e32 v13, v10, v13
	v_fma_f32 v10, v10, v12, -v14
	v_fmac_f32_e32 v13, v11, v12
	v_add_f32_e32 v7, v7, v10
	v_add_f32_e32 v8, v8, v13
	s_andn2_b64 exec, exec, s[10:11]
	s_cbranch_execnz .LBB33_3
; %bb.4:
	s_or_b64 exec, exec, s[10:11]
.LBB33_5:
	s_or_b64 exec, exec, s[8:9]
	v_mbcnt_lo_u32_b32 v3, -1, 0
	v_mbcnt_hi_u32_b32 v5, -1, v3
	v_mov_b32_e32 v3, 0x80
	v_lshl_or_b32 v3, v5, 2, v3
	ds_bpermute_b32 v4, v3, v7
	ds_bpermute_b32 v3, v3, v8
	v_and_b32_e32 v6, 63, v5
	v_cmp_gt_u32_e32 vcc, 48, v6
	s_waitcnt lgkmcnt(0)
	v_add_f32_e32 v4, v7, v4
	v_cndmask_b32_e64 v7, 0, 16, vcc
	v_add_f32_e32 v3, v8, v3
	v_add_lshl_u32 v7, v7, v5, 2
	ds_bpermute_b32 v8, v7, v4
	ds_bpermute_b32 v7, v7, v3
	v_cmp_gt_u32_e32 vcc, 56, v6
	s_waitcnt lgkmcnt(0)
	s_barrier
	v_add_f32_e32 v4, v4, v8
	v_add_f32_e32 v3, v3, v7
	v_cndmask_b32_e64 v7, 0, 8, vcc
	v_add_lshl_u32 v7, v7, v5, 2
	ds_bpermute_b32 v8, v7, v4
	ds_bpermute_b32 v7, v7, v3
	v_cmp_gt_u32_e32 vcc, 60, v6
	s_waitcnt lgkmcnt(1)
	v_add_f32_e32 v4, v4, v8
	s_waitcnt lgkmcnt(0)
	v_add_f32_e32 v3, v3, v7
	v_cndmask_b32_e64 v7, 0, 4, vcc
	v_add_lshl_u32 v7, v7, v5, 2
	ds_bpermute_b32 v8, v7, v4
	ds_bpermute_b32 v7, v7, v3
	v_cmp_gt_u32_e32 vcc, 62, v6
	s_waitcnt lgkmcnt(1)
	v_add_f32_e32 v4, v4, v8
	s_waitcnt lgkmcnt(0)
	v_add_f32_e32 v7, v3, v7
	v_cndmask_b32_e64 v3, 0, 2, vcc
	v_add_lshl_u32 v3, v3, v5, 2
	ds_bpermute_b32 v8, v3, v4
	ds_bpermute_b32 v9, v3, v7
	v_cmp_ne_u32_e32 vcc, 63, v6
	v_addc_co_u32_e32 v5, vcc, 0, v5, vcc
	s_waitcnt lgkmcnt(1)
	v_add_f32_e32 v3, v4, v8
	s_waitcnt lgkmcnt(0)
	v_add_f32_e32 v4, v7, v9
	v_lshlrev_b32_e32 v6, 2, v5
	ds_bpermute_b32 v5, v6, v3
	ds_bpermute_b32 v6, v6, v4
	v_cmp_eq_u32_e32 vcc, 0, v0
	s_and_b64 exec, exec, vcc
	s_cbranch_execz .LBB33_7
; %bb.6:
	v_lshlrev_b64 v[0:1], 3, v[1:2]
	v_mov_b32_e32 v2, s7
	v_add_co_u32_e32 v0, vcc, s6, v0
	v_addc_co_u32_e32 v1, vcc, v2, v1, vcc
	s_waitcnt lgkmcnt(0)
	v_add_f32_e32 v4, v4, v6
	v_add_f32_e32 v3, v3, v5
	global_store_dwordx2 v[0:1], v[3:4], off
.LBB33_7:
	s_endpgm
	.section	.rodata,"a",@progbits
	.p2align	6, 0x0
	.amdhsa_kernel _ZL28rocblas_dot_batched_4_kernelIiLi64ELi4ELb0E19rocblas_complex_numIfES1_PKS1_EviT5_lT_lS4_lS5_liPT4_
		.amdhsa_group_segment_fixed_size 0
		.amdhsa_private_segment_fixed_size 0
		.amdhsa_kernarg_size 88
		.amdhsa_user_sgpr_count 6
		.amdhsa_user_sgpr_private_segment_buffer 1
		.amdhsa_user_sgpr_dispatch_ptr 0
		.amdhsa_user_sgpr_queue_ptr 0
		.amdhsa_user_sgpr_kernarg_segment_ptr 1
		.amdhsa_user_sgpr_dispatch_id 0
		.amdhsa_user_sgpr_flat_scratch_init 0
		.amdhsa_user_sgpr_private_segment_size 0
		.amdhsa_uses_dynamic_stack 0
		.amdhsa_system_sgpr_private_segment_wavefront_offset 0
		.amdhsa_system_sgpr_workgroup_id_x 1
		.amdhsa_system_sgpr_workgroup_id_y 0
		.amdhsa_system_sgpr_workgroup_id_z 0
		.amdhsa_system_sgpr_workgroup_info 0
		.amdhsa_system_vgpr_workitem_id 1
		.amdhsa_next_free_vgpr 16
		.amdhsa_next_free_sgpr 24
		.amdhsa_reserve_vcc 1
		.amdhsa_reserve_flat_scratch 0
		.amdhsa_float_round_mode_32 0
		.amdhsa_float_round_mode_16_64 0
		.amdhsa_float_denorm_mode_32 3
		.amdhsa_float_denorm_mode_16_64 3
		.amdhsa_dx10_clamp 1
		.amdhsa_ieee_mode 1
		.amdhsa_fp16_overflow 0
		.amdhsa_exception_fp_ieee_invalid_op 0
		.amdhsa_exception_fp_denorm_src 0
		.amdhsa_exception_fp_ieee_div_zero 0
		.amdhsa_exception_fp_ieee_overflow 0
		.amdhsa_exception_fp_ieee_underflow 0
		.amdhsa_exception_fp_ieee_inexact 0
		.amdhsa_exception_int_div_zero 0
	.end_amdhsa_kernel
	.section	.text._ZL28rocblas_dot_batched_4_kernelIiLi64ELi4ELb0E19rocblas_complex_numIfES1_PKS1_EviT5_lT_lS4_lS5_liPT4_,"axG",@progbits,_ZL28rocblas_dot_batched_4_kernelIiLi64ELi4ELb0E19rocblas_complex_numIfES1_PKS1_EviT5_lT_lS4_lS5_liPT4_,comdat
.Lfunc_end33:
	.size	_ZL28rocblas_dot_batched_4_kernelIiLi64ELi4ELb0E19rocblas_complex_numIfES1_PKS1_EviT5_lT_lS4_lS5_liPT4_, .Lfunc_end33-_ZL28rocblas_dot_batched_4_kernelIiLi64ELi4ELb0E19rocblas_complex_numIfES1_PKS1_EviT5_lT_lS4_lS5_liPT4_
                                        ; -- End function
	.set _ZL28rocblas_dot_batched_4_kernelIiLi64ELi4ELb0E19rocblas_complex_numIfES1_PKS1_EviT5_lT_lS4_lS5_liPT4_.num_vgpr, 16
	.set _ZL28rocblas_dot_batched_4_kernelIiLi64ELi4ELb0E19rocblas_complex_numIfES1_PKS1_EviT5_lT_lS4_lS5_liPT4_.num_agpr, 0
	.set _ZL28rocblas_dot_batched_4_kernelIiLi64ELi4ELb0E19rocblas_complex_numIfES1_PKS1_EviT5_lT_lS4_lS5_liPT4_.numbered_sgpr, 24
	.set _ZL28rocblas_dot_batched_4_kernelIiLi64ELi4ELb0E19rocblas_complex_numIfES1_PKS1_EviT5_lT_lS4_lS5_liPT4_.num_named_barrier, 0
	.set _ZL28rocblas_dot_batched_4_kernelIiLi64ELi4ELb0E19rocblas_complex_numIfES1_PKS1_EviT5_lT_lS4_lS5_liPT4_.private_seg_size, 0
	.set _ZL28rocblas_dot_batched_4_kernelIiLi64ELi4ELb0E19rocblas_complex_numIfES1_PKS1_EviT5_lT_lS4_lS5_liPT4_.uses_vcc, 1
	.set _ZL28rocblas_dot_batched_4_kernelIiLi64ELi4ELb0E19rocblas_complex_numIfES1_PKS1_EviT5_lT_lS4_lS5_liPT4_.uses_flat_scratch, 0
	.set _ZL28rocblas_dot_batched_4_kernelIiLi64ELi4ELb0E19rocblas_complex_numIfES1_PKS1_EviT5_lT_lS4_lS5_liPT4_.has_dyn_sized_stack, 0
	.set _ZL28rocblas_dot_batched_4_kernelIiLi64ELi4ELb0E19rocblas_complex_numIfES1_PKS1_EviT5_lT_lS4_lS5_liPT4_.has_recursion, 0
	.set _ZL28rocblas_dot_batched_4_kernelIiLi64ELi4ELb0E19rocblas_complex_numIfES1_PKS1_EviT5_lT_lS4_lS5_liPT4_.has_indirect_call, 0
	.section	.AMDGPU.csdata,"",@progbits
; Kernel info:
; codeLenInByte = 800
; TotalNumSgprs: 28
; NumVgprs: 16
; ScratchSize: 0
; MemoryBound: 0
; FloatMode: 240
; IeeeMode: 1
; LDSByteSize: 0 bytes/workgroup (compile time only)
; SGPRBlocks: 3
; VGPRBlocks: 3
; NumSGPRsForWavesPerEU: 28
; NumVGPRsForWavesPerEU: 16
; Occupancy: 10
; WaveLimiterHint : 0
; COMPUTE_PGM_RSRC2:SCRATCH_EN: 0
; COMPUTE_PGM_RSRC2:USER_SGPR: 6
; COMPUTE_PGM_RSRC2:TRAP_HANDLER: 0
; COMPUTE_PGM_RSRC2:TGID_X_EN: 1
; COMPUTE_PGM_RSRC2:TGID_Y_EN: 0
; COMPUTE_PGM_RSRC2:TGID_Z_EN: 0
; COMPUTE_PGM_RSRC2:TIDIG_COMP_CNT: 1
	.section	.text._ZL26rocblas_dot_kernel_inc1by2ILb1ELi1024ELi32ELb0E19rocblas_complex_numIfEPKS1_S1_EviT4_llS4_lliPT5_PT3_,"axG",@progbits,_ZL26rocblas_dot_kernel_inc1by2ILb1ELi1024ELi32ELb0E19rocblas_complex_numIfEPKS1_S1_EviT4_llS4_lliPT5_PT3_,comdat
	.globl	_ZL26rocblas_dot_kernel_inc1by2ILb1ELi1024ELi32ELb0E19rocblas_complex_numIfEPKS1_S1_EviT4_llS4_lliPT5_PT3_ ; -- Begin function _ZL26rocblas_dot_kernel_inc1by2ILb1ELi1024ELi32ELb0E19rocblas_complex_numIfEPKS1_S1_EviT4_llS4_lliPT5_PT3_
	.p2align	8
	.type	_ZL26rocblas_dot_kernel_inc1by2ILb1ELi1024ELi32ELb0E19rocblas_complex_numIfEPKS1_S1_EviT4_llS4_lliPT5_PT3_,@function
_ZL26rocblas_dot_kernel_inc1by2ILb1ELi1024ELi32ELb0E19rocblas_complex_numIfEPKS1_S1_EviT4_llS4_lliPT5_PT3_: ; @_ZL26rocblas_dot_kernel_inc1by2ILb1ELi1024ELi32ELb0E19rocblas_complex_numIfEPKS1_S1_EviT4_llS4_lliPT5_PT3_
; %bb.0:
	s_mov_b32 s2, s7
	s_load_dword s10, s[4:5], 0x0
	s_load_dwordx2 s[6:7], s[4:5], 0x48
	s_mov_b32 s3, 0
	v_mov_b32_e32 v5, 0
	v_mov_b32_e32 v7, 0
	s_waitcnt lgkmcnt(0)
	v_cmp_gt_i32_e32 vcc, s10, v0
	s_and_saveexec_b64 s[8:9], vcc
	s_cbranch_execz .LBB34_4
; %bb.1:
	s_load_dwordx4 s[12:15], s[4:5], 0x28
	s_load_dwordx2 s[0:1], s[4:5], 0x20
	s_load_dwordx2 s[20:21], s[4:5], 0x8
	s_load_dwordx4 s[16:19], s[4:5], 0x10
	v_lshlrev_b32_e32 v3, 3, v0
	s_waitcnt lgkmcnt(0)
	s_mul_i32 s4, s15, s2
	s_mul_hi_u32 s5, s14, s2
	s_add_i32 s5, s5, s4
	s_mul_i32 s4, s14, s2
	s_lshl_b64 s[4:5], s[4:5], 3
	s_lshl_b64 s[12:13], s[12:13], 3
	s_add_u32 s4, s4, s12
	s_addc_u32 s5, s5, s13
	s_add_u32 s0, s0, s4
	s_addc_u32 s1, s1, s5
	v_mov_b32_e32 v2, s1
	v_add_co_u32_e32 v1, vcc, s0, v3
	s_mul_i32 s0, s19, s2
	s_mul_hi_u32 s1, s18, s2
	s_add_i32 s1, s1, s0
	s_mul_i32 s0, s18, s2
	s_lshl_b64 s[0:1], s[0:1], 3
	s_lshl_b64 s[4:5], s[16:17], 3
	s_add_u32 s0, s0, s4
	s_addc_u32 s1, s1, s5
	s_add_u32 s0, s20, s0
	v_addc_co_u32_e32 v2, vcc, 0, v2, vcc
	s_addc_u32 s1, s21, s1
	v_mov_b32_e32 v4, s1
	v_add_co_u32_e32 v3, vcc, s0, v3
	v_addc_co_u32_e32 v4, vcc, 0, v4, vcc
	v_add_co_u32_e32 v3, vcc, 4, v3
	v_or_b32_e32 v6, 0x400, v0
	v_mov_b32_e32 v5, 0
	v_addc_co_u32_e32 v4, vcc, 0, v4, vcc
	s_mov_b64 s[4:5], 0
	s_mov_b32 s11, s3
	v_mov_b32_e32 v7, 0
.LBB34_2:                               ; =>This Inner Loop Header: Depth=1
	global_load_dwordx2 v[8:9], v[1:2], off
	global_load_dwordx2 v[10:11], v[3:4], off offset:-4
	s_add_i32 s12, s11, 1
	s_cmp_gt_u32 s11, 30
	v_cmp_le_i32_e64 s[0:1], s10, v6
	v_add_co_u32_e32 v1, vcc, 0x2000, v1
	s_mov_b32 s11, s12
	s_cselect_b64 s[12:13], -1, 0
	v_addc_co_u32_e32 v2, vcc, 0, v2, vcc
	s_or_b64 s[0:1], s[12:13], s[0:1]
	v_add_co_u32_e32 v3, vcc, 0x2000, v3
	s_and_b64 s[0:1], exec, s[0:1]
	v_add_u32_e32 v6, 0x400, v6
	v_addc_co_u32_e32 v4, vcc, 0, v4, vcc
	s_or_b64 s[4:5], s[0:1], s[4:5]
	s_waitcnt vmcnt(0)
	v_mul_f32_e32 v12, v11, v9
	v_mul_f32_e32 v9, v10, v9
	v_fma_f32 v10, v10, v8, -v12
	v_fmac_f32_e32 v9, v11, v8
	v_add_f32_e32 v7, v7, v10
	v_add_f32_e32 v5, v5, v9
	s_andn2_b64 exec, exec, s[4:5]
	s_cbranch_execnz .LBB34_2
; %bb.3:
	s_or_b64 exec, exec, s[4:5]
.LBB34_4:
	s_or_b64 exec, exec, s[8:9]
	v_and_b32_e32 v1, 63, v0
	v_cmp_gt_u32_e32 vcc, 64, v0
	v_lshlrev_b32_e32 v3, 3, v1
	s_and_saveexec_b64 s[0:1], vcc
; %bb.5:
	v_mov_b32_e32 v8, 0
	v_mov_b32_e32 v9, v8
	ds_write_b64 v3, v[8:9]
; %bb.6:
	s_or_b64 exec, exec, s[0:1]
	v_mbcnt_lo_u32_b32 v2, -1, 0
	v_mbcnt_hi_u32_b32 v9, -1, v2
	v_mov_b32_e32 v2, 0x80
	v_lshl_or_b32 v2, v9, 2, v2
	ds_bpermute_b32 v4, v2, v7
	ds_bpermute_b32 v2, v2, v5
	v_and_b32_e32 v10, 63, v9
	v_cmp_gt_u32_e64 s[0:1], 48, v10
	s_waitcnt lgkmcnt(0)
	v_add_f32_e32 v4, v7, v4
	v_add_f32_e32 v2, v5, v2
	v_cndmask_b32_e64 v5, 0, 16, s[0:1]
	v_add_lshl_u32 v5, v5, v9, 2
	ds_bpermute_b32 v6, v5, v4
	ds_bpermute_b32 v5, v5, v2
	v_cmp_gt_u32_e64 s[0:1], 56, v10
	s_waitcnt lgkmcnt(0)
	s_barrier
	v_add_f32_e32 v6, v4, v6
	v_cndmask_b32_e64 v4, 0, 8, s[0:1]
	v_add_lshl_u32 v4, v4, v9, 2
	v_add_f32_e32 v2, v2, v5
	ds_bpermute_b32 v5, v4, v6
	ds_bpermute_b32 v7, v4, v2
	v_cmp_gt_u32_e64 s[0:1], 60, v10
	s_waitcnt lgkmcnt(1)
	v_add_f32_e32 v6, v6, v5
	v_cndmask_b32_e64 v5, 0, 4, s[0:1]
	s_waitcnt lgkmcnt(0)
	v_add_f32_e32 v2, v2, v7
	v_add_lshl_u32 v5, v5, v9, 2
	ds_bpermute_b32 v8, v5, v2
	ds_bpermute_b32 v7, v5, v6
	v_cmp_gt_u32_e64 s[0:1], 62, v10
	s_waitcnt lgkmcnt(1)
	v_add_f32_e32 v8, v2, v8
	v_cndmask_b32_e64 v2, 0, 2, s[0:1]
	s_waitcnt lgkmcnt(0)
	v_add_f32_e32 v7, v6, v7
	v_add_lshl_u32 v6, v2, v9, 2
	ds_bpermute_b32 v2, v6, v7
	ds_bpermute_b32 v11, v6, v8
	v_cmp_ne_u32_e64 s[0:1], 63, v10
	s_waitcnt lgkmcnt(1)
	v_add_f32_e32 v2, v7, v2
	v_addc_co_u32_e64 v7, s[0:1], 0, v9, s[0:1]
	s_waitcnt lgkmcnt(0)
	v_add_f32_e32 v8, v8, v11
	v_lshlrev_b32_e32 v7, 2, v7
	ds_bpermute_b32 v9, v7, v2
	ds_bpermute_b32 v10, v7, v8
	v_cmp_eq_u32_e64 s[0:1], 0, v1
	s_and_saveexec_b64 s[4:5], s[0:1]
	s_cbranch_execz .LBB34_8
; %bb.7:
	s_waitcnt lgkmcnt(1)
	v_add_f32_e32 v1, v2, v9
	s_waitcnt lgkmcnt(0)
	v_add_f32_e32 v2, v8, v10
	v_lshrrev_b32_e32 v8, 3, v0
	v_and_b32_e32 v8, 0x78, v8
	ds_write_b64 v8, v[1:2]
.LBB34_8:
	s_or_b64 exec, exec, s[4:5]
	v_cmp_gt_u32_e64 s[0:1], 16, v0
	v_mov_b32_e32 v2, 0
	v_mov_b32_e32 v1, 0
	s_waitcnt lgkmcnt(0)
	s_barrier
	s_and_saveexec_b64 s[4:5], s[0:1]
	s_cbranch_execnz .LBB34_12
; %bb.9:
	s_or_b64 exec, exec, s[4:5]
	s_and_saveexec_b64 s[0:1], vcc
	s_cbranch_execnz .LBB34_13
.LBB34_10:
	s_or_b64 exec, exec, s[0:1]
	v_cmp_eq_u32_e32 vcc, 0, v0
	s_and_saveexec_b64 s[0:1], vcc
	s_cbranch_execnz .LBB34_14
.LBB34_11:
	s_endpgm
.LBB34_12:
	ds_read_b64 v[1:2], v3
	s_or_b64 exec, exec, s[4:5]
	s_and_saveexec_b64 s[0:1], vcc
	s_cbranch_execz .LBB34_10
.LBB34_13:
	s_waitcnt lgkmcnt(0)
	ds_bpermute_b32 v3, v4, v1
	ds_bpermute_b32 v4, v4, v2
	s_waitcnt lgkmcnt(1)
	v_add_f32_e32 v1, v1, v3
	s_waitcnt lgkmcnt(0)
	v_add_f32_e32 v2, v2, v4
	ds_bpermute_b32 v3, v5, v1
	ds_bpermute_b32 v4, v5, v2
	s_waitcnt lgkmcnt(1)
	v_add_f32_e32 v1, v1, v3
	s_waitcnt lgkmcnt(0)
	v_add_f32_e32 v2, v2, v4
	ds_bpermute_b32 v3, v6, v1
	ds_bpermute_b32 v4, v6, v2
	s_waitcnt lgkmcnt(1)
	v_add_f32_e32 v1, v1, v3
	s_waitcnt lgkmcnt(0)
	v_add_f32_e32 v2, v2, v4
	ds_bpermute_b32 v3, v7, v1
	ds_bpermute_b32 v4, v7, v2
	s_waitcnt lgkmcnt(1)
	v_add_f32_e32 v1, v1, v3
	s_waitcnt lgkmcnt(0)
	v_add_f32_e32 v2, v2, v4
	s_or_b64 exec, exec, s[0:1]
	v_cmp_eq_u32_e32 vcc, 0, v0
	s_and_saveexec_b64 s[0:1], vcc
	s_cbranch_execz .LBB34_11
.LBB34_14:
	s_lshl_b64 s[0:1], s[2:3], 3
	s_add_u32 s0, s6, s0
	s_addc_u32 s1, s7, s1
	v_mov_b32_e32 v0, 0
	s_waitcnt lgkmcnt(0)
	global_store_dwordx2 v0, v[1:2], s[0:1]
	s_endpgm
	.section	.rodata,"a",@progbits
	.p2align	6, 0x0
	.amdhsa_kernel _ZL26rocblas_dot_kernel_inc1by2ILb1ELi1024ELi32ELb0E19rocblas_complex_numIfEPKS1_S1_EviT4_llS4_lliPT5_PT3_
		.amdhsa_group_segment_fixed_size 512
		.amdhsa_private_segment_fixed_size 0
		.amdhsa_kernarg_size 80
		.amdhsa_user_sgpr_count 6
		.amdhsa_user_sgpr_private_segment_buffer 1
		.amdhsa_user_sgpr_dispatch_ptr 0
		.amdhsa_user_sgpr_queue_ptr 0
		.amdhsa_user_sgpr_kernarg_segment_ptr 1
		.amdhsa_user_sgpr_dispatch_id 0
		.amdhsa_user_sgpr_flat_scratch_init 0
		.amdhsa_user_sgpr_private_segment_size 0
		.amdhsa_uses_dynamic_stack 0
		.amdhsa_system_sgpr_private_segment_wavefront_offset 0
		.amdhsa_system_sgpr_workgroup_id_x 1
		.amdhsa_system_sgpr_workgroup_id_y 0
		.amdhsa_system_sgpr_workgroup_id_z 1
		.amdhsa_system_sgpr_workgroup_info 0
		.amdhsa_system_vgpr_workitem_id 0
		.amdhsa_next_free_vgpr 13
		.amdhsa_next_free_sgpr 22
		.amdhsa_reserve_vcc 1
		.amdhsa_reserve_flat_scratch 0
		.amdhsa_float_round_mode_32 0
		.amdhsa_float_round_mode_16_64 0
		.amdhsa_float_denorm_mode_32 3
		.amdhsa_float_denorm_mode_16_64 3
		.amdhsa_dx10_clamp 1
		.amdhsa_ieee_mode 1
		.amdhsa_fp16_overflow 0
		.amdhsa_exception_fp_ieee_invalid_op 0
		.amdhsa_exception_fp_denorm_src 0
		.amdhsa_exception_fp_ieee_div_zero 0
		.amdhsa_exception_fp_ieee_overflow 0
		.amdhsa_exception_fp_ieee_underflow 0
		.amdhsa_exception_fp_ieee_inexact 0
		.amdhsa_exception_int_div_zero 0
	.end_amdhsa_kernel
	.section	.text._ZL26rocblas_dot_kernel_inc1by2ILb1ELi1024ELi32ELb0E19rocblas_complex_numIfEPKS1_S1_EviT4_llS4_lliPT5_PT3_,"axG",@progbits,_ZL26rocblas_dot_kernel_inc1by2ILb1ELi1024ELi32ELb0E19rocblas_complex_numIfEPKS1_S1_EviT4_llS4_lliPT5_PT3_,comdat
.Lfunc_end34:
	.size	_ZL26rocblas_dot_kernel_inc1by2ILb1ELi1024ELi32ELb0E19rocblas_complex_numIfEPKS1_S1_EviT4_llS4_lliPT5_PT3_, .Lfunc_end34-_ZL26rocblas_dot_kernel_inc1by2ILb1ELi1024ELi32ELb0E19rocblas_complex_numIfEPKS1_S1_EviT4_llS4_lliPT5_PT3_
                                        ; -- End function
	.set _ZL26rocblas_dot_kernel_inc1by2ILb1ELi1024ELi32ELb0E19rocblas_complex_numIfEPKS1_S1_EviT4_llS4_lliPT5_PT3_.num_vgpr, 13
	.set _ZL26rocblas_dot_kernel_inc1by2ILb1ELi1024ELi32ELb0E19rocblas_complex_numIfEPKS1_S1_EviT4_llS4_lliPT5_PT3_.num_agpr, 0
	.set _ZL26rocblas_dot_kernel_inc1by2ILb1ELi1024ELi32ELb0E19rocblas_complex_numIfEPKS1_S1_EviT4_llS4_lliPT5_PT3_.numbered_sgpr, 22
	.set _ZL26rocblas_dot_kernel_inc1by2ILb1ELi1024ELi32ELb0E19rocblas_complex_numIfEPKS1_S1_EviT4_llS4_lliPT5_PT3_.num_named_barrier, 0
	.set _ZL26rocblas_dot_kernel_inc1by2ILb1ELi1024ELi32ELb0E19rocblas_complex_numIfEPKS1_S1_EviT4_llS4_lliPT5_PT3_.private_seg_size, 0
	.set _ZL26rocblas_dot_kernel_inc1by2ILb1ELi1024ELi32ELb0E19rocblas_complex_numIfEPKS1_S1_EviT4_llS4_lliPT5_PT3_.uses_vcc, 1
	.set _ZL26rocblas_dot_kernel_inc1by2ILb1ELi1024ELi32ELb0E19rocblas_complex_numIfEPKS1_S1_EviT4_llS4_lliPT5_PT3_.uses_flat_scratch, 0
	.set _ZL26rocblas_dot_kernel_inc1by2ILb1ELi1024ELi32ELb0E19rocblas_complex_numIfEPKS1_S1_EviT4_llS4_lliPT5_PT3_.has_dyn_sized_stack, 0
	.set _ZL26rocblas_dot_kernel_inc1by2ILb1ELi1024ELi32ELb0E19rocblas_complex_numIfEPKS1_S1_EviT4_llS4_lliPT5_PT3_.has_recursion, 0
	.set _ZL26rocblas_dot_kernel_inc1by2ILb1ELi1024ELi32ELb0E19rocblas_complex_numIfEPKS1_S1_EviT4_llS4_lliPT5_PT3_.has_indirect_call, 0
	.section	.AMDGPU.csdata,"",@progbits
; Kernel info:
; codeLenInByte = 1036
; TotalNumSgprs: 26
; NumVgprs: 13
; ScratchSize: 0
; MemoryBound: 0
; FloatMode: 240
; IeeeMode: 1
; LDSByteSize: 512 bytes/workgroup (compile time only)
; SGPRBlocks: 3
; VGPRBlocks: 3
; NumSGPRsForWavesPerEU: 26
; NumVGPRsForWavesPerEU: 13
; Occupancy: 10
; WaveLimiterHint : 0
; COMPUTE_PGM_RSRC2:SCRATCH_EN: 0
; COMPUTE_PGM_RSRC2:USER_SGPR: 6
; COMPUTE_PGM_RSRC2:TRAP_HANDLER: 0
; COMPUTE_PGM_RSRC2:TGID_X_EN: 1
; COMPUTE_PGM_RSRC2:TGID_Y_EN: 0
; COMPUTE_PGM_RSRC2:TGID_Z_EN: 1
; COMPUTE_PGM_RSRC2:TIDIG_COMP_CNT: 0
	.section	.text._ZL18rocblas_dot_kernelIiLb1ELi1024ELi32ELb0E19rocblas_complex_numIfEPKS1_S1_EviT5_lT_lS4_lS5_liPT6_PT4_,"axG",@progbits,_ZL18rocblas_dot_kernelIiLb1ELi1024ELi32ELb0E19rocblas_complex_numIfEPKS1_S1_EviT5_lT_lS4_lS5_liPT6_PT4_,comdat
	.globl	_ZL18rocblas_dot_kernelIiLb1ELi1024ELi32ELb0E19rocblas_complex_numIfEPKS1_S1_EviT5_lT_lS4_lS5_liPT6_PT4_ ; -- Begin function _ZL18rocblas_dot_kernelIiLb1ELi1024ELi32ELb0E19rocblas_complex_numIfEPKS1_S1_EviT5_lT_lS4_lS5_liPT6_PT4_
	.p2align	8
	.type	_ZL18rocblas_dot_kernelIiLb1ELi1024ELi32ELb0E19rocblas_complex_numIfEPKS1_S1_EviT5_lT_lS4_lS5_liPT6_PT4_,@function
_ZL18rocblas_dot_kernelIiLb1ELi1024ELi32ELb0E19rocblas_complex_numIfEPKS1_S1_EviT5_lT_lS4_lS5_liPT6_PT4_: ; @_ZL18rocblas_dot_kernelIiLb1ELi1024ELi32ELb0E19rocblas_complex_numIfEPKS1_S1_EviT5_lT_lS4_lS5_liPT6_PT4_
; %bb.0:
	s_load_dword s14, s[4:5], 0x0
	s_load_dwordx2 s[8:9], s[4:5], 0x58
	s_mov_b32 s6, s7
	s_mov_b32 s7, 0
	v_mov_b32_e32 v6, 0
	s_waitcnt lgkmcnt(0)
	v_cmp_gt_i32_e32 vcc, s14, v0
	v_mov_b32_e32 v7, 0
	s_and_saveexec_b64 s[10:11], vcc
	s_cbranch_execz .LBB35_4
; %bb.1:
	s_load_dword s22, s[4:5], 0x38
	s_load_dwordx2 s[12:13], s[4:5], 0x40
	s_load_dword s15, s[4:5], 0x60
	s_load_dwordx4 s[0:3], s[4:5], 0x20
	s_load_dwordx4 s[16:19], s[4:5], 0x8
	s_load_dword s23, s[4:5], 0x18
	s_load_dwordx2 s[20:21], s[4:5], 0x30
	s_waitcnt lgkmcnt(0)
	s_lshl_b32 s15, s15, 10
	s_mul_i32 s1, s1, s6
	s_mul_hi_u32 s24, s0, s6
	v_mad_i64_i32 v[1:2], s[4:5], s23, v0, 0
	s_add_i32 s1, s24, s1
	s_mul_i32 s0, s0, s6
	s_lshl_b64 s[0:1], s[0:1], 3
	s_lshl_b64 s[4:5], s[18:19], 3
	s_add_u32 s4, s16, s4
	s_addc_u32 s5, s17, s5
	v_lshlrev_b64 v[1:2], 3, v[1:2]
	s_add_u32 s0, s4, s0
	s_addc_u32 s1, s5, s1
	v_mov_b32_e32 v3, s1
	v_add_co_u32_e32 v1, vcc, s0, v1
	s_mul_hi_i32 s1, s23, s15
	s_mul_i32 s0, s23, s15
	v_addc_co_u32_e32 v2, vcc, v3, v2, vcc
	s_lshl_b64 s[4:5], s[0:1], 3
	s_mul_i32 s13, s13, s6
	s_mul_hi_u32 s16, s12, s6
	v_mad_i64_i32 v[3:4], s[0:1], s22, v0, 0
	s_add_i32 s1, s16, s13
	s_mul_i32 s0, s12, s6
	s_lshl_b64 s[0:1], s[0:1], 3
	s_lshl_b64 s[12:13], s[20:21], 3
	s_add_u32 s2, s2, s12
	s_addc_u32 s3, s3, s13
	v_add_co_u32_e32 v1, vcc, 4, v1
	v_lshlrev_b64 v[3:4], 3, v[3:4]
	s_add_u32 s0, s2, s0
	v_addc_co_u32_e32 v2, vcc, 0, v2, vcc
	s_addc_u32 s1, s3, s1
	v_mov_b32_e32 v6, s1
	v_add_co_u32_e32 v3, vcc, s0, v3
	s_mul_hi_i32 s1, s22, s15
	s_mul_i32 s0, s22, s15
	s_lshl_b64 s[2:3], s[0:1], 3
	v_or_b32_e32 v5, s15, v0
	v_addc_co_u32_e32 v4, vcc, v6, v4, vcc
	v_mov_b32_e32 v6, 0
	s_mov_b64 s[12:13], 0
	v_mov_b32_e32 v8, s5
	v_mov_b32_e32 v9, s3
	s_mov_b32 s3, s7
	v_mov_b32_e32 v7, 0
.LBB35_2:                               ; =>This Inner Loop Header: Depth=1
	global_load_dwordx2 v[10:11], v[3:4], off
	global_load_dwordx2 v[12:13], v[1:2], off offset:-4
	v_add_co_u32_e64 v1, s[0:1], s4, v1
	v_addc_co_u32_e64 v2, s[0:1], v2, v8, s[0:1]
	s_add_i32 s5, s3, 1
	v_add_co_u32_e64 v3, s[0:1], s2, v3
	v_addc_co_u32_e64 v4, s[0:1], v4, v9, s[0:1]
	s_cmp_gt_u32 s3, 30
	v_cmp_le_i32_e32 vcc, s14, v5
	s_cselect_b64 s[0:1], -1, 0
	s_or_b64 s[0:1], s[0:1], vcc
	s_and_b64 s[0:1], exec, s[0:1]
	v_add_u32_e32 v5, s15, v5
	s_mov_b32 s3, s5
	s_or_b64 s[12:13], s[0:1], s[12:13]
	s_waitcnt vmcnt(0)
	v_mul_f32_e32 v14, v13, v11
	v_mul_f32_e32 v11, v12, v11
	v_fma_f32 v12, v12, v10, -v14
	v_fmac_f32_e32 v11, v13, v10
	v_add_f32_e32 v7, v7, v12
	v_add_f32_e32 v6, v6, v11
	s_andn2_b64 exec, exec, s[12:13]
	s_cbranch_execnz .LBB35_2
; %bb.3:
	s_or_b64 exec, exec, s[12:13]
.LBB35_4:
	s_or_b64 exec, exec, s[10:11]
	v_and_b32_e32 v1, 63, v0
	v_cmp_gt_u32_e32 vcc, 64, v0
	v_lshlrev_b32_e32 v3, 3, v1
	s_and_saveexec_b64 s[0:1], vcc
; %bb.5:
	v_mov_b32_e32 v4, 0
	v_mov_b32_e32 v5, v4
	ds_write_b64 v3, v[4:5]
; %bb.6:
	s_or_b64 exec, exec, s[0:1]
	v_mbcnt_lo_u32_b32 v2, -1, 0
	v_mbcnt_hi_u32_b32 v9, -1, v2
	v_mov_b32_e32 v2, 0x80
	v_lshl_or_b32 v2, v9, 2, v2
	ds_bpermute_b32 v4, v2, v7
	ds_bpermute_b32 v2, v2, v6
	v_and_b32_e32 v10, 63, v9
	v_cmp_gt_u32_e64 s[0:1], 48, v10
	v_cndmask_b32_e64 v5, 0, 16, s[0:1]
	s_waitcnt lgkmcnt(1)
	v_add_f32_e32 v4, v7, v4
	v_add_lshl_u32 v5, v5, v9, 2
	s_waitcnt lgkmcnt(0)
	v_add_f32_e32 v2, v6, v2
	ds_bpermute_b32 v6, v5, v4
	ds_bpermute_b32 v5, v5, v2
	v_cmp_gt_u32_e64 s[0:1], 56, v10
	s_waitcnt lgkmcnt(0)
	s_barrier
	v_add_f32_e32 v6, v4, v6
	v_cndmask_b32_e64 v4, 0, 8, s[0:1]
	v_add_lshl_u32 v4, v4, v9, 2
	v_add_f32_e32 v2, v2, v5
	ds_bpermute_b32 v5, v4, v6
	ds_bpermute_b32 v7, v4, v2
	v_cmp_gt_u32_e64 s[0:1], 60, v10
	s_waitcnt lgkmcnt(0)
	v_add_f32_e32 v6, v6, v5
	v_cndmask_b32_e64 v5, 0, 4, s[0:1]
	v_add_f32_e32 v2, v2, v7
	v_add_lshl_u32 v5, v5, v9, 2
	ds_bpermute_b32 v8, v5, v2
	ds_bpermute_b32 v7, v5, v6
	v_cmp_gt_u32_e64 s[0:1], 62, v10
	s_waitcnt lgkmcnt(1)
	v_add_f32_e32 v8, v2, v8
	v_cndmask_b32_e64 v2, 0, 2, s[0:1]
	s_waitcnt lgkmcnt(0)
	v_add_f32_e32 v7, v6, v7
	v_add_lshl_u32 v6, v2, v9, 2
	ds_bpermute_b32 v2, v6, v7
	ds_bpermute_b32 v11, v6, v8
	v_cmp_ne_u32_e64 s[0:1], 63, v10
	s_waitcnt lgkmcnt(1)
	v_add_f32_e32 v2, v7, v2
	v_addc_co_u32_e64 v7, s[0:1], 0, v9, s[0:1]
	s_waitcnt lgkmcnt(0)
	v_add_f32_e32 v8, v8, v11
	v_lshlrev_b32_e32 v7, 2, v7
	ds_bpermute_b32 v9, v7, v2
	ds_bpermute_b32 v10, v7, v8
	v_cmp_eq_u32_e64 s[0:1], 0, v1
	s_and_saveexec_b64 s[2:3], s[0:1]
	s_cbranch_execz .LBB35_8
; %bb.7:
	s_waitcnt lgkmcnt(1)
	v_add_f32_e32 v1, v2, v9
	s_waitcnt lgkmcnt(0)
	v_add_f32_e32 v2, v8, v10
	v_lshrrev_b32_e32 v8, 3, v0
	v_and_b32_e32 v8, 0x78, v8
	ds_write_b64 v8, v[1:2]
.LBB35_8:
	s_or_b64 exec, exec, s[2:3]
	v_cmp_gt_u32_e64 s[0:1], 16, v0
	v_mov_b32_e32 v2, 0
	v_mov_b32_e32 v1, 0
	s_waitcnt lgkmcnt(0)
	s_barrier
	s_and_saveexec_b64 s[2:3], s[0:1]
	s_cbranch_execnz .LBB35_12
; %bb.9:
	s_or_b64 exec, exec, s[2:3]
	s_and_saveexec_b64 s[0:1], vcc
	s_cbranch_execnz .LBB35_13
.LBB35_10:
	s_or_b64 exec, exec, s[0:1]
	v_cmp_eq_u32_e32 vcc, 0, v0
	s_and_saveexec_b64 s[0:1], vcc
	s_cbranch_execnz .LBB35_14
.LBB35_11:
	s_endpgm
.LBB35_12:
	ds_read_b64 v[1:2], v3
	s_or_b64 exec, exec, s[2:3]
	s_and_saveexec_b64 s[0:1], vcc
	s_cbranch_execz .LBB35_10
.LBB35_13:
	s_waitcnt lgkmcnt(0)
	ds_bpermute_b32 v3, v4, v1
	ds_bpermute_b32 v4, v4, v2
	s_waitcnt lgkmcnt(1)
	v_add_f32_e32 v1, v1, v3
	s_waitcnt lgkmcnt(0)
	v_add_f32_e32 v2, v2, v4
	ds_bpermute_b32 v3, v5, v1
	ds_bpermute_b32 v4, v5, v2
	s_waitcnt lgkmcnt(1)
	v_add_f32_e32 v1, v1, v3
	s_waitcnt lgkmcnt(0)
	v_add_f32_e32 v2, v2, v4
	;; [unrolled: 6-line block ×4, first 2 shown]
	s_or_b64 exec, exec, s[0:1]
	v_cmp_eq_u32_e32 vcc, 0, v0
	s_and_saveexec_b64 s[0:1], vcc
	s_cbranch_execz .LBB35_11
.LBB35_14:
	s_lshl_b64 s[0:1], s[6:7], 3
	s_add_u32 s0, s8, s0
	s_addc_u32 s1, s9, s1
	v_mov_b32_e32 v0, 0
	s_waitcnt lgkmcnt(0)
	global_store_dwordx2 v0, v[1:2], s[0:1]
	s_endpgm
	.section	.rodata,"a",@progbits
	.p2align	6, 0x0
	.amdhsa_kernel _ZL18rocblas_dot_kernelIiLb1ELi1024ELi32ELb0E19rocblas_complex_numIfEPKS1_S1_EviT5_lT_lS4_lS5_liPT6_PT4_
		.amdhsa_group_segment_fixed_size 512
		.amdhsa_private_segment_fixed_size 0
		.amdhsa_kernarg_size 352
		.amdhsa_user_sgpr_count 6
		.amdhsa_user_sgpr_private_segment_buffer 1
		.amdhsa_user_sgpr_dispatch_ptr 0
		.amdhsa_user_sgpr_queue_ptr 0
		.amdhsa_user_sgpr_kernarg_segment_ptr 1
		.amdhsa_user_sgpr_dispatch_id 0
		.amdhsa_user_sgpr_flat_scratch_init 0
		.amdhsa_user_sgpr_private_segment_size 0
		.amdhsa_uses_dynamic_stack 0
		.amdhsa_system_sgpr_private_segment_wavefront_offset 0
		.amdhsa_system_sgpr_workgroup_id_x 1
		.amdhsa_system_sgpr_workgroup_id_y 0
		.amdhsa_system_sgpr_workgroup_id_z 1
		.amdhsa_system_sgpr_workgroup_info 0
		.amdhsa_system_vgpr_workitem_id 0
		.amdhsa_next_free_vgpr 15
		.amdhsa_next_free_sgpr 25
		.amdhsa_reserve_vcc 1
		.amdhsa_reserve_flat_scratch 0
		.amdhsa_float_round_mode_32 0
		.amdhsa_float_round_mode_16_64 0
		.amdhsa_float_denorm_mode_32 3
		.amdhsa_float_denorm_mode_16_64 3
		.amdhsa_dx10_clamp 1
		.amdhsa_ieee_mode 1
		.amdhsa_fp16_overflow 0
		.amdhsa_exception_fp_ieee_invalid_op 0
		.amdhsa_exception_fp_denorm_src 0
		.amdhsa_exception_fp_ieee_div_zero 0
		.amdhsa_exception_fp_ieee_overflow 0
		.amdhsa_exception_fp_ieee_underflow 0
		.amdhsa_exception_fp_ieee_inexact 0
		.amdhsa_exception_int_div_zero 0
	.end_amdhsa_kernel
	.section	.text._ZL18rocblas_dot_kernelIiLb1ELi1024ELi32ELb0E19rocblas_complex_numIfEPKS1_S1_EviT5_lT_lS4_lS5_liPT6_PT4_,"axG",@progbits,_ZL18rocblas_dot_kernelIiLb1ELi1024ELi32ELb0E19rocblas_complex_numIfEPKS1_S1_EviT5_lT_lS4_lS5_liPT6_PT4_,comdat
.Lfunc_end35:
	.size	_ZL18rocblas_dot_kernelIiLb1ELi1024ELi32ELb0E19rocblas_complex_numIfEPKS1_S1_EviT5_lT_lS4_lS5_liPT6_PT4_, .Lfunc_end35-_ZL18rocblas_dot_kernelIiLb1ELi1024ELi32ELb0E19rocblas_complex_numIfEPKS1_S1_EviT5_lT_lS4_lS5_liPT6_PT4_
                                        ; -- End function
	.set _ZL18rocblas_dot_kernelIiLb1ELi1024ELi32ELb0E19rocblas_complex_numIfEPKS1_S1_EviT5_lT_lS4_lS5_liPT6_PT4_.num_vgpr, 15
	.set _ZL18rocblas_dot_kernelIiLb1ELi1024ELi32ELb0E19rocblas_complex_numIfEPKS1_S1_EviT5_lT_lS4_lS5_liPT6_PT4_.num_agpr, 0
	.set _ZL18rocblas_dot_kernelIiLb1ELi1024ELi32ELb0E19rocblas_complex_numIfEPKS1_S1_EviT5_lT_lS4_lS5_liPT6_PT4_.numbered_sgpr, 25
	.set _ZL18rocblas_dot_kernelIiLb1ELi1024ELi32ELb0E19rocblas_complex_numIfEPKS1_S1_EviT5_lT_lS4_lS5_liPT6_PT4_.num_named_barrier, 0
	.set _ZL18rocblas_dot_kernelIiLb1ELi1024ELi32ELb0E19rocblas_complex_numIfEPKS1_S1_EviT5_lT_lS4_lS5_liPT6_PT4_.private_seg_size, 0
	.set _ZL18rocblas_dot_kernelIiLb1ELi1024ELi32ELb0E19rocblas_complex_numIfEPKS1_S1_EviT5_lT_lS4_lS5_liPT6_PT4_.uses_vcc, 1
	.set _ZL18rocblas_dot_kernelIiLb1ELi1024ELi32ELb0E19rocblas_complex_numIfEPKS1_S1_EviT5_lT_lS4_lS5_liPT6_PT4_.uses_flat_scratch, 0
	.set _ZL18rocblas_dot_kernelIiLb1ELi1024ELi32ELb0E19rocblas_complex_numIfEPKS1_S1_EviT5_lT_lS4_lS5_liPT6_PT4_.has_dyn_sized_stack, 0
	.set _ZL18rocblas_dot_kernelIiLb1ELi1024ELi32ELb0E19rocblas_complex_numIfEPKS1_S1_EviT5_lT_lS4_lS5_liPT6_PT4_.has_recursion, 0
	.set _ZL18rocblas_dot_kernelIiLb1ELi1024ELi32ELb0E19rocblas_complex_numIfEPKS1_S1_EviT5_lT_lS4_lS5_liPT6_PT4_.has_indirect_call, 0
	.section	.AMDGPU.csdata,"",@progbits
; Kernel info:
; codeLenInByte = 1120
; TotalNumSgprs: 29
; NumVgprs: 15
; ScratchSize: 0
; MemoryBound: 0
; FloatMode: 240
; IeeeMode: 1
; LDSByteSize: 512 bytes/workgroup (compile time only)
; SGPRBlocks: 3
; VGPRBlocks: 3
; NumSGPRsForWavesPerEU: 29
; NumVGPRsForWavesPerEU: 15
; Occupancy: 10
; WaveLimiterHint : 0
; COMPUTE_PGM_RSRC2:SCRATCH_EN: 0
; COMPUTE_PGM_RSRC2:USER_SGPR: 6
; COMPUTE_PGM_RSRC2:TRAP_HANDLER: 0
; COMPUTE_PGM_RSRC2:TGID_X_EN: 1
; COMPUTE_PGM_RSRC2:TGID_Y_EN: 0
; COMPUTE_PGM_RSRC2:TGID_Z_EN: 1
; COMPUTE_PGM_RSRC2:TIDIG_COMP_CNT: 0
	.section	.text._ZL24rocblas_dot_kernel_magsqIiLb1ELi1024ELi32ELb0E19rocblas_complex_numIfEPKS1_S1_EviT5_lT_liPT6_PT4_,"axG",@progbits,_ZL24rocblas_dot_kernel_magsqIiLb1ELi1024ELi32ELb0E19rocblas_complex_numIfEPKS1_S1_EviT5_lT_liPT6_PT4_,comdat
	.globl	_ZL24rocblas_dot_kernel_magsqIiLb1ELi1024ELi32ELb0E19rocblas_complex_numIfEPKS1_S1_EviT5_lT_liPT6_PT4_ ; -- Begin function _ZL24rocblas_dot_kernel_magsqIiLb1ELi1024ELi32ELb0E19rocblas_complex_numIfEPKS1_S1_EviT5_lT_liPT6_PT4_
	.p2align	8
	.type	_ZL24rocblas_dot_kernel_magsqIiLb1ELi1024ELi32ELb0E19rocblas_complex_numIfEPKS1_S1_EviT5_lT_liPT6_PT4_,@function
_ZL24rocblas_dot_kernel_magsqIiLb1ELi1024ELi32ELb0E19rocblas_complex_numIfEPKS1_S1_EviT5_lT_liPT6_PT4_: ; @_ZL24rocblas_dot_kernel_magsqIiLb1ELi1024ELi32ELb0E19rocblas_complex_numIfEPKS1_S1_EviT5_lT_liPT6_PT4_
; %bb.0:
	s_mov_b32 s2, s7
	s_load_dword s12, s[4:5], 0x0
	s_load_dwordx2 s[6:7], s[4:5], 0x38
	s_mov_b32 s3, 0
	v_mov_b32_e32 v3, 0
	v_mov_b32_e32 v5, 0
	s_waitcnt lgkmcnt(0)
	v_cmp_gt_i32_e32 vcc, s12, v0
	s_and_saveexec_b64 s[8:9], vcc
	s_cbranch_execz .LBB36_4
; %bb.1:
	s_load_dword s10, s[4:5], 0x40
	s_load_dwordx2 s[0:1], s[4:5], 0x20
	s_load_dwordx4 s[16:19], s[4:5], 0x8
	s_load_dword s11, s[4:5], 0x18
	v_mov_b32_e32 v5, 0
	s_waitcnt lgkmcnt(0)
	s_lshl_b32 s13, s10, 10
	s_mul_i32 s1, s1, s2
	s_mul_hi_u32 s10, s0, s2
	v_mad_i64_i32 v[1:2], s[4:5], s11, v0, 0
	s_add_i32 s1, s10, s1
	s_mul_i32 s0, s0, s2
	s_lshl_b64 s[0:1], s[0:1], 3
	s_lshl_b64 s[4:5], s[18:19], 3
	s_add_u32 s4, s16, s4
	s_addc_u32 s5, s17, s5
	v_lshlrev_b64 v[1:2], 3, v[1:2]
	s_add_u32 s0, s4, s0
	s_addc_u32 s1, s5, s1
	v_mov_b32_e32 v3, s1
	v_add_co_u32_e32 v1, vcc, s0, v1
	s_mul_hi_i32 s1, s11, s13
	s_mul_i32 s0, s11, s13
	s_lshl_b64 s[4:5], s[0:1], 3
	v_or_b32_e32 v4, s13, v0
	v_addc_co_u32_e32 v2, vcc, v3, v2, vcc
	v_mov_b32_e32 v3, 0
	s_mov_b64 s[10:11], 0
	v_mov_b32_e32 v6, s5
	s_mov_b32 s5, s3
.LBB36_2:                               ; =>This Inner Loop Header: Depth=1
	global_load_dwordx2 v[7:8], v[1:2], off
	s_add_i32 s14, s5, 1
	v_add_co_u32_e64 v1, s[0:1], s4, v1
	v_addc_co_u32_e64 v2, s[0:1], v2, v6, s[0:1]
	s_cmp_gt_u32 s5, 30
	v_cmp_le_i32_e32 vcc, s12, v4
	s_cselect_b64 s[0:1], -1, 0
	s_or_b64 s[0:1], s[0:1], vcc
	s_and_b64 s[0:1], exec, s[0:1]
	v_add_u32_e32 v4, s13, v4
	s_mov_b32 s5, s14
	s_or_b64 s[10:11], s[0:1], s[10:11]
	s_waitcnt vmcnt(0)
	v_mul_f32_e32 v9, v8, v8
	v_mul_f32_e32 v8, v7, v8
	v_fma_f32 v7, v7, v7, -v9
	v_fmac_f32_e32 v3, 2.0, v8
	v_add_f32_e32 v5, v5, v7
	s_andn2_b64 exec, exec, s[10:11]
	s_cbranch_execnz .LBB36_2
; %bb.3:
	s_or_b64 exec, exec, s[10:11]
.LBB36_4:
	s_or_b64 exec, exec, s[8:9]
	v_and_b32_e32 v1, 63, v0
	v_cmp_gt_u32_e32 vcc, 64, v0
	v_lshlrev_b32_e32 v4, 3, v1
	s_and_saveexec_b64 s[0:1], vcc
; %bb.5:
	v_mov_b32_e32 v6, 0
	v_mov_b32_e32 v7, v6
	ds_write_b64 v4, v[6:7]
; %bb.6:
	s_or_b64 exec, exec, s[0:1]
	v_mbcnt_lo_u32_b32 v2, -1, 0
	v_mbcnt_hi_u32_b32 v7, -1, v2
	v_mov_b32_e32 v2, 0x80
	v_lshl_or_b32 v2, v7, 2, v2
	ds_bpermute_b32 v6, v2, v5
	ds_bpermute_b32 v2, v2, v3
	v_and_b32_e32 v9, 63, v7
	v_cmp_gt_u32_e64 s[0:1], 48, v9
	s_waitcnt lgkmcnt(0)
	v_add_f32_e32 v5, v5, v6
	v_add_f32_e32 v2, v3, v2
	v_cndmask_b32_e64 v3, 0, 16, s[0:1]
	v_add_lshl_u32 v3, v3, v7, 2
	ds_bpermute_b32 v6, v3, v5
	ds_bpermute_b32 v3, v3, v2
	v_cmp_gt_u32_e64 s[0:1], 56, v9
	s_waitcnt lgkmcnt(0)
	s_barrier
	v_add_f32_e32 v5, v5, v6
	v_add_f32_e32 v2, v2, v3
	v_cndmask_b32_e64 v3, 0, 8, s[0:1]
	v_add_lshl_u32 v3, v3, v7, 2
	ds_bpermute_b32 v6, v3, v5
	ds_bpermute_b32 v8, v3, v2
	v_cmp_gt_u32_e64 s[0:1], 60, v9
	s_waitcnt lgkmcnt(1)
	v_add_f32_e32 v6, v5, v6
	v_cndmask_b32_e64 v5, 0, 4, s[0:1]
	s_waitcnt lgkmcnt(0)
	v_add_f32_e32 v2, v2, v8
	v_add_lshl_u32 v5, v5, v7, 2
	ds_bpermute_b32 v10, v5, v2
	ds_bpermute_b32 v8, v5, v6
	v_cmp_gt_u32_e64 s[0:1], 62, v9
	s_waitcnt lgkmcnt(1)
	v_add_f32_e32 v10, v2, v10
	v_cndmask_b32_e64 v2, 0, 2, s[0:1]
	s_waitcnt lgkmcnt(0)
	v_add_f32_e32 v8, v6, v8
	v_add_lshl_u32 v6, v2, v7, 2
	ds_bpermute_b32 v2, v6, v8
	ds_bpermute_b32 v11, v6, v10
	v_cmp_ne_u32_e64 s[0:1], 63, v9
	v_addc_co_u32_e64 v7, s[0:1], 0, v7, s[0:1]
	s_waitcnt lgkmcnt(1)
	v_add_f32_e32 v2, v8, v2
	s_waitcnt lgkmcnt(0)
	v_add_f32_e32 v8, v10, v11
	v_lshlrev_b32_e32 v7, 2, v7
	ds_bpermute_b32 v9, v7, v2
	ds_bpermute_b32 v10, v7, v8
	v_cmp_eq_u32_e64 s[0:1], 0, v1
	s_and_saveexec_b64 s[4:5], s[0:1]
	s_cbranch_execz .LBB36_8
; %bb.7:
	s_waitcnt lgkmcnt(1)
	v_add_f32_e32 v1, v2, v9
	s_waitcnt lgkmcnt(0)
	v_add_f32_e32 v2, v8, v10
	v_lshrrev_b32_e32 v8, 3, v0
	v_and_b32_e32 v8, 0x78, v8
	ds_write_b64 v8, v[1:2]
.LBB36_8:
	s_or_b64 exec, exec, s[4:5]
	v_cmp_gt_u32_e64 s[0:1], 16, v0
	v_mov_b32_e32 v2, 0
	v_mov_b32_e32 v1, 0
	s_waitcnt lgkmcnt(0)
	s_barrier
	s_and_saveexec_b64 s[4:5], s[0:1]
	s_cbranch_execnz .LBB36_12
; %bb.9:
	s_or_b64 exec, exec, s[4:5]
	s_and_saveexec_b64 s[0:1], vcc
	s_cbranch_execnz .LBB36_13
.LBB36_10:
	s_or_b64 exec, exec, s[0:1]
	v_cmp_eq_u32_e32 vcc, 0, v0
	s_and_saveexec_b64 s[0:1], vcc
	s_cbranch_execnz .LBB36_14
.LBB36_11:
	s_endpgm
.LBB36_12:
	ds_read_b64 v[1:2], v4
	s_or_b64 exec, exec, s[4:5]
	s_and_saveexec_b64 s[0:1], vcc
	s_cbranch_execz .LBB36_10
.LBB36_13:
	s_waitcnt lgkmcnt(0)
	ds_bpermute_b32 v4, v3, v1
	ds_bpermute_b32 v3, v3, v2
	s_waitcnt lgkmcnt(1)
	v_add_f32_e32 v1, v1, v4
	s_waitcnt lgkmcnt(0)
	v_add_f32_e32 v2, v2, v3
	ds_bpermute_b32 v3, v5, v1
	ds_bpermute_b32 v4, v5, v2
	s_waitcnt lgkmcnt(1)
	v_add_f32_e32 v1, v1, v3
	s_waitcnt lgkmcnt(0)
	v_add_f32_e32 v2, v2, v4
	;; [unrolled: 6-line block ×4, first 2 shown]
	s_or_b64 exec, exec, s[0:1]
	v_cmp_eq_u32_e32 vcc, 0, v0
	s_and_saveexec_b64 s[0:1], vcc
	s_cbranch_execz .LBB36_11
.LBB36_14:
	s_lshl_b64 s[0:1], s[2:3], 3
	s_add_u32 s0, s6, s0
	s_addc_u32 s1, s7, s1
	v_mov_b32_e32 v0, 0
	s_waitcnt lgkmcnt(0)
	global_store_dwordx2 v0, v[1:2], s[0:1]
	s_endpgm
	.section	.rodata,"a",@progbits
	.p2align	6, 0x0
	.amdhsa_kernel _ZL24rocblas_dot_kernel_magsqIiLb1ELi1024ELi32ELb0E19rocblas_complex_numIfEPKS1_S1_EviT5_lT_liPT6_PT4_
		.amdhsa_group_segment_fixed_size 512
		.amdhsa_private_segment_fixed_size 0
		.amdhsa_kernarg_size 320
		.amdhsa_user_sgpr_count 6
		.amdhsa_user_sgpr_private_segment_buffer 1
		.amdhsa_user_sgpr_dispatch_ptr 0
		.amdhsa_user_sgpr_queue_ptr 0
		.amdhsa_user_sgpr_kernarg_segment_ptr 1
		.amdhsa_user_sgpr_dispatch_id 0
		.amdhsa_user_sgpr_flat_scratch_init 0
		.amdhsa_user_sgpr_private_segment_size 0
		.amdhsa_uses_dynamic_stack 0
		.amdhsa_system_sgpr_private_segment_wavefront_offset 0
		.amdhsa_system_sgpr_workgroup_id_x 1
		.amdhsa_system_sgpr_workgroup_id_y 0
		.amdhsa_system_sgpr_workgroup_id_z 1
		.amdhsa_system_sgpr_workgroup_info 0
		.amdhsa_system_vgpr_workitem_id 0
		.amdhsa_next_free_vgpr 12
		.amdhsa_next_free_sgpr 20
		.amdhsa_reserve_vcc 1
		.amdhsa_reserve_flat_scratch 0
		.amdhsa_float_round_mode_32 0
		.amdhsa_float_round_mode_16_64 0
		.amdhsa_float_denorm_mode_32 3
		.amdhsa_float_denorm_mode_16_64 3
		.amdhsa_dx10_clamp 1
		.amdhsa_ieee_mode 1
		.amdhsa_fp16_overflow 0
		.amdhsa_exception_fp_ieee_invalid_op 0
		.amdhsa_exception_fp_denorm_src 0
		.amdhsa_exception_fp_ieee_div_zero 0
		.amdhsa_exception_fp_ieee_overflow 0
		.amdhsa_exception_fp_ieee_underflow 0
		.amdhsa_exception_fp_ieee_inexact 0
		.amdhsa_exception_int_div_zero 0
	.end_amdhsa_kernel
	.section	.text._ZL24rocblas_dot_kernel_magsqIiLb1ELi1024ELi32ELb0E19rocblas_complex_numIfEPKS1_S1_EviT5_lT_liPT6_PT4_,"axG",@progbits,_ZL24rocblas_dot_kernel_magsqIiLb1ELi1024ELi32ELb0E19rocblas_complex_numIfEPKS1_S1_EviT5_lT_liPT6_PT4_,comdat
.Lfunc_end36:
	.size	_ZL24rocblas_dot_kernel_magsqIiLb1ELi1024ELi32ELb0E19rocblas_complex_numIfEPKS1_S1_EviT5_lT_liPT6_PT4_, .Lfunc_end36-_ZL24rocblas_dot_kernel_magsqIiLb1ELi1024ELi32ELb0E19rocblas_complex_numIfEPKS1_S1_EviT5_lT_liPT6_PT4_
                                        ; -- End function
	.set _ZL24rocblas_dot_kernel_magsqIiLb1ELi1024ELi32ELb0E19rocblas_complex_numIfEPKS1_S1_EviT5_lT_liPT6_PT4_.num_vgpr, 12
	.set _ZL24rocblas_dot_kernel_magsqIiLb1ELi1024ELi32ELb0E19rocblas_complex_numIfEPKS1_S1_EviT5_lT_liPT6_PT4_.num_agpr, 0
	.set _ZL24rocblas_dot_kernel_magsqIiLb1ELi1024ELi32ELb0E19rocblas_complex_numIfEPKS1_S1_EviT5_lT_liPT6_PT4_.numbered_sgpr, 20
	.set _ZL24rocblas_dot_kernel_magsqIiLb1ELi1024ELi32ELb0E19rocblas_complex_numIfEPKS1_S1_EviT5_lT_liPT6_PT4_.num_named_barrier, 0
	.set _ZL24rocblas_dot_kernel_magsqIiLb1ELi1024ELi32ELb0E19rocblas_complex_numIfEPKS1_S1_EviT5_lT_liPT6_PT4_.private_seg_size, 0
	.set _ZL24rocblas_dot_kernel_magsqIiLb1ELi1024ELi32ELb0E19rocblas_complex_numIfEPKS1_S1_EviT5_lT_liPT6_PT4_.uses_vcc, 1
	.set _ZL24rocblas_dot_kernel_magsqIiLb1ELi1024ELi32ELb0E19rocblas_complex_numIfEPKS1_S1_EviT5_lT_liPT6_PT4_.uses_flat_scratch, 0
	.set _ZL24rocblas_dot_kernel_magsqIiLb1ELi1024ELi32ELb0E19rocblas_complex_numIfEPKS1_S1_EviT5_lT_liPT6_PT4_.has_dyn_sized_stack, 0
	.set _ZL24rocblas_dot_kernel_magsqIiLb1ELi1024ELi32ELb0E19rocblas_complex_numIfEPKS1_S1_EviT5_lT_liPT6_PT4_.has_recursion, 0
	.set _ZL24rocblas_dot_kernel_magsqIiLb1ELi1024ELi32ELb0E19rocblas_complex_numIfEPKS1_S1_EviT5_lT_liPT6_PT4_.has_indirect_call, 0
	.section	.AMDGPU.csdata,"",@progbits
; Kernel info:
; codeLenInByte = 976
; TotalNumSgprs: 24
; NumVgprs: 12
; ScratchSize: 0
; MemoryBound: 0
; FloatMode: 240
; IeeeMode: 1
; LDSByteSize: 512 bytes/workgroup (compile time only)
; SGPRBlocks: 2
; VGPRBlocks: 2
; NumSGPRsForWavesPerEU: 24
; NumVGPRsForWavesPerEU: 12
; Occupancy: 10
; WaveLimiterHint : 0
; COMPUTE_PGM_RSRC2:SCRATCH_EN: 0
; COMPUTE_PGM_RSRC2:USER_SGPR: 6
; COMPUTE_PGM_RSRC2:TRAP_HANDLER: 0
; COMPUTE_PGM_RSRC2:TGID_X_EN: 1
; COMPUTE_PGM_RSRC2:TGID_Y_EN: 0
; COMPUTE_PGM_RSRC2:TGID_Z_EN: 1
; COMPUTE_PGM_RSRC2:TIDIG_COMP_CNT: 0
	.section	.text._ZL38rocblas_dot_kernel_gfx942_float_doubleIiLi1024E19rocblas_complex_numIfEPKS1_S1_EviT2_lT_lS4_lS5_lPT3_PT1_,"axG",@progbits,_ZL38rocblas_dot_kernel_gfx942_float_doubleIiLi1024E19rocblas_complex_numIfEPKS1_S1_EviT2_lT_lS4_lS5_lPT3_PT1_,comdat
	.globl	_ZL38rocblas_dot_kernel_gfx942_float_doubleIiLi1024E19rocblas_complex_numIfEPKS1_S1_EviT2_lT_lS4_lS5_lPT3_PT1_ ; -- Begin function _ZL38rocblas_dot_kernel_gfx942_float_doubleIiLi1024E19rocblas_complex_numIfEPKS1_S1_EviT2_lT_lS4_lS5_lPT3_PT1_
	.p2align	8
	.type	_ZL38rocblas_dot_kernel_gfx942_float_doubleIiLi1024E19rocblas_complex_numIfEPKS1_S1_EviT2_lT_lS4_lS5_lPT3_PT1_,@function
_ZL38rocblas_dot_kernel_gfx942_float_doubleIiLi1024E19rocblas_complex_numIfEPKS1_S1_EviT2_lT_lS4_lS5_lPT3_PT1_: ; @_ZL38rocblas_dot_kernel_gfx942_float_doubleIiLi1024E19rocblas_complex_numIfEPKS1_S1_EviT2_lT_lS4_lS5_lPT3_PT1_
; %bb.0:
	s_endpgm
	.section	.rodata,"a",@progbits
	.p2align	6, 0x0
	.amdhsa_kernel _ZL38rocblas_dot_kernel_gfx942_float_doubleIiLi1024E19rocblas_complex_numIfEPKS1_S1_EviT2_lT_lS4_lS5_lPT3_PT1_
		.amdhsa_group_segment_fixed_size 0
		.amdhsa_private_segment_fixed_size 0
		.amdhsa_kernarg_size 88
		.amdhsa_user_sgpr_count 6
		.amdhsa_user_sgpr_private_segment_buffer 1
		.amdhsa_user_sgpr_dispatch_ptr 0
		.amdhsa_user_sgpr_queue_ptr 0
		.amdhsa_user_sgpr_kernarg_segment_ptr 1
		.amdhsa_user_sgpr_dispatch_id 0
		.amdhsa_user_sgpr_flat_scratch_init 0
		.amdhsa_user_sgpr_private_segment_size 0
		.amdhsa_uses_dynamic_stack 0
		.amdhsa_system_sgpr_private_segment_wavefront_offset 0
		.amdhsa_system_sgpr_workgroup_id_x 1
		.amdhsa_system_sgpr_workgroup_id_y 0
		.amdhsa_system_sgpr_workgroup_id_z 0
		.amdhsa_system_sgpr_workgroup_info 0
		.amdhsa_system_vgpr_workitem_id 0
		.amdhsa_next_free_vgpr 1
		.amdhsa_next_free_sgpr 0
		.amdhsa_reserve_vcc 0
		.amdhsa_reserve_flat_scratch 0
		.amdhsa_float_round_mode_32 0
		.amdhsa_float_round_mode_16_64 0
		.amdhsa_float_denorm_mode_32 3
		.amdhsa_float_denorm_mode_16_64 3
		.amdhsa_dx10_clamp 1
		.amdhsa_ieee_mode 1
		.amdhsa_fp16_overflow 0
		.amdhsa_exception_fp_ieee_invalid_op 0
		.amdhsa_exception_fp_denorm_src 0
		.amdhsa_exception_fp_ieee_div_zero 0
		.amdhsa_exception_fp_ieee_overflow 0
		.amdhsa_exception_fp_ieee_underflow 0
		.amdhsa_exception_fp_ieee_inexact 0
		.amdhsa_exception_int_div_zero 0
	.end_amdhsa_kernel
	.section	.text._ZL38rocblas_dot_kernel_gfx942_float_doubleIiLi1024E19rocblas_complex_numIfEPKS1_S1_EviT2_lT_lS4_lS5_lPT3_PT1_,"axG",@progbits,_ZL38rocblas_dot_kernel_gfx942_float_doubleIiLi1024E19rocblas_complex_numIfEPKS1_S1_EviT2_lT_lS4_lS5_lPT3_PT1_,comdat
.Lfunc_end37:
	.size	_ZL38rocblas_dot_kernel_gfx942_float_doubleIiLi1024E19rocblas_complex_numIfEPKS1_S1_EviT2_lT_lS4_lS5_lPT3_PT1_, .Lfunc_end37-_ZL38rocblas_dot_kernel_gfx942_float_doubleIiLi1024E19rocblas_complex_numIfEPKS1_S1_EviT2_lT_lS4_lS5_lPT3_PT1_
                                        ; -- End function
	.set _ZL38rocblas_dot_kernel_gfx942_float_doubleIiLi1024E19rocblas_complex_numIfEPKS1_S1_EviT2_lT_lS4_lS5_lPT3_PT1_.num_vgpr, 0
	.set _ZL38rocblas_dot_kernel_gfx942_float_doubleIiLi1024E19rocblas_complex_numIfEPKS1_S1_EviT2_lT_lS4_lS5_lPT3_PT1_.num_agpr, 0
	.set _ZL38rocblas_dot_kernel_gfx942_float_doubleIiLi1024E19rocblas_complex_numIfEPKS1_S1_EviT2_lT_lS4_lS5_lPT3_PT1_.numbered_sgpr, 0
	.set _ZL38rocblas_dot_kernel_gfx942_float_doubleIiLi1024E19rocblas_complex_numIfEPKS1_S1_EviT2_lT_lS4_lS5_lPT3_PT1_.num_named_barrier, 0
	.set _ZL38rocblas_dot_kernel_gfx942_float_doubleIiLi1024E19rocblas_complex_numIfEPKS1_S1_EviT2_lT_lS4_lS5_lPT3_PT1_.private_seg_size, 0
	.set _ZL38rocblas_dot_kernel_gfx942_float_doubleIiLi1024E19rocblas_complex_numIfEPKS1_S1_EviT2_lT_lS4_lS5_lPT3_PT1_.uses_vcc, 0
	.set _ZL38rocblas_dot_kernel_gfx942_float_doubleIiLi1024E19rocblas_complex_numIfEPKS1_S1_EviT2_lT_lS4_lS5_lPT3_PT1_.uses_flat_scratch, 0
	.set _ZL38rocblas_dot_kernel_gfx942_float_doubleIiLi1024E19rocblas_complex_numIfEPKS1_S1_EviT2_lT_lS4_lS5_lPT3_PT1_.has_dyn_sized_stack, 0
	.set _ZL38rocblas_dot_kernel_gfx942_float_doubleIiLi1024E19rocblas_complex_numIfEPKS1_S1_EviT2_lT_lS4_lS5_lPT3_PT1_.has_recursion, 0
	.set _ZL38rocblas_dot_kernel_gfx942_float_doubleIiLi1024E19rocblas_complex_numIfEPKS1_S1_EviT2_lT_lS4_lS5_lPT3_PT1_.has_indirect_call, 0
	.section	.AMDGPU.csdata,"",@progbits
; Kernel info:
; codeLenInByte = 4
; TotalNumSgprs: 4
; NumVgprs: 0
; ScratchSize: 0
; MemoryBound: 0
; FloatMode: 240
; IeeeMode: 1
; LDSByteSize: 0 bytes/workgroup (compile time only)
; SGPRBlocks: 0
; VGPRBlocks: 0
; NumSGPRsForWavesPerEU: 4
; NumVGPRsForWavesPerEU: 1
; Occupancy: 10
; WaveLimiterHint : 0
; COMPUTE_PGM_RSRC2:SCRATCH_EN: 0
; COMPUTE_PGM_RSRC2:USER_SGPR: 6
; COMPUTE_PGM_RSRC2:TRAP_HANDLER: 0
; COMPUTE_PGM_RSRC2:TGID_X_EN: 1
; COMPUTE_PGM_RSRC2:TGID_Y_EN: 0
; COMPUTE_PGM_RSRC2:TGID_Z_EN: 0
; COMPUTE_PGM_RSRC2:TIDIG_COMP_CNT: 0
	.section	.text._ZL30rocblas_reduction_kernel_part2ILi1024ELi4E25rocblas_finalize_identity19rocblas_complex_numIfES2_EviPT2_PT3_,"axG",@progbits,_ZL30rocblas_reduction_kernel_part2ILi1024ELi4E25rocblas_finalize_identity19rocblas_complex_numIfES2_EviPT2_PT3_,comdat
	.globl	_ZL30rocblas_reduction_kernel_part2ILi1024ELi4E25rocblas_finalize_identity19rocblas_complex_numIfES2_EviPT2_PT3_ ; -- Begin function _ZL30rocblas_reduction_kernel_part2ILi1024ELi4E25rocblas_finalize_identity19rocblas_complex_numIfES2_EviPT2_PT3_
	.p2align	8
	.type	_ZL30rocblas_reduction_kernel_part2ILi1024ELi4E25rocblas_finalize_identity19rocblas_complex_numIfES2_EviPT2_PT3_,@function
_ZL30rocblas_reduction_kernel_part2ILi1024ELi4E25rocblas_finalize_identity19rocblas_complex_numIfES2_EviPT2_PT3_: ; @_ZL30rocblas_reduction_kernel_part2ILi1024ELi4E25rocblas_finalize_identity19rocblas_complex_numIfES2_EviPT2_PT3_
; %bb.0:
	s_load_dword s12, s[4:5], 0x0
	s_load_dwordx4 s[0:3], s[4:5], 0x8
	v_lshlrev_b32_e32 v5, 2, v0
	s_mov_b32 s7, 0
	v_mov_b32_e32 v3, 0
	s_waitcnt lgkmcnt(0)
	s_ashr_i32 s8, s12, 31
	s_mul_i32 s5, s8, s6
	s_lshr_b32 s8, s8, 30
	s_add_i32 s8, s12, s8
	s_mul_hi_u32 s4, s12, s6
	s_and_b32 s13, s8, -4
	s_add_i32 s5, s4, s5
	s_mul_i32 s4, s12, s6
	v_cmp_gt_i32_e32 vcc, s13, v5
	v_mov_b32_e32 v4, 0
	s_and_saveexec_b64 s[8:9], vcc
	s_cbranch_execz .LBB38_4
; %bb.1:
	s_lshl_b64 s[10:11], s[4:5], 3
	s_add_u32 s10, s0, s10
	v_lshlrev_b32_e32 v1, 5, v0
	s_addc_u32 s11, s1, s11
	v_mov_b32_e32 v2, s11
	v_add_co_u32_e32 v1, vcc, s10, v1
	v_addc_co_u32_e32 v2, vcc, 0, v2, vcc
	v_add_co_u32_e32 v1, vcc, 28, v1
	v_mov_b32_e32 v3, 0
	v_addc_co_u32_e32 v2, vcc, 0, v2, vcc
	s_mov_b64 s[10:11], 0
	v_mov_b32_e32 v4, 0
.LBB38_2:                               ; =>This Inner Loop Header: Depth=1
	global_load_dwordx4 v[6:9], v[1:2], off offset:-28
	global_load_dwordx4 v[10:13], v[1:2], off offset:-12
	v_add_co_u32_e32 v1, vcc, 0x8000, v1
	v_add_u32_e32 v5, 0x1000, v5
	v_addc_co_u32_e32 v2, vcc, 0, v2, vcc
	v_cmp_le_i32_e32 vcc, s13, v5
	s_or_b64 s[10:11], vcc, s[10:11]
	s_waitcnt vmcnt(1)
	v_add_f32_e32 v4, v4, v6
	v_add_f32_e32 v3, v3, v7
	;; [unrolled: 1-line block ×4, first 2 shown]
	s_waitcnt vmcnt(0)
	v_add_f32_e32 v4, v4, v10
	v_add_f32_e32 v3, v3, v11
	;; [unrolled: 1-line block ×4, first 2 shown]
	s_andn2_b64 exec, exec, s[10:11]
	s_cbranch_execnz .LBB38_2
; %bb.3:
	s_or_b64 exec, exec, s[10:11]
.LBB38_4:
	s_or_b64 exec, exec, s[8:9]
	s_sub_i32 s8, s12, s13
	v_cmp_gt_u32_e32 vcc, s8, v0
	s_and_saveexec_b64 s[8:9], vcc
	s_cbranch_execz .LBB38_6
; %bb.5:
	s_lshl_b64 s[4:5], s[4:5], 3
	v_xad_u32 v1, v0, -1, s12
	v_mov_b32_e32 v2, 0
	s_add_u32 s0, s0, s4
	v_lshlrev_b64 v[1:2], 3, v[1:2]
	s_addc_u32 s1, s1, s5
	v_mov_b32_e32 v5, s1
	v_add_co_u32_e32 v1, vcc, s0, v1
	v_addc_co_u32_e32 v2, vcc, v5, v2, vcc
	global_load_dwordx2 v[1:2], v[1:2], off
	s_waitcnt vmcnt(0)
	v_add_f32_e32 v4, v4, v1
	v_add_f32_e32 v3, v3, v2
.LBB38_6:
	s_or_b64 exec, exec, s[8:9]
	v_and_b32_e32 v1, 63, v0
	v_cmp_gt_u32_e32 vcc, 64, v0
	v_lshlrev_b32_e32 v5, 3, v1
	s_and_saveexec_b64 s[0:1], vcc
; %bb.7:
	v_mov_b32_e32 v6, 0
	v_mov_b32_e32 v7, v6
	ds_write_b64 v5, v[6:7]
; %bb.8:
	s_or_b64 exec, exec, s[0:1]
	v_mbcnt_lo_u32_b32 v2, -1, 0
	v_mbcnt_hi_u32_b32 v7, -1, v2
	v_mov_b32_e32 v2, 0x80
	v_lshl_or_b32 v2, v7, 2, v2
	ds_bpermute_b32 v6, v2, v4
	ds_bpermute_b32 v2, v2, v3
	v_and_b32_e32 v9, 63, v7
	v_cmp_gt_u32_e64 s[0:1], 48, v9
	s_waitcnt lgkmcnt(0)
	v_add_f32_e32 v4, v4, v6
	v_add_f32_e32 v2, v3, v2
	v_cndmask_b32_e64 v3, 0, 16, s[0:1]
	v_add_lshl_u32 v3, v3, v7, 2
	ds_bpermute_b32 v6, v3, v4
	ds_bpermute_b32 v3, v3, v2
	v_cmp_gt_u32_e64 s[0:1], 56, v9
	s_waitcnt lgkmcnt(0)
	s_barrier
	v_add_f32_e32 v4, v4, v6
	v_add_f32_e32 v2, v2, v3
	v_cndmask_b32_e64 v3, 0, 8, s[0:1]
	v_add_lshl_u32 v3, v3, v7, 2
	ds_bpermute_b32 v6, v3, v4
	ds_bpermute_b32 v8, v3, v2
	v_cmp_gt_u32_e64 s[0:1], 60, v9
	s_waitcnt lgkmcnt(1)
	v_add_f32_e32 v6, v4, v6
	v_cndmask_b32_e64 v4, 0, 4, s[0:1]
	s_waitcnt lgkmcnt(0)
	v_add_f32_e32 v2, v2, v8
	v_add_lshl_u32 v4, v4, v7, 2
	ds_bpermute_b32 v10, v4, v2
	ds_bpermute_b32 v8, v4, v6
	v_cmp_gt_u32_e64 s[0:1], 62, v9
	s_waitcnt lgkmcnt(1)
	v_add_f32_e32 v10, v2, v10
	v_cndmask_b32_e64 v2, 0, 2, s[0:1]
	s_waitcnt lgkmcnt(0)
	v_add_f32_e32 v8, v6, v8
	v_add_lshl_u32 v6, v2, v7, 2
	ds_bpermute_b32 v2, v6, v8
	ds_bpermute_b32 v11, v6, v10
	v_cmp_ne_u32_e64 s[0:1], 63, v9
	v_addc_co_u32_e64 v7, s[0:1], 0, v7, s[0:1]
	s_waitcnt lgkmcnt(1)
	v_add_f32_e32 v2, v8, v2
	s_waitcnt lgkmcnt(0)
	v_add_f32_e32 v8, v10, v11
	v_lshlrev_b32_e32 v7, 2, v7
	ds_bpermute_b32 v9, v7, v2
	ds_bpermute_b32 v10, v7, v8
	v_cmp_eq_u32_e64 s[0:1], 0, v1
	s_and_saveexec_b64 s[4:5], s[0:1]
	s_cbranch_execz .LBB38_10
; %bb.9:
	s_waitcnt lgkmcnt(1)
	v_add_f32_e32 v1, v2, v9
	s_waitcnt lgkmcnt(0)
	v_add_f32_e32 v2, v8, v10
	v_lshrrev_b32_e32 v8, 3, v0
	v_and_b32_e32 v8, 0x78, v8
	ds_write_b64 v8, v[1:2]
.LBB38_10:
	s_or_b64 exec, exec, s[4:5]
	v_cmp_gt_u32_e64 s[0:1], 16, v0
	v_mov_b32_e32 v2, 0
	v_mov_b32_e32 v1, 0
	s_waitcnt lgkmcnt(0)
	s_barrier
	s_and_saveexec_b64 s[4:5], s[0:1]
	s_cbranch_execnz .LBB38_14
; %bb.11:
	s_or_b64 exec, exec, s[4:5]
	s_and_saveexec_b64 s[0:1], vcc
	s_cbranch_execnz .LBB38_15
.LBB38_12:
	s_or_b64 exec, exec, s[0:1]
	v_cmp_eq_u32_e32 vcc, 0, v0
	s_and_saveexec_b64 s[0:1], vcc
	s_cbranch_execnz .LBB38_16
.LBB38_13:
	s_endpgm
.LBB38_14:
	ds_read_b64 v[1:2], v5
	s_or_b64 exec, exec, s[4:5]
	s_and_saveexec_b64 s[0:1], vcc
	s_cbranch_execz .LBB38_12
.LBB38_15:
	s_waitcnt lgkmcnt(0)
	ds_bpermute_b32 v5, v3, v1
	ds_bpermute_b32 v3, v3, v2
	s_waitcnt lgkmcnt(1)
	v_add_f32_e32 v1, v1, v5
	s_waitcnt lgkmcnt(0)
	v_add_f32_e32 v2, v2, v3
	ds_bpermute_b32 v3, v4, v1
	ds_bpermute_b32 v4, v4, v2
	s_waitcnt lgkmcnt(1)
	v_add_f32_e32 v1, v1, v3
	s_waitcnt lgkmcnt(0)
	v_add_f32_e32 v2, v2, v4
	;; [unrolled: 6-line block ×4, first 2 shown]
	s_or_b64 exec, exec, s[0:1]
	v_cmp_eq_u32_e32 vcc, 0, v0
	s_and_saveexec_b64 s[0:1], vcc
	s_cbranch_execz .LBB38_13
.LBB38_16:
	s_lshl_b64 s[0:1], s[6:7], 3
	s_add_u32 s0, s2, s0
	s_addc_u32 s1, s3, s1
	v_mov_b32_e32 v0, 0
	s_waitcnt lgkmcnt(0)
	global_store_dwordx2 v0, v[1:2], s[0:1]
	s_endpgm
	.section	.rodata,"a",@progbits
	.p2align	6, 0x0
	.amdhsa_kernel _ZL30rocblas_reduction_kernel_part2ILi1024ELi4E25rocblas_finalize_identity19rocblas_complex_numIfES2_EviPT2_PT3_
		.amdhsa_group_segment_fixed_size 512
		.amdhsa_private_segment_fixed_size 0
		.amdhsa_kernarg_size 24
		.amdhsa_user_sgpr_count 6
		.amdhsa_user_sgpr_private_segment_buffer 1
		.amdhsa_user_sgpr_dispatch_ptr 0
		.amdhsa_user_sgpr_queue_ptr 0
		.amdhsa_user_sgpr_kernarg_segment_ptr 1
		.amdhsa_user_sgpr_dispatch_id 0
		.amdhsa_user_sgpr_flat_scratch_init 0
		.amdhsa_user_sgpr_private_segment_size 0
		.amdhsa_uses_dynamic_stack 0
		.amdhsa_system_sgpr_private_segment_wavefront_offset 0
		.amdhsa_system_sgpr_workgroup_id_x 1
		.amdhsa_system_sgpr_workgroup_id_y 0
		.amdhsa_system_sgpr_workgroup_id_z 0
		.amdhsa_system_sgpr_workgroup_info 0
		.amdhsa_system_vgpr_workitem_id 0
		.amdhsa_next_free_vgpr 14
		.amdhsa_next_free_sgpr 14
		.amdhsa_reserve_vcc 1
		.amdhsa_reserve_flat_scratch 0
		.amdhsa_float_round_mode_32 0
		.amdhsa_float_round_mode_16_64 0
		.amdhsa_float_denorm_mode_32 3
		.amdhsa_float_denorm_mode_16_64 3
		.amdhsa_dx10_clamp 1
		.amdhsa_ieee_mode 1
		.amdhsa_fp16_overflow 0
		.amdhsa_exception_fp_ieee_invalid_op 0
		.amdhsa_exception_fp_denorm_src 0
		.amdhsa_exception_fp_ieee_div_zero 0
		.amdhsa_exception_fp_ieee_overflow 0
		.amdhsa_exception_fp_ieee_underflow 0
		.amdhsa_exception_fp_ieee_inexact 0
		.amdhsa_exception_int_div_zero 0
	.end_amdhsa_kernel
	.section	.text._ZL30rocblas_reduction_kernel_part2ILi1024ELi4E25rocblas_finalize_identity19rocblas_complex_numIfES2_EviPT2_PT3_,"axG",@progbits,_ZL30rocblas_reduction_kernel_part2ILi1024ELi4E25rocblas_finalize_identity19rocblas_complex_numIfES2_EviPT2_PT3_,comdat
.Lfunc_end38:
	.size	_ZL30rocblas_reduction_kernel_part2ILi1024ELi4E25rocblas_finalize_identity19rocblas_complex_numIfES2_EviPT2_PT3_, .Lfunc_end38-_ZL30rocblas_reduction_kernel_part2ILi1024ELi4E25rocblas_finalize_identity19rocblas_complex_numIfES2_EviPT2_PT3_
                                        ; -- End function
	.set _ZL30rocblas_reduction_kernel_part2ILi1024ELi4E25rocblas_finalize_identity19rocblas_complex_numIfES2_EviPT2_PT3_.num_vgpr, 14
	.set _ZL30rocblas_reduction_kernel_part2ILi1024ELi4E25rocblas_finalize_identity19rocblas_complex_numIfES2_EviPT2_PT3_.num_agpr, 0
	.set _ZL30rocblas_reduction_kernel_part2ILi1024ELi4E25rocblas_finalize_identity19rocblas_complex_numIfES2_EviPT2_PT3_.numbered_sgpr, 14
	.set _ZL30rocblas_reduction_kernel_part2ILi1024ELi4E25rocblas_finalize_identity19rocblas_complex_numIfES2_EviPT2_PT3_.num_named_barrier, 0
	.set _ZL30rocblas_reduction_kernel_part2ILi1024ELi4E25rocblas_finalize_identity19rocblas_complex_numIfES2_EviPT2_PT3_.private_seg_size, 0
	.set _ZL30rocblas_reduction_kernel_part2ILi1024ELi4E25rocblas_finalize_identity19rocblas_complex_numIfES2_EviPT2_PT3_.uses_vcc, 1
	.set _ZL30rocblas_reduction_kernel_part2ILi1024ELi4E25rocblas_finalize_identity19rocblas_complex_numIfES2_EviPT2_PT3_.uses_flat_scratch, 0
	.set _ZL30rocblas_reduction_kernel_part2ILi1024ELi4E25rocblas_finalize_identity19rocblas_complex_numIfES2_EviPT2_PT3_.has_dyn_sized_stack, 0
	.set _ZL30rocblas_reduction_kernel_part2ILi1024ELi4E25rocblas_finalize_identity19rocblas_complex_numIfES2_EviPT2_PT3_.has_recursion, 0
	.set _ZL30rocblas_reduction_kernel_part2ILi1024ELi4E25rocblas_finalize_identity19rocblas_complex_numIfES2_EviPT2_PT3_.has_indirect_call, 0
	.section	.AMDGPU.csdata,"",@progbits
; Kernel info:
; codeLenInByte = 992
; TotalNumSgprs: 18
; NumVgprs: 14
; ScratchSize: 0
; MemoryBound: 0
; FloatMode: 240
; IeeeMode: 1
; LDSByteSize: 512 bytes/workgroup (compile time only)
; SGPRBlocks: 2
; VGPRBlocks: 3
; NumSGPRsForWavesPerEU: 18
; NumVGPRsForWavesPerEU: 14
; Occupancy: 10
; WaveLimiterHint : 0
; COMPUTE_PGM_RSRC2:SCRATCH_EN: 0
; COMPUTE_PGM_RSRC2:USER_SGPR: 6
; COMPUTE_PGM_RSRC2:TRAP_HANDLER: 0
; COMPUTE_PGM_RSRC2:TGID_X_EN: 1
; COMPUTE_PGM_RSRC2:TGID_Y_EN: 0
; COMPUTE_PGM_RSRC2:TGID_Z_EN: 0
; COMPUTE_PGM_RSRC2:TIDIG_COMP_CNT: 0
	.section	.text._ZL23rocblas_dot_kernel_inc1ILb0ELi512ELi2ELb0E19rocblas_complex_numIfEPKS1_S1_EviT4_llS4_lliPT5_PT3_,"axG",@progbits,_ZL23rocblas_dot_kernel_inc1ILb0ELi512ELi2ELb0E19rocblas_complex_numIfEPKS1_S1_EviT4_llS4_lliPT5_PT3_,comdat
	.globl	_ZL23rocblas_dot_kernel_inc1ILb0ELi512ELi2ELb0E19rocblas_complex_numIfEPKS1_S1_EviT4_llS4_lliPT5_PT3_ ; -- Begin function _ZL23rocblas_dot_kernel_inc1ILb0ELi512ELi2ELb0E19rocblas_complex_numIfEPKS1_S1_EviT4_llS4_lliPT5_PT3_
	.p2align	8
	.type	_ZL23rocblas_dot_kernel_inc1ILb0ELi512ELi2ELb0E19rocblas_complex_numIfEPKS1_S1_EviT4_llS4_lliPT5_PT3_,@function
_ZL23rocblas_dot_kernel_inc1ILb0ELi512ELi2ELb0E19rocblas_complex_numIfEPKS1_S1_EviT4_llS4_lliPT5_PT3_: ; @_ZL23rocblas_dot_kernel_inc1ILb0ELi512ELi2ELb0E19rocblas_complex_numIfEPKS1_S1_EviT4_llS4_lliPT5_PT3_
; %bb.0:
	s_mov_b32 s2, s7
	s_load_dword s7, s[4:5], 0x0
	s_load_dword s10, s[4:5], 0x50
	v_lshl_or_b32 v1, s6, 9, v0
	s_mov_b32 s3, 0
	v_mov_b32_e32 v4, 0
	s_waitcnt lgkmcnt(0)
	v_cmp_gt_i32_e32 vcc, s7, v1
	v_mov_b32_e32 v5, 0
	s_and_saveexec_b64 s[0:1], vcc
	s_cbranch_execz .LBB39_4
; %bb.1:
	s_load_dwordx4 s[12:15], s[4:5], 0x10
	s_load_dwordx2 s[8:9], s[4:5], 0x8
	s_load_dwordx2 s[20:21], s[4:5], 0x20
	s_load_dwordx4 s[16:19], s[4:5], 0x28
	v_ashrrev_i32_e32 v2, 31, v1
	s_waitcnt lgkmcnt(0)
	s_mul_i32 s11, s15, s2
	s_mul_hi_u32 s15, s14, s2
	s_add_i32 s15, s15, s11
	s_mul_i32 s14, s14, s2
	s_lshl_b64 s[14:15], s[14:15], 3
	s_add_u32 s11, s8, s14
	s_addc_u32 s14, s9, s15
	s_lshl_b64 s[8:9], s[12:13], 3
	s_add_u32 s11, s11, s8
	s_addc_u32 s12, s14, s9
	s_mul_i32 s8, s19, s2
	s_mul_hi_u32 s9, s18, s2
	s_add_i32 s9, s9, s8
	s_mul_i32 s8, s18, s2
	s_lshl_b64 s[8:9], s[8:9], 3
	s_add_u32 s13, s20, s8
	s_addc_u32 s14, s21, s9
	s_lshl_b64 s[8:9], s[16:17], 3
	s_add_u32 s13, s13, s8
	v_lshlrev_b64 v[1:2], 3, v[1:2]
	s_addc_u32 s14, s14, s9
	v_mov_b32_e32 v4, s14
	v_add_co_u32_e32 v3, vcc, s13, v1
	v_addc_co_u32_e32 v4, vcc, v4, v2, vcc
	v_mov_b32_e32 v5, s12
	v_add_co_u32_e32 v1, vcc, s11, v1
	v_addc_co_u32_e32 v2, vcc, v5, v2, vcc
	global_load_dwordx2 v[5:6], v[1:2], off
	global_load_dwordx2 v[7:8], v[3:4], off
	s_add_i32 s8, s6, s10
	v_lshl_or_b32 v1, s8, 9, v0
	v_cmp_gt_i32_e32 vcc, s7, v1
	s_waitcnt vmcnt(0)
	v_mul_f32_e32 v2, v6, v8
	v_mul_f32_e32 v3, v5, v8
	v_fma_f32 v2, v5, v7, -v2
	v_fmac_f32_e32 v3, v6, v7
	v_add_f32_e32 v4, 0, v2
	v_add_f32_e32 v5, 0, v3
	s_and_saveexec_b64 s[8:9], vcc
	s_cbranch_execz .LBB39_3
; %bb.2:
	v_ashrrev_i32_e32 v2, 31, v1
	v_lshlrev_b64 v[1:2], 3, v[1:2]
	v_mov_b32_e32 v3, s12
	v_add_co_u32_e32 v6, vcc, s11, v1
	v_addc_co_u32_e32 v7, vcc, v3, v2, vcc
	v_mov_b32_e32 v3, s14
	v_add_co_u32_e32 v1, vcc, s13, v1
	v_addc_co_u32_e32 v2, vcc, v3, v2, vcc
	global_load_dwordx2 v[6:7], v[6:7], off
	s_nop 0
	global_load_dwordx2 v[1:2], v[1:2], off
	s_waitcnt vmcnt(0)
	v_mul_f32_e32 v3, v6, v2
	v_mul_f32_e32 v2, v7, v2
	v_fmac_f32_e32 v3, v7, v1
	v_fma_f32 v1, v6, v1, -v2
	v_add_f32_e32 v5, v5, v3
	v_add_f32_e32 v4, v4, v1
.LBB39_3:
	s_or_b64 exec, exec, s[8:9]
.LBB39_4:
	s_or_b64 exec, exec, s[0:1]
	v_and_b32_e32 v1, 63, v0
	v_cmp_gt_u32_e32 vcc, 64, v0
	v_lshlrev_b32_e32 v3, 3, v1
	s_and_saveexec_b64 s[0:1], vcc
; %bb.5:
	v_mov_b32_e32 v6, 0
	v_mov_b32_e32 v7, v6
	ds_write_b64 v3, v[6:7]
; %bb.6:
	s_or_b64 exec, exec, s[0:1]
	v_mbcnt_lo_u32_b32 v2, -1, 0
	v_mbcnt_hi_u32_b32 v6, -1, v2
	v_mov_b32_e32 v2, 0x80
	v_lshl_or_b32 v2, v6, 2, v2
	ds_bpermute_b32 v7, v2, v4
	ds_bpermute_b32 v2, v2, v5
	v_and_b32_e32 v8, 63, v6
	v_cmp_gt_u32_e64 s[0:1], 48, v8
	s_waitcnt lgkmcnt(0)
	v_add_f32_e32 v4, v4, v7
	v_add_f32_e32 v2, v5, v2
	v_cndmask_b32_e64 v5, 0, 16, s[0:1]
	v_add_lshl_u32 v5, v5, v6, 2
	ds_bpermute_b32 v7, v5, v4
	ds_bpermute_b32 v5, v5, v2
	v_cmp_gt_u32_e64 s[0:1], 56, v8
	s_waitcnt lgkmcnt(0)
	s_barrier
	v_add_f32_e32 v4, v4, v7
	v_add_f32_e32 v2, v2, v5
	v_cndmask_b32_e64 v5, 0, 8, s[0:1]
	v_add_lshl_u32 v5, v5, v6, 2
	ds_bpermute_b32 v7, v5, v4
	ds_bpermute_b32 v5, v5, v2
	v_cmp_gt_u32_e64 s[0:1], 60, v8
	s_waitcnt lgkmcnt(1)
	v_add_f32_e32 v7, v4, v7
	v_cndmask_b32_e64 v4, 0, 4, s[0:1]
	s_waitcnt lgkmcnt(0)
	v_add_f32_e32 v2, v2, v5
	v_add_lshl_u32 v4, v4, v6, 2
	ds_bpermute_b32 v9, v4, v2
	ds_bpermute_b32 v5, v4, v7
	v_cmp_gt_u32_e64 s[0:1], 62, v8
	s_waitcnt lgkmcnt(1)
	v_add_f32_e32 v9, v2, v9
	v_cndmask_b32_e64 v2, 0, 2, s[0:1]
	s_waitcnt lgkmcnt(0)
	v_add_f32_e32 v7, v7, v5
	v_add_lshl_u32 v5, v2, v6, 2
	ds_bpermute_b32 v2, v5, v7
	ds_bpermute_b32 v10, v5, v9
	v_cmp_ne_u32_e64 s[0:1], 63, v8
	v_addc_co_u32_e64 v6, s[0:1], 0, v6, s[0:1]
	s_waitcnt lgkmcnt(1)
	v_add_f32_e32 v2, v7, v2
	s_waitcnt lgkmcnt(0)
	v_add_f32_e32 v7, v9, v10
	v_lshlrev_b32_e32 v6, 2, v6
	ds_bpermute_b32 v8, v6, v2
	ds_bpermute_b32 v9, v6, v7
	v_cmp_eq_u32_e64 s[0:1], 0, v1
	s_and_saveexec_b64 s[8:9], s[0:1]
	s_cbranch_execz .LBB39_8
; %bb.7:
	s_waitcnt lgkmcnt(1)
	v_add_f32_e32 v1, v2, v8
	s_waitcnt lgkmcnt(0)
	v_add_f32_e32 v2, v7, v9
	v_lshrrev_b32_e32 v7, 3, v0
	v_and_b32_e32 v7, 56, v7
	ds_write_b64 v7, v[1:2]
.LBB39_8:
	s_or_b64 exec, exec, s[8:9]
	v_cmp_gt_u32_e64 s[0:1], 8, v0
	v_mov_b32_e32 v2, 0
	v_mov_b32_e32 v1, 0
	s_waitcnt lgkmcnt(0)
	s_barrier
	s_and_saveexec_b64 s[8:9], s[0:1]
	s_cbranch_execnz .LBB39_12
; %bb.9:
	s_or_b64 exec, exec, s[8:9]
	s_and_saveexec_b64 s[0:1], vcc
	s_cbranch_execnz .LBB39_13
.LBB39_10:
	s_or_b64 exec, exec, s[0:1]
	v_cmp_eq_u32_e32 vcc, 0, v0
	s_and_saveexec_b64 s[0:1], vcc
	s_cbranch_execnz .LBB39_14
.LBB39_11:
	s_endpgm
.LBB39_12:
	ds_read_b64 v[1:2], v3
	s_or_b64 exec, exec, s[8:9]
	s_and_saveexec_b64 s[0:1], vcc
	s_cbranch_execz .LBB39_10
.LBB39_13:
	s_waitcnt lgkmcnt(0)
	ds_bpermute_b32 v3, v4, v1
	ds_bpermute_b32 v4, v4, v2
	s_waitcnt lgkmcnt(1)
	v_add_f32_e32 v1, v1, v3
	s_waitcnt lgkmcnt(0)
	v_add_f32_e32 v2, v2, v4
	ds_bpermute_b32 v3, v5, v1
	ds_bpermute_b32 v4, v5, v2
	s_waitcnt lgkmcnt(1)
	v_add_f32_e32 v1, v1, v3
	s_waitcnt lgkmcnt(0)
	v_add_f32_e32 v2, v2, v4
	ds_bpermute_b32 v3, v6, v1
	ds_bpermute_b32 v4, v6, v2
	s_waitcnt lgkmcnt(1)
	v_add_f32_e32 v1, v1, v3
	s_waitcnt lgkmcnt(0)
	v_add_f32_e32 v2, v2, v4
	s_or_b64 exec, exec, s[0:1]
	v_cmp_eq_u32_e32 vcc, 0, v0
	s_and_saveexec_b64 s[0:1], vcc
	s_cbranch_execz .LBB39_11
.LBB39_14:
	s_cmp_lg_u32 s10, 1
	s_cbranch_scc0 .LBB39_16
; %bb.15:
	s_load_dwordx2 s[0:1], s[4:5], 0x40
	s_mul_hi_u32 s9, s10, s2
	s_mul_i32 s8, s10, s2
	s_lshl_b64 s[8:9], s[8:9], 3
	s_mov_b32 s7, 0
	s_waitcnt lgkmcnt(0)
	s_add_u32 s8, s0, s8
	s_addc_u32 s9, s1, s9
	s_lshl_b64 s[0:1], s[6:7], 3
	s_add_u32 s0, s8, s0
	s_addc_u32 s1, s9, s1
	v_mov_b32_e32 v0, 0
	global_store_dword v0, v1, s[0:1]
	s_cbranch_execz .LBB39_17
	s_branch .LBB39_18
.LBB39_16:
                                        ; implicit-def: $sgpr0_sgpr1
.LBB39_17:
	s_load_dwordx2 s[0:1], s[4:5], 0x48
	s_lshl_b64 s[2:3], s[2:3], 3
	v_mov_b32_e32 v0, 0
	s_waitcnt lgkmcnt(0)
	s_add_u32 s0, s0, s2
	s_addc_u32 s1, s1, s3
	global_store_dword v0, v1, s[0:1]
.LBB39_18:
	v_mov_b32_e32 v0, 0
	s_waitcnt lgkmcnt(0)
	global_store_dword v0, v2, s[0:1] offset:4
	s_endpgm
	.section	.rodata,"a",@progbits
	.p2align	6, 0x0
	.amdhsa_kernel _ZL23rocblas_dot_kernel_inc1ILb0ELi512ELi2ELb0E19rocblas_complex_numIfEPKS1_S1_EviT4_llS4_lliPT5_PT3_
		.amdhsa_group_segment_fixed_size 512
		.amdhsa_private_segment_fixed_size 0
		.amdhsa_kernarg_size 336
		.amdhsa_user_sgpr_count 6
		.amdhsa_user_sgpr_private_segment_buffer 1
		.amdhsa_user_sgpr_dispatch_ptr 0
		.amdhsa_user_sgpr_queue_ptr 0
		.amdhsa_user_sgpr_kernarg_segment_ptr 1
		.amdhsa_user_sgpr_dispatch_id 0
		.amdhsa_user_sgpr_flat_scratch_init 0
		.amdhsa_user_sgpr_private_segment_size 0
		.amdhsa_uses_dynamic_stack 0
		.amdhsa_system_sgpr_private_segment_wavefront_offset 0
		.amdhsa_system_sgpr_workgroup_id_x 1
		.amdhsa_system_sgpr_workgroup_id_y 0
		.amdhsa_system_sgpr_workgroup_id_z 1
		.amdhsa_system_sgpr_workgroup_info 0
		.amdhsa_system_vgpr_workitem_id 0
		.amdhsa_next_free_vgpr 11
		.amdhsa_next_free_sgpr 22
		.amdhsa_reserve_vcc 1
		.amdhsa_reserve_flat_scratch 0
		.amdhsa_float_round_mode_32 0
		.amdhsa_float_round_mode_16_64 0
		.amdhsa_float_denorm_mode_32 3
		.amdhsa_float_denorm_mode_16_64 3
		.amdhsa_dx10_clamp 1
		.amdhsa_ieee_mode 1
		.amdhsa_fp16_overflow 0
		.amdhsa_exception_fp_ieee_invalid_op 0
		.amdhsa_exception_fp_denorm_src 0
		.amdhsa_exception_fp_ieee_div_zero 0
		.amdhsa_exception_fp_ieee_overflow 0
		.amdhsa_exception_fp_ieee_underflow 0
		.amdhsa_exception_fp_ieee_inexact 0
		.amdhsa_exception_int_div_zero 0
	.end_amdhsa_kernel
	.section	.text._ZL23rocblas_dot_kernel_inc1ILb0ELi512ELi2ELb0E19rocblas_complex_numIfEPKS1_S1_EviT4_llS4_lliPT5_PT3_,"axG",@progbits,_ZL23rocblas_dot_kernel_inc1ILb0ELi512ELi2ELb0E19rocblas_complex_numIfEPKS1_S1_EviT4_llS4_lliPT5_PT3_,comdat
.Lfunc_end39:
	.size	_ZL23rocblas_dot_kernel_inc1ILb0ELi512ELi2ELb0E19rocblas_complex_numIfEPKS1_S1_EviT4_llS4_lliPT5_PT3_, .Lfunc_end39-_ZL23rocblas_dot_kernel_inc1ILb0ELi512ELi2ELb0E19rocblas_complex_numIfEPKS1_S1_EviT4_llS4_lliPT5_PT3_
                                        ; -- End function
	.set _ZL23rocblas_dot_kernel_inc1ILb0ELi512ELi2ELb0E19rocblas_complex_numIfEPKS1_S1_EviT4_llS4_lliPT5_PT3_.num_vgpr, 11
	.set _ZL23rocblas_dot_kernel_inc1ILb0ELi512ELi2ELb0E19rocblas_complex_numIfEPKS1_S1_EviT4_llS4_lliPT5_PT3_.num_agpr, 0
	.set _ZL23rocblas_dot_kernel_inc1ILb0ELi512ELi2ELb0E19rocblas_complex_numIfEPKS1_S1_EviT4_llS4_lliPT5_PT3_.numbered_sgpr, 22
	.set _ZL23rocblas_dot_kernel_inc1ILb0ELi512ELi2ELb0E19rocblas_complex_numIfEPKS1_S1_EviT4_llS4_lliPT5_PT3_.num_named_barrier, 0
	.set _ZL23rocblas_dot_kernel_inc1ILb0ELi512ELi2ELb0E19rocblas_complex_numIfEPKS1_S1_EviT4_llS4_lliPT5_PT3_.private_seg_size, 0
	.set _ZL23rocblas_dot_kernel_inc1ILb0ELi512ELi2ELb0E19rocblas_complex_numIfEPKS1_S1_EviT4_llS4_lliPT5_PT3_.uses_vcc, 1
	.set _ZL23rocblas_dot_kernel_inc1ILb0ELi512ELi2ELb0E19rocblas_complex_numIfEPKS1_S1_EviT4_llS4_lliPT5_PT3_.uses_flat_scratch, 0
	.set _ZL23rocblas_dot_kernel_inc1ILb0ELi512ELi2ELb0E19rocblas_complex_numIfEPKS1_S1_EviT4_llS4_lliPT5_PT3_.has_dyn_sized_stack, 0
	.set _ZL23rocblas_dot_kernel_inc1ILb0ELi512ELi2ELb0E19rocblas_complex_numIfEPKS1_S1_EviT4_llS4_lliPT5_PT3_.has_recursion, 0
	.set _ZL23rocblas_dot_kernel_inc1ILb0ELi512ELi2ELb0E19rocblas_complex_numIfEPKS1_S1_EviT4_llS4_lliPT5_PT3_.has_indirect_call, 0
	.section	.AMDGPU.csdata,"",@progbits
; Kernel info:
; codeLenInByte = 1120
; TotalNumSgprs: 26
; NumVgprs: 11
; ScratchSize: 0
; MemoryBound: 0
; FloatMode: 240
; IeeeMode: 1
; LDSByteSize: 512 bytes/workgroup (compile time only)
; SGPRBlocks: 3
; VGPRBlocks: 2
; NumSGPRsForWavesPerEU: 26
; NumVGPRsForWavesPerEU: 11
; Occupancy: 10
; WaveLimiterHint : 0
; COMPUTE_PGM_RSRC2:SCRATCH_EN: 0
; COMPUTE_PGM_RSRC2:USER_SGPR: 6
; COMPUTE_PGM_RSRC2:TRAP_HANDLER: 0
; COMPUTE_PGM_RSRC2:TGID_X_EN: 1
; COMPUTE_PGM_RSRC2:TGID_Y_EN: 0
; COMPUTE_PGM_RSRC2:TGID_Z_EN: 1
; COMPUTE_PGM_RSRC2:TIDIG_COMP_CNT: 0
	.section	.text._ZL18rocblas_dot_kernelIiLb0ELi512ELi2ELb0E19rocblas_complex_numIfEPKS1_S1_EviT5_lT_lS4_lS5_liPT6_PT4_,"axG",@progbits,_ZL18rocblas_dot_kernelIiLb0ELi512ELi2ELb0E19rocblas_complex_numIfEPKS1_S1_EviT5_lT_lS4_lS5_liPT6_PT4_,comdat
	.globl	_ZL18rocblas_dot_kernelIiLb0ELi512ELi2ELb0E19rocblas_complex_numIfEPKS1_S1_EviT5_lT_lS4_lS5_liPT6_PT4_ ; -- Begin function _ZL18rocblas_dot_kernelIiLb0ELi512ELi2ELb0E19rocblas_complex_numIfEPKS1_S1_EviT5_lT_lS4_lS5_liPT6_PT4_
	.p2align	8
	.type	_ZL18rocblas_dot_kernelIiLb0ELi512ELi2ELb0E19rocblas_complex_numIfEPKS1_S1_EviT5_lT_lS4_lS5_liPT6_PT4_,@function
_ZL18rocblas_dot_kernelIiLb0ELi512ELi2ELb0E19rocblas_complex_numIfEPKS1_S1_EviT5_lT_lS4_lS5_liPT6_PT4_: ; @_ZL18rocblas_dot_kernelIiLb0ELi512ELi2ELb0E19rocblas_complex_numIfEPKS1_S1_EviT5_lT_lS4_lS5_liPT6_PT4_
; %bb.0:
	s_mov_b32 s2, s7
	s_load_dword s7, s[4:5], 0x0
	s_load_dword s10, s[4:5], 0x60
	v_lshl_or_b32 v3, s6, 9, v0
	s_mov_b32 s3, 0
	v_mov_b32_e32 v1, 0
	s_waitcnt lgkmcnt(0)
	v_cmp_gt_i32_e32 vcc, s7, v3
	v_mov_b32_e32 v2, 0
	s_and_saveexec_b64 s[0:1], vcc
	s_cbranch_execz .LBB40_4
; %bb.1:
	s_load_dwordx4 s[16:19], s[4:5], 0x20
	s_load_dwordx4 s[20:23], s[4:5], 0x8
	s_load_dword s12, s[4:5], 0x18
	s_load_dwordx2 s[8:9], s[4:5], 0x30
	s_load_dword s11, s[4:5], 0x38
	s_load_dwordx2 s[24:25], s[4:5], 0x40
	s_waitcnt lgkmcnt(0)
	s_mul_i32 s13, s17, s2
	s_mul_hi_u32 s14, s16, s2
	s_add_i32 s15, s14, s13
	s_mul_i32 s14, s16, s2
	s_lshl_b64 s[14:15], s[14:15], 3
	s_add_u32 s13, s20, s14
	s_addc_u32 s16, s21, s15
	s_lshl_b64 s[14:15], s[22:23], 3
	s_add_u32 s13, s13, s14
	s_addc_u32 s14, s16, s15
	s_mul_i32 s15, s25, s2
	s_mul_hi_u32 s16, s24, s2
	s_add_i32 s17, s16, s15
	s_mul_i32 s16, s24, s2
	s_lshl_b64 s[16:17], s[16:17], 3
	s_add_u32 s15, s18, s16
	s_addc_u32 s18, s19, s17
	v_mad_i64_i32 v[1:2], s[16:17], v3, s11, 0
	s_lshl_b64 s[8:9], s[8:9], 3
	s_add_u32 s15, s15, s8
	s_addc_u32 s16, s18, s9
	v_mad_i64_i32 v[3:4], s[8:9], v3, s12, 0
	v_lshlrev_b64 v[1:2], 3, v[1:2]
	v_mov_b32_e32 v5, s16
	v_add_co_u32_e32 v1, vcc, s15, v1
	v_lshlrev_b64 v[3:4], 3, v[3:4]
	v_addc_co_u32_e32 v2, vcc, v5, v2, vcc
	v_mov_b32_e32 v5, s14
	v_add_co_u32_e32 v3, vcc, s13, v3
	v_addc_co_u32_e32 v4, vcc, v5, v4, vcc
	global_load_dwordx2 v[5:6], v[3:4], off
	global_load_dwordx2 v[7:8], v[1:2], off
	s_add_i32 s8, s6, s10
	v_lshl_or_b32 v3, s8, 9, v0
	v_cmp_gt_i32_e32 vcc, s7, v3
	s_waitcnt vmcnt(0)
	v_mul_f32_e32 v1, v6, v8
	v_mul_f32_e32 v2, v5, v8
	v_fma_f32 v1, v5, v7, -v1
	v_fmac_f32_e32 v2, v6, v7
	v_add_f32_e32 v1, 0, v1
	v_add_f32_e32 v2, 0, v2
	s_and_saveexec_b64 s[8:9], vcc
	s_cbranch_execz .LBB40_3
; %bb.2:
	v_mad_i64_i32 v[4:5], s[18:19], v3, s12, 0
	v_mad_i64_i32 v[6:7], s[18:19], v3, s11, 0
	v_lshlrev_b64 v[4:5], 3, v[4:5]
	v_mov_b32_e32 v8, s14
	v_add_co_u32_e32 v3, vcc, s13, v4
	v_addc_co_u32_e32 v4, vcc, v8, v5, vcc
	v_lshlrev_b64 v[5:6], 3, v[6:7]
	v_mov_b32_e32 v7, s16
	v_add_co_u32_e32 v5, vcc, s15, v5
	v_addc_co_u32_e32 v6, vcc, v7, v6, vcc
	global_load_dwordx2 v[3:4], v[3:4], off
	s_nop 0
	global_load_dwordx2 v[5:6], v[5:6], off
	s_waitcnt vmcnt(0)
	v_mul_f32_e32 v7, v3, v6
	v_mul_f32_e32 v6, v4, v6
	v_fmac_f32_e32 v7, v4, v5
	v_fma_f32 v3, v3, v5, -v6
	v_add_f32_e32 v2, v2, v7
	v_add_f32_e32 v1, v1, v3
.LBB40_3:
	s_or_b64 exec, exec, s[8:9]
.LBB40_4:
	s_or_b64 exec, exec, s[0:1]
	v_and_b32_e32 v5, 63, v0
	v_cmp_gt_u32_e32 vcc, 64, v0
	v_lshlrev_b32_e32 v3, 3, v5
	s_and_saveexec_b64 s[0:1], vcc
; %bb.5:
	v_mov_b32_e32 v6, 0
	v_mov_b32_e32 v7, v6
	ds_write_b64 v3, v[6:7]
; %bb.6:
	s_or_b64 exec, exec, s[0:1]
	v_mbcnt_lo_u32_b32 v4, -1, 0
	v_mbcnt_hi_u32_b32 v7, -1, v4
	v_mov_b32_e32 v4, 0x80
	v_lshl_or_b32 v4, v7, 2, v4
	ds_bpermute_b32 v6, v4, v1
	ds_bpermute_b32 v4, v4, v2
	v_and_b32_e32 v8, 63, v7
	v_cmp_gt_u32_e64 s[0:1], 48, v8
	s_waitcnt lgkmcnt(0)
	v_add_f32_e32 v1, v1, v6
	v_add_f32_e32 v2, v2, v4
	v_cndmask_b32_e64 v4, 0, 16, s[0:1]
	v_add_lshl_u32 v4, v4, v7, 2
	ds_bpermute_b32 v6, v4, v1
	ds_bpermute_b32 v4, v4, v2
	v_cmp_gt_u32_e64 s[0:1], 56, v8
	s_waitcnt lgkmcnt(0)
	s_barrier
	v_add_f32_e32 v1, v1, v6
	v_add_f32_e32 v2, v2, v4
	v_cndmask_b32_e64 v4, 0, 8, s[0:1]
	v_add_lshl_u32 v4, v4, v7, 2
	ds_bpermute_b32 v6, v4, v1
	ds_bpermute_b32 v4, v4, v2
	v_cmp_gt_u32_e64 s[0:1], 60, v8
	s_waitcnt lgkmcnt(1)
	v_add_f32_e32 v1, v1, v6
	s_waitcnt lgkmcnt(0)
	v_add_f32_e32 v2, v2, v4
	v_cndmask_b32_e64 v4, 0, 4, s[0:1]
	v_add_lshl_u32 v4, v4, v7, 2
	ds_bpermute_b32 v6, v4, v1
	ds_bpermute_b32 v9, v4, v2
	v_cmp_gt_u32_e64 s[0:1], 62, v8
	s_waitcnt lgkmcnt(1)
	v_add_f32_e32 v1, v1, v6
	v_cndmask_b32_e64 v6, 0, 2, s[0:1]
	s_waitcnt lgkmcnt(0)
	v_add_f32_e32 v2, v2, v9
	v_add_lshl_u32 v6, v6, v7, 2
	ds_bpermute_b32 v9, v6, v1
	ds_bpermute_b32 v10, v6, v2
	v_cmp_ne_u32_e64 s[0:1], 63, v8
	v_addc_co_u32_e64 v7, s[0:1], 0, v7, s[0:1]
	s_waitcnt lgkmcnt(1)
	v_add_f32_e32 v1, v1, v9
	s_waitcnt lgkmcnt(0)
	v_add_f32_e32 v2, v2, v10
	v_lshlrev_b32_e32 v7, 2, v7
	ds_bpermute_b32 v8, v7, v1
	ds_bpermute_b32 v9, v7, v2
	v_cmp_eq_u32_e64 s[0:1], 0, v5
	s_and_saveexec_b64 s[8:9], s[0:1]
	s_cbranch_execz .LBB40_8
; %bb.7:
	v_lshrrev_b32_e32 v5, 3, v0
	s_waitcnt lgkmcnt(1)
	v_add_f32_e32 v1, v1, v8
	s_waitcnt lgkmcnt(0)
	v_add_f32_e32 v2, v2, v9
	v_and_b32_e32 v5, 56, v5
	ds_write_b64 v5, v[1:2]
.LBB40_8:
	s_or_b64 exec, exec, s[8:9]
	v_cmp_gt_u32_e64 s[0:1], 8, v0
	v_mov_b32_e32 v2, 0
	v_mov_b32_e32 v1, 0
	s_waitcnt lgkmcnt(0)
	s_barrier
	s_and_saveexec_b64 s[8:9], s[0:1]
	s_cbranch_execnz .LBB40_12
; %bb.9:
	s_or_b64 exec, exec, s[8:9]
	s_and_saveexec_b64 s[0:1], vcc
	s_cbranch_execnz .LBB40_13
.LBB40_10:
	s_or_b64 exec, exec, s[0:1]
	v_cmp_eq_u32_e32 vcc, 0, v0
	s_and_saveexec_b64 s[0:1], vcc
	s_cbranch_execnz .LBB40_14
.LBB40_11:
	s_endpgm
.LBB40_12:
	ds_read_b64 v[1:2], v3
	s_or_b64 exec, exec, s[8:9]
	s_and_saveexec_b64 s[0:1], vcc
	s_cbranch_execz .LBB40_10
.LBB40_13:
	s_waitcnt lgkmcnt(0)
	ds_bpermute_b32 v3, v4, v1
	ds_bpermute_b32 v4, v4, v2
	s_waitcnt lgkmcnt(1)
	v_add_f32_e32 v1, v1, v3
	s_waitcnt lgkmcnt(0)
	v_add_f32_e32 v2, v2, v4
	ds_bpermute_b32 v3, v6, v1
	ds_bpermute_b32 v4, v6, v2
	s_waitcnt lgkmcnt(1)
	v_add_f32_e32 v1, v1, v3
	s_waitcnt lgkmcnt(0)
	v_add_f32_e32 v2, v2, v4
	ds_bpermute_b32 v3, v7, v1
	ds_bpermute_b32 v4, v7, v2
	s_waitcnt lgkmcnt(1)
	v_add_f32_e32 v1, v1, v3
	s_waitcnt lgkmcnt(0)
	v_add_f32_e32 v2, v2, v4
	s_or_b64 exec, exec, s[0:1]
	v_cmp_eq_u32_e32 vcc, 0, v0
	s_and_saveexec_b64 s[0:1], vcc
	s_cbranch_execz .LBB40_11
.LBB40_14:
	s_cmp_lg_u32 s10, 1
	s_cbranch_scc0 .LBB40_16
; %bb.15:
	s_load_dwordx2 s[0:1], s[4:5], 0x50
	s_mul_hi_u32 s9, s10, s2
	s_mul_i32 s8, s10, s2
	s_lshl_b64 s[8:9], s[8:9], 3
	s_mov_b32 s7, 0
	s_waitcnt lgkmcnt(0)
	s_add_u32 s8, s0, s8
	s_addc_u32 s9, s1, s9
	s_lshl_b64 s[0:1], s[6:7], 3
	s_add_u32 s0, s8, s0
	s_addc_u32 s1, s9, s1
	v_mov_b32_e32 v0, 0
	global_store_dword v0, v1, s[0:1]
	s_cbranch_execz .LBB40_17
	s_branch .LBB40_18
.LBB40_16:
                                        ; implicit-def: $sgpr0_sgpr1
.LBB40_17:
	s_load_dwordx2 s[0:1], s[4:5], 0x58
	s_lshl_b64 s[2:3], s[2:3], 3
	v_mov_b32_e32 v0, 0
	s_waitcnt lgkmcnt(0)
	s_add_u32 s0, s0, s2
	s_addc_u32 s1, s1, s3
	global_store_dword v0, v1, s[0:1]
.LBB40_18:
	v_mov_b32_e32 v0, 0
	s_waitcnt lgkmcnt(0)
	global_store_dword v0, v2, s[0:1] offset:4
	s_endpgm
	.section	.rodata,"a",@progbits
	.p2align	6, 0x0
	.amdhsa_kernel _ZL18rocblas_dot_kernelIiLb0ELi512ELi2ELb0E19rocblas_complex_numIfEPKS1_S1_EviT5_lT_lS4_lS5_liPT6_PT4_
		.amdhsa_group_segment_fixed_size 512
		.amdhsa_private_segment_fixed_size 0
		.amdhsa_kernarg_size 352
		.amdhsa_user_sgpr_count 6
		.amdhsa_user_sgpr_private_segment_buffer 1
		.amdhsa_user_sgpr_dispatch_ptr 0
		.amdhsa_user_sgpr_queue_ptr 0
		.amdhsa_user_sgpr_kernarg_segment_ptr 1
		.amdhsa_user_sgpr_dispatch_id 0
		.amdhsa_user_sgpr_flat_scratch_init 0
		.amdhsa_user_sgpr_private_segment_size 0
		.amdhsa_uses_dynamic_stack 0
		.amdhsa_system_sgpr_private_segment_wavefront_offset 0
		.amdhsa_system_sgpr_workgroup_id_x 1
		.amdhsa_system_sgpr_workgroup_id_y 0
		.amdhsa_system_sgpr_workgroup_id_z 1
		.amdhsa_system_sgpr_workgroup_info 0
		.amdhsa_system_vgpr_workitem_id 0
		.amdhsa_next_free_vgpr 11
		.amdhsa_next_free_sgpr 26
		.amdhsa_reserve_vcc 1
		.amdhsa_reserve_flat_scratch 0
		.amdhsa_float_round_mode_32 0
		.amdhsa_float_round_mode_16_64 0
		.amdhsa_float_denorm_mode_32 3
		.amdhsa_float_denorm_mode_16_64 3
		.amdhsa_dx10_clamp 1
		.amdhsa_ieee_mode 1
		.amdhsa_fp16_overflow 0
		.amdhsa_exception_fp_ieee_invalid_op 0
		.amdhsa_exception_fp_denorm_src 0
		.amdhsa_exception_fp_ieee_div_zero 0
		.amdhsa_exception_fp_ieee_overflow 0
		.amdhsa_exception_fp_ieee_underflow 0
		.amdhsa_exception_fp_ieee_inexact 0
		.amdhsa_exception_int_div_zero 0
	.end_amdhsa_kernel
	.section	.text._ZL18rocblas_dot_kernelIiLb0ELi512ELi2ELb0E19rocblas_complex_numIfEPKS1_S1_EviT5_lT_lS4_lS5_liPT6_PT4_,"axG",@progbits,_ZL18rocblas_dot_kernelIiLb0ELi512ELi2ELb0E19rocblas_complex_numIfEPKS1_S1_EviT5_lT_lS4_lS5_liPT6_PT4_,comdat
.Lfunc_end40:
	.size	_ZL18rocblas_dot_kernelIiLb0ELi512ELi2ELb0E19rocblas_complex_numIfEPKS1_S1_EviT5_lT_lS4_lS5_liPT6_PT4_, .Lfunc_end40-_ZL18rocblas_dot_kernelIiLb0ELi512ELi2ELb0E19rocblas_complex_numIfEPKS1_S1_EviT5_lT_lS4_lS5_liPT6_PT4_
                                        ; -- End function
	.set _ZL18rocblas_dot_kernelIiLb0ELi512ELi2ELb0E19rocblas_complex_numIfEPKS1_S1_EviT5_lT_lS4_lS5_liPT6_PT4_.num_vgpr, 11
	.set _ZL18rocblas_dot_kernelIiLb0ELi512ELi2ELb0E19rocblas_complex_numIfEPKS1_S1_EviT5_lT_lS4_lS5_liPT6_PT4_.num_agpr, 0
	.set _ZL18rocblas_dot_kernelIiLb0ELi512ELi2ELb0E19rocblas_complex_numIfEPKS1_S1_EviT5_lT_lS4_lS5_liPT6_PT4_.numbered_sgpr, 26
	.set _ZL18rocblas_dot_kernelIiLb0ELi512ELi2ELb0E19rocblas_complex_numIfEPKS1_S1_EviT5_lT_lS4_lS5_liPT6_PT4_.num_named_barrier, 0
	.set _ZL18rocblas_dot_kernelIiLb0ELi512ELi2ELb0E19rocblas_complex_numIfEPKS1_S1_EviT5_lT_lS4_lS5_liPT6_PT4_.private_seg_size, 0
	.set _ZL18rocblas_dot_kernelIiLb0ELi512ELi2ELb0E19rocblas_complex_numIfEPKS1_S1_EviT5_lT_lS4_lS5_liPT6_PT4_.uses_vcc, 1
	.set _ZL18rocblas_dot_kernelIiLb0ELi512ELi2ELb0E19rocblas_complex_numIfEPKS1_S1_EviT5_lT_lS4_lS5_liPT6_PT4_.uses_flat_scratch, 0
	.set _ZL18rocblas_dot_kernelIiLb0ELi512ELi2ELb0E19rocblas_complex_numIfEPKS1_S1_EviT5_lT_lS4_lS5_liPT6_PT4_.has_dyn_sized_stack, 0
	.set _ZL18rocblas_dot_kernelIiLb0ELi512ELi2ELb0E19rocblas_complex_numIfEPKS1_S1_EviT5_lT_lS4_lS5_liPT6_PT4_.has_recursion, 0
	.set _ZL18rocblas_dot_kernelIiLb0ELi512ELi2ELb0E19rocblas_complex_numIfEPKS1_S1_EviT5_lT_lS4_lS5_liPT6_PT4_.has_indirect_call, 0
	.section	.AMDGPU.csdata,"",@progbits
; Kernel info:
; codeLenInByte = 1176
; TotalNumSgprs: 30
; NumVgprs: 11
; ScratchSize: 0
; MemoryBound: 0
; FloatMode: 240
; IeeeMode: 1
; LDSByteSize: 512 bytes/workgroup (compile time only)
; SGPRBlocks: 3
; VGPRBlocks: 2
; NumSGPRsForWavesPerEU: 30
; NumVGPRsForWavesPerEU: 11
; Occupancy: 10
; WaveLimiterHint : 0
; COMPUTE_PGM_RSRC2:SCRATCH_EN: 0
; COMPUTE_PGM_RSRC2:USER_SGPR: 6
; COMPUTE_PGM_RSRC2:TRAP_HANDLER: 0
; COMPUTE_PGM_RSRC2:TGID_X_EN: 1
; COMPUTE_PGM_RSRC2:TGID_Y_EN: 0
; COMPUTE_PGM_RSRC2:TGID_Z_EN: 1
; COMPUTE_PGM_RSRC2:TIDIG_COMP_CNT: 0
	.section	.text._ZL24rocblas_dot_kernel_magsqIiLb0ELi512ELi2ELb0E19rocblas_complex_numIfEPKS1_S1_EviT5_lT_liPT6_PT4_,"axG",@progbits,_ZL24rocblas_dot_kernel_magsqIiLb0ELi512ELi2ELb0E19rocblas_complex_numIfEPKS1_S1_EviT5_lT_liPT6_PT4_,comdat
	.globl	_ZL24rocblas_dot_kernel_magsqIiLb0ELi512ELi2ELb0E19rocblas_complex_numIfEPKS1_S1_EviT5_lT_liPT6_PT4_ ; -- Begin function _ZL24rocblas_dot_kernel_magsqIiLb0ELi512ELi2ELb0E19rocblas_complex_numIfEPKS1_S1_EviT5_lT_liPT6_PT4_
	.p2align	8
	.type	_ZL24rocblas_dot_kernel_magsqIiLb0ELi512ELi2ELb0E19rocblas_complex_numIfEPKS1_S1_EviT5_lT_liPT6_PT4_,@function
_ZL24rocblas_dot_kernel_magsqIiLb0ELi512ELi2ELb0E19rocblas_complex_numIfEPKS1_S1_EviT5_lT_liPT6_PT4_: ; @_ZL24rocblas_dot_kernel_magsqIiLb0ELi512ELi2ELb0E19rocblas_complex_numIfEPKS1_S1_EviT5_lT_liPT6_PT4_
; %bb.0:
	s_mov_b32 s2, s7
	s_load_dword s7, s[4:5], 0x0
	s_load_dword s10, s[4:5], 0x40
	v_lshl_or_b32 v3, s6, 9, v0
	s_mov_b32 s3, 0
	v_mov_b32_e32 v1, 0
	s_waitcnt lgkmcnt(0)
	v_cmp_gt_i32_e32 vcc, s7, v3
	v_mov_b32_e32 v2, 0
	s_and_saveexec_b64 s[0:1], vcc
	s_cbranch_execz .LBB41_4
; %bb.1:
	s_load_dwordx2 s[8:9], s[4:5], 0x20
	s_load_dwordx4 s[12:15], s[4:5], 0x8
	s_load_dword s11, s[4:5], 0x18
	s_waitcnt lgkmcnt(0)
	s_mul_i32 s9, s9, s2
	s_mul_hi_u32 s16, s8, s2
	s_mul_i32 s8, s8, s2
	s_add_i32 s9, s16, s9
	s_lshl_b64 s[8:9], s[8:9], 3
	s_add_u32 s12, s12, s8
	s_addc_u32 s13, s13, s9
	v_mad_i64_i32 v[1:2], s[8:9], v3, s11, 0
	s_lshl_b64 s[8:9], s[14:15], 3
	s_add_u32 s12, s12, s8
	v_lshlrev_b64 v[1:2], 3, v[1:2]
	s_addc_u32 s13, s13, s9
	v_mov_b32_e32 v3, s13
	v_add_co_u32_e32 v1, vcc, s12, v1
	v_addc_co_u32_e32 v2, vcc, v3, v2, vcc
	global_load_dwordx2 v[1:2], v[1:2], off
	s_add_i32 s8, s6, s10
	v_lshl_or_b32 v3, s8, 9, v0
	v_cmp_gt_i32_e32 vcc, s7, v3
	s_waitcnt vmcnt(0)
	v_mul_f32_e32 v4, v2, v2
	v_mul_f32_e32 v2, v1, v2
	v_fma_f32 v1, v1, v1, -v4
	v_fma_f32 v2, v2, 2.0, 0
	s_and_saveexec_b64 s[8:9], vcc
	s_cbranch_execz .LBB41_3
; %bb.2:
	v_mad_i64_i32 v[3:4], s[14:15], v3, s11, 0
	v_mov_b32_e32 v5, s13
	v_lshlrev_b64 v[3:4], 3, v[3:4]
	v_add_co_u32_e32 v3, vcc, s12, v3
	v_addc_co_u32_e32 v4, vcc, v5, v4, vcc
	global_load_dwordx2 v[3:4], v[3:4], off
	s_waitcnt vmcnt(0)
	v_mul_f32_e32 v5, v3, v4
	v_mul_f32_e32 v4, v4, v4
	v_fma_f32 v3, v3, v3, -v4
	v_fmac_f32_e32 v2, 2.0, v5
	v_add_f32_e32 v1, v1, v3
.LBB41_3:
	s_or_b64 exec, exec, s[8:9]
.LBB41_4:
	s_or_b64 exec, exec, s[0:1]
	v_and_b32_e32 v5, 63, v0
	v_cmp_gt_u32_e32 vcc, 64, v0
	v_lshlrev_b32_e32 v3, 3, v5
	s_and_saveexec_b64 s[0:1], vcc
; %bb.5:
	v_mov_b32_e32 v6, 0
	v_mov_b32_e32 v7, v6
	ds_write_b64 v3, v[6:7]
; %bb.6:
	s_or_b64 exec, exec, s[0:1]
	v_mbcnt_lo_u32_b32 v4, -1, 0
	v_mbcnt_hi_u32_b32 v7, -1, v4
	v_mov_b32_e32 v4, 0x80
	v_lshl_or_b32 v4, v7, 2, v4
	ds_bpermute_b32 v6, v4, v1
	ds_bpermute_b32 v4, v4, v2
	v_and_b32_e32 v8, 63, v7
	v_cmp_gt_u32_e64 s[0:1], 48, v8
	s_waitcnt lgkmcnt(0)
	v_add_f32_e32 v1, v1, v6
	v_add_f32_e32 v2, v2, v4
	v_cndmask_b32_e64 v4, 0, 16, s[0:1]
	v_add_lshl_u32 v4, v4, v7, 2
	ds_bpermute_b32 v6, v4, v1
	ds_bpermute_b32 v4, v4, v2
	v_cmp_gt_u32_e64 s[0:1], 56, v8
	s_waitcnt lgkmcnt(0)
	s_barrier
	v_add_f32_e32 v1, v1, v6
	v_add_f32_e32 v2, v2, v4
	v_cndmask_b32_e64 v4, 0, 8, s[0:1]
	v_add_lshl_u32 v4, v4, v7, 2
	ds_bpermute_b32 v6, v4, v1
	ds_bpermute_b32 v4, v4, v2
	v_cmp_gt_u32_e64 s[0:1], 60, v8
	s_waitcnt lgkmcnt(1)
	v_add_f32_e32 v1, v1, v6
	s_waitcnt lgkmcnt(0)
	v_add_f32_e32 v2, v2, v4
	v_cndmask_b32_e64 v4, 0, 4, s[0:1]
	v_add_lshl_u32 v4, v4, v7, 2
	ds_bpermute_b32 v6, v4, v1
	ds_bpermute_b32 v9, v4, v2
	v_cmp_gt_u32_e64 s[0:1], 62, v8
	s_waitcnt lgkmcnt(1)
	v_add_f32_e32 v1, v1, v6
	v_cndmask_b32_e64 v6, 0, 2, s[0:1]
	s_waitcnt lgkmcnt(0)
	v_add_f32_e32 v2, v2, v9
	v_add_lshl_u32 v6, v6, v7, 2
	ds_bpermute_b32 v9, v6, v1
	ds_bpermute_b32 v10, v6, v2
	v_cmp_ne_u32_e64 s[0:1], 63, v8
	v_addc_co_u32_e64 v7, s[0:1], 0, v7, s[0:1]
	s_waitcnt lgkmcnt(1)
	v_add_f32_e32 v1, v1, v9
	s_waitcnt lgkmcnt(0)
	v_add_f32_e32 v2, v2, v10
	v_lshlrev_b32_e32 v7, 2, v7
	ds_bpermute_b32 v8, v7, v1
	ds_bpermute_b32 v9, v7, v2
	v_cmp_eq_u32_e64 s[0:1], 0, v5
	s_and_saveexec_b64 s[8:9], s[0:1]
	s_cbranch_execz .LBB41_8
; %bb.7:
	v_lshrrev_b32_e32 v5, 3, v0
	s_waitcnt lgkmcnt(1)
	v_add_f32_e32 v1, v1, v8
	s_waitcnt lgkmcnt(0)
	v_add_f32_e32 v2, v2, v9
	v_and_b32_e32 v5, 56, v5
	ds_write_b64 v5, v[1:2]
.LBB41_8:
	s_or_b64 exec, exec, s[8:9]
	v_cmp_gt_u32_e64 s[0:1], 8, v0
	v_mov_b32_e32 v2, 0
	v_mov_b32_e32 v1, 0
	s_waitcnt lgkmcnt(0)
	s_barrier
	s_and_saveexec_b64 s[8:9], s[0:1]
	s_cbranch_execnz .LBB41_12
; %bb.9:
	s_or_b64 exec, exec, s[8:9]
	s_and_saveexec_b64 s[0:1], vcc
	s_cbranch_execnz .LBB41_13
.LBB41_10:
	s_or_b64 exec, exec, s[0:1]
	v_cmp_eq_u32_e32 vcc, 0, v0
	s_and_saveexec_b64 s[0:1], vcc
	s_cbranch_execnz .LBB41_14
.LBB41_11:
	s_endpgm
.LBB41_12:
	ds_read_b64 v[1:2], v3
	s_or_b64 exec, exec, s[8:9]
	s_and_saveexec_b64 s[0:1], vcc
	s_cbranch_execz .LBB41_10
.LBB41_13:
	s_waitcnt lgkmcnt(0)
	ds_bpermute_b32 v3, v4, v1
	ds_bpermute_b32 v4, v4, v2
	s_waitcnt lgkmcnt(1)
	v_add_f32_e32 v1, v1, v3
	s_waitcnt lgkmcnt(0)
	v_add_f32_e32 v2, v2, v4
	ds_bpermute_b32 v3, v6, v1
	ds_bpermute_b32 v4, v6, v2
	s_waitcnt lgkmcnt(1)
	v_add_f32_e32 v1, v1, v3
	s_waitcnt lgkmcnt(0)
	v_add_f32_e32 v2, v2, v4
	;; [unrolled: 6-line block ×3, first 2 shown]
	s_or_b64 exec, exec, s[0:1]
	v_cmp_eq_u32_e32 vcc, 0, v0
	s_and_saveexec_b64 s[0:1], vcc
	s_cbranch_execz .LBB41_11
.LBB41_14:
	s_cmp_lg_u32 s10, 1
	s_cbranch_scc0 .LBB41_16
; %bb.15:
	s_load_dwordx2 s[0:1], s[4:5], 0x30
	s_mul_hi_u32 s9, s10, s2
	s_mul_i32 s8, s10, s2
	s_lshl_b64 s[8:9], s[8:9], 3
	s_mov_b32 s7, 0
	s_waitcnt lgkmcnt(0)
	s_add_u32 s8, s0, s8
	s_addc_u32 s9, s1, s9
	s_lshl_b64 s[0:1], s[6:7], 3
	s_add_u32 s0, s8, s0
	s_addc_u32 s1, s9, s1
	v_mov_b32_e32 v0, 0
	global_store_dword v0, v1, s[0:1]
	s_cbranch_execz .LBB41_17
	s_branch .LBB41_18
.LBB41_16:
                                        ; implicit-def: $sgpr0_sgpr1
.LBB41_17:
	s_load_dwordx2 s[0:1], s[4:5], 0x38
	s_lshl_b64 s[2:3], s[2:3], 3
	v_mov_b32_e32 v0, 0
	s_waitcnt lgkmcnt(0)
	s_add_u32 s0, s0, s2
	s_addc_u32 s1, s1, s3
	global_store_dword v0, v1, s[0:1]
.LBB41_18:
	v_mov_b32_e32 v0, 0
	s_waitcnt lgkmcnt(0)
	global_store_dword v0, v2, s[0:1] offset:4
	s_endpgm
	.section	.rodata,"a",@progbits
	.p2align	6, 0x0
	.amdhsa_kernel _ZL24rocblas_dot_kernel_magsqIiLb0ELi512ELi2ELb0E19rocblas_complex_numIfEPKS1_S1_EviT5_lT_liPT6_PT4_
		.amdhsa_group_segment_fixed_size 512
		.amdhsa_private_segment_fixed_size 0
		.amdhsa_kernarg_size 320
		.amdhsa_user_sgpr_count 6
		.amdhsa_user_sgpr_private_segment_buffer 1
		.amdhsa_user_sgpr_dispatch_ptr 0
		.amdhsa_user_sgpr_queue_ptr 0
		.amdhsa_user_sgpr_kernarg_segment_ptr 1
		.amdhsa_user_sgpr_dispatch_id 0
		.amdhsa_user_sgpr_flat_scratch_init 0
		.amdhsa_user_sgpr_private_segment_size 0
		.amdhsa_uses_dynamic_stack 0
		.amdhsa_system_sgpr_private_segment_wavefront_offset 0
		.amdhsa_system_sgpr_workgroup_id_x 1
		.amdhsa_system_sgpr_workgroup_id_y 0
		.amdhsa_system_sgpr_workgroup_id_z 1
		.amdhsa_system_sgpr_workgroup_info 0
		.amdhsa_system_vgpr_workitem_id 0
		.amdhsa_next_free_vgpr 11
		.amdhsa_next_free_sgpr 17
		.amdhsa_reserve_vcc 1
		.amdhsa_reserve_flat_scratch 0
		.amdhsa_float_round_mode_32 0
		.amdhsa_float_round_mode_16_64 0
		.amdhsa_float_denorm_mode_32 3
		.amdhsa_float_denorm_mode_16_64 3
		.amdhsa_dx10_clamp 1
		.amdhsa_ieee_mode 1
		.amdhsa_fp16_overflow 0
		.amdhsa_exception_fp_ieee_invalid_op 0
		.amdhsa_exception_fp_denorm_src 0
		.amdhsa_exception_fp_ieee_div_zero 0
		.amdhsa_exception_fp_ieee_overflow 0
		.amdhsa_exception_fp_ieee_underflow 0
		.amdhsa_exception_fp_ieee_inexact 0
		.amdhsa_exception_int_div_zero 0
	.end_amdhsa_kernel
	.section	.text._ZL24rocblas_dot_kernel_magsqIiLb0ELi512ELi2ELb0E19rocblas_complex_numIfEPKS1_S1_EviT5_lT_liPT6_PT4_,"axG",@progbits,_ZL24rocblas_dot_kernel_magsqIiLb0ELi512ELi2ELb0E19rocblas_complex_numIfEPKS1_S1_EviT5_lT_liPT6_PT4_,comdat
.Lfunc_end41:
	.size	_ZL24rocblas_dot_kernel_magsqIiLb0ELi512ELi2ELb0E19rocblas_complex_numIfEPKS1_S1_EviT5_lT_liPT6_PT4_, .Lfunc_end41-_ZL24rocblas_dot_kernel_magsqIiLb0ELi512ELi2ELb0E19rocblas_complex_numIfEPKS1_S1_EviT5_lT_liPT6_PT4_
                                        ; -- End function
	.set _ZL24rocblas_dot_kernel_magsqIiLb0ELi512ELi2ELb0E19rocblas_complex_numIfEPKS1_S1_EviT5_lT_liPT6_PT4_.num_vgpr, 11
	.set _ZL24rocblas_dot_kernel_magsqIiLb0ELi512ELi2ELb0E19rocblas_complex_numIfEPKS1_S1_EviT5_lT_liPT6_PT4_.num_agpr, 0
	.set _ZL24rocblas_dot_kernel_magsqIiLb0ELi512ELi2ELb0E19rocblas_complex_numIfEPKS1_S1_EviT5_lT_liPT6_PT4_.numbered_sgpr, 17
	.set _ZL24rocblas_dot_kernel_magsqIiLb0ELi512ELi2ELb0E19rocblas_complex_numIfEPKS1_S1_EviT5_lT_liPT6_PT4_.num_named_barrier, 0
	.set _ZL24rocblas_dot_kernel_magsqIiLb0ELi512ELi2ELb0E19rocblas_complex_numIfEPKS1_S1_EviT5_lT_liPT6_PT4_.private_seg_size, 0
	.set _ZL24rocblas_dot_kernel_magsqIiLb0ELi512ELi2ELb0E19rocblas_complex_numIfEPKS1_S1_EviT5_lT_liPT6_PT4_.uses_vcc, 1
	.set _ZL24rocblas_dot_kernel_magsqIiLb0ELi512ELi2ELb0E19rocblas_complex_numIfEPKS1_S1_EviT5_lT_liPT6_PT4_.uses_flat_scratch, 0
	.set _ZL24rocblas_dot_kernel_magsqIiLb0ELi512ELi2ELb0E19rocblas_complex_numIfEPKS1_S1_EviT5_lT_liPT6_PT4_.has_dyn_sized_stack, 0
	.set _ZL24rocblas_dot_kernel_magsqIiLb0ELi512ELi2ELb0E19rocblas_complex_numIfEPKS1_S1_EviT5_lT_liPT6_PT4_.has_recursion, 0
	.set _ZL24rocblas_dot_kernel_magsqIiLb0ELi512ELi2ELb0E19rocblas_complex_numIfEPKS1_S1_EviT5_lT_liPT6_PT4_.has_indirect_call, 0
	.section	.AMDGPU.csdata,"",@progbits
; Kernel info:
; codeLenInByte = 1028
; TotalNumSgprs: 21
; NumVgprs: 11
; ScratchSize: 0
; MemoryBound: 0
; FloatMode: 240
; IeeeMode: 1
; LDSByteSize: 512 bytes/workgroup (compile time only)
; SGPRBlocks: 2
; VGPRBlocks: 2
; NumSGPRsForWavesPerEU: 21
; NumVGPRsForWavesPerEU: 11
; Occupancy: 10
; WaveLimiterHint : 0
; COMPUTE_PGM_RSRC2:SCRATCH_EN: 0
; COMPUTE_PGM_RSRC2:USER_SGPR: 6
; COMPUTE_PGM_RSRC2:TRAP_HANDLER: 0
; COMPUTE_PGM_RSRC2:TGID_X_EN: 1
; COMPUTE_PGM_RSRC2:TGID_Y_EN: 0
; COMPUTE_PGM_RSRC2:TGID_Z_EN: 1
; COMPUTE_PGM_RSRC2:TIDIG_COMP_CNT: 0
	.section	.text._ZL30rocblas_reduction_kernel_part2ILi512ELi2E25rocblas_finalize_identity19rocblas_complex_numIfES2_EviPT2_PT3_,"axG",@progbits,_ZL30rocblas_reduction_kernel_part2ILi512ELi2E25rocblas_finalize_identity19rocblas_complex_numIfES2_EviPT2_PT3_,comdat
	.globl	_ZL30rocblas_reduction_kernel_part2ILi512ELi2E25rocblas_finalize_identity19rocblas_complex_numIfES2_EviPT2_PT3_ ; -- Begin function _ZL30rocblas_reduction_kernel_part2ILi512ELi2E25rocblas_finalize_identity19rocblas_complex_numIfES2_EviPT2_PT3_
	.p2align	8
	.type	_ZL30rocblas_reduction_kernel_part2ILi512ELi2E25rocblas_finalize_identity19rocblas_complex_numIfES2_EviPT2_PT3_,@function
_ZL30rocblas_reduction_kernel_part2ILi512ELi2E25rocblas_finalize_identity19rocblas_complex_numIfES2_EviPT2_PT3_: ; @_ZL30rocblas_reduction_kernel_part2ILi512ELi2E25rocblas_finalize_identity19rocblas_complex_numIfES2_EviPT2_PT3_
; %bb.0:
	s_load_dword s12, s[4:5], 0x0
	s_load_dwordx4 s[0:3], s[4:5], 0x8
	v_lshlrev_b32_e32 v5, 1, v0
	s_mov_b32 s7, 0
	v_mov_b32_e32 v3, 0
	s_waitcnt lgkmcnt(0)
	s_lshr_b32 s8, s12, 31
	s_ashr_i32 s4, s12, 31
	s_add_i32 s8, s12, s8
	s_mul_hi_u32 s5, s12, s6
	s_mul_i32 s4, s4, s6
	s_and_b32 s13, s8, -2
	s_add_i32 s5, s5, s4
	s_mul_i32 s4, s12, s6
	v_cmp_gt_i32_e32 vcc, s13, v5
	v_mov_b32_e32 v4, 0
	s_and_saveexec_b64 s[8:9], vcc
	s_cbranch_execz .LBB42_4
; %bb.1:
	s_lshl_b64 s[10:11], s[4:5], 3
	s_add_u32 s10, s0, s10
	v_lshlrev_b32_e32 v1, 4, v0
	s_addc_u32 s11, s1, s11
	v_mov_b32_e32 v2, s11
	v_add_co_u32_e32 v1, vcc, s10, v1
	v_addc_co_u32_e32 v2, vcc, 0, v2, vcc
	v_add_co_u32_e32 v1, vcc, 8, v1
	v_mov_b32_e32 v3, 0
	v_addc_co_u32_e32 v2, vcc, 0, v2, vcc
	s_mov_b64 s[10:11], 0
	v_mov_b32_e32 v4, 0
.LBB42_2:                               ; =>This Inner Loop Header: Depth=1
	global_load_dwordx4 v[6:9], v[1:2], off offset:-8
	v_add_co_u32_e32 v1, vcc, 0x2000, v1
	v_add_u32_e32 v5, 0x400, v5
	v_addc_co_u32_e32 v2, vcc, 0, v2, vcc
	v_cmp_le_i32_e32 vcc, s13, v5
	s_or_b64 s[10:11], vcc, s[10:11]
	s_waitcnt vmcnt(0)
	v_add_f32_e32 v4, v4, v6
	v_add_f32_e32 v3, v3, v7
	;; [unrolled: 1-line block ×4, first 2 shown]
	s_andn2_b64 exec, exec, s[10:11]
	s_cbranch_execnz .LBB42_2
; %bb.3:
	s_or_b64 exec, exec, s[10:11]
.LBB42_4:
	s_or_b64 exec, exec, s[8:9]
	s_sub_i32 s8, s12, s13
	v_cmp_gt_u32_e32 vcc, s8, v0
	s_and_saveexec_b64 s[8:9], vcc
	s_cbranch_execz .LBB42_6
; %bb.5:
	s_lshl_b64 s[4:5], s[4:5], 3
	v_xad_u32 v1, v0, -1, s12
	v_mov_b32_e32 v2, 0
	s_add_u32 s0, s0, s4
	v_lshlrev_b64 v[1:2], 3, v[1:2]
	s_addc_u32 s1, s1, s5
	v_mov_b32_e32 v5, s1
	v_add_co_u32_e32 v1, vcc, s0, v1
	v_addc_co_u32_e32 v2, vcc, v5, v2, vcc
	global_load_dwordx2 v[1:2], v[1:2], off
	s_waitcnt vmcnt(0)
	v_add_f32_e32 v4, v4, v1
	v_add_f32_e32 v3, v3, v2
.LBB42_6:
	s_or_b64 exec, exec, s[8:9]
	v_and_b32_e32 v1, 63, v0
	v_cmp_gt_u32_e32 vcc, 64, v0
	v_lshlrev_b32_e32 v5, 3, v1
	s_and_saveexec_b64 s[0:1], vcc
; %bb.7:
	v_mov_b32_e32 v6, 0
	v_mov_b32_e32 v7, v6
	ds_write_b64 v5, v[6:7]
; %bb.8:
	s_or_b64 exec, exec, s[0:1]
	v_mbcnt_lo_u32_b32 v2, -1, 0
	v_mbcnt_hi_u32_b32 v6, -1, v2
	v_mov_b32_e32 v2, 0x80
	v_lshl_or_b32 v2, v6, 2, v2
	ds_bpermute_b32 v7, v2, v4
	ds_bpermute_b32 v2, v2, v3
	v_and_b32_e32 v8, 63, v6
	v_cmp_gt_u32_e64 s[0:1], 48, v8
	s_waitcnt lgkmcnt(0)
	v_add_f32_e32 v4, v4, v7
	v_add_f32_e32 v2, v3, v2
	v_cndmask_b32_e64 v3, 0, 16, s[0:1]
	v_add_lshl_u32 v3, v3, v6, 2
	ds_bpermute_b32 v7, v3, v4
	ds_bpermute_b32 v3, v3, v2
	v_cmp_gt_u32_e64 s[0:1], 56, v8
	s_waitcnt lgkmcnt(0)
	s_barrier
	v_add_f32_e32 v4, v4, v7
	v_add_f32_e32 v2, v2, v3
	v_cndmask_b32_e64 v3, 0, 8, s[0:1]
	v_add_lshl_u32 v3, v3, v6, 2
	ds_bpermute_b32 v7, v3, v4
	ds_bpermute_b32 v3, v3, v2
	v_cmp_gt_u32_e64 s[0:1], 60, v8
	s_waitcnt lgkmcnt(1)
	v_add_f32_e32 v4, v4, v7
	s_waitcnt lgkmcnt(0)
	v_add_f32_e32 v2, v2, v3
	v_cndmask_b32_e64 v3, 0, 4, s[0:1]
	v_add_lshl_u32 v3, v3, v6, 2
	ds_bpermute_b32 v9, v3, v2
	ds_bpermute_b32 v7, v3, v4
	v_cmp_gt_u32_e64 s[0:1], 62, v8
	s_waitcnt lgkmcnt(1)
	v_add_f32_e32 v9, v2, v9
	v_cndmask_b32_e64 v2, 0, 2, s[0:1]
	s_waitcnt lgkmcnt(0)
	v_add_f32_e32 v7, v4, v7
	v_add_lshl_u32 v4, v2, v6, 2
	ds_bpermute_b32 v2, v4, v7
	ds_bpermute_b32 v10, v4, v9
	v_cmp_ne_u32_e64 s[0:1], 63, v8
	v_addc_co_u32_e64 v6, s[0:1], 0, v6, s[0:1]
	s_waitcnt lgkmcnt(1)
	v_add_f32_e32 v2, v7, v2
	s_waitcnt lgkmcnt(0)
	v_add_f32_e32 v7, v9, v10
	v_lshlrev_b32_e32 v6, 2, v6
	ds_bpermute_b32 v8, v6, v2
	ds_bpermute_b32 v9, v6, v7
	v_cmp_eq_u32_e64 s[0:1], 0, v1
	s_and_saveexec_b64 s[4:5], s[0:1]
	s_cbranch_execz .LBB42_10
; %bb.9:
	s_waitcnt lgkmcnt(1)
	v_add_f32_e32 v1, v2, v8
	s_waitcnt lgkmcnt(0)
	v_add_f32_e32 v2, v7, v9
	v_lshrrev_b32_e32 v7, 3, v0
	v_and_b32_e32 v7, 56, v7
	ds_write_b64 v7, v[1:2]
.LBB42_10:
	s_or_b64 exec, exec, s[4:5]
	v_cmp_gt_u32_e64 s[0:1], 8, v0
	v_mov_b32_e32 v2, 0
	v_mov_b32_e32 v1, 0
	s_waitcnt lgkmcnt(0)
	s_barrier
	s_and_saveexec_b64 s[4:5], s[0:1]
	s_cbranch_execnz .LBB42_14
; %bb.11:
	s_or_b64 exec, exec, s[4:5]
	s_and_saveexec_b64 s[0:1], vcc
	s_cbranch_execnz .LBB42_15
.LBB42_12:
	s_or_b64 exec, exec, s[0:1]
	v_cmp_eq_u32_e32 vcc, 0, v0
	s_and_saveexec_b64 s[0:1], vcc
	s_cbranch_execnz .LBB42_16
.LBB42_13:
	s_endpgm
.LBB42_14:
	ds_read_b64 v[1:2], v5
	s_or_b64 exec, exec, s[4:5]
	s_and_saveexec_b64 s[0:1], vcc
	s_cbranch_execz .LBB42_12
.LBB42_15:
	s_waitcnt lgkmcnt(0)
	ds_bpermute_b32 v5, v3, v1
	ds_bpermute_b32 v3, v3, v2
	s_waitcnt lgkmcnt(1)
	v_add_f32_e32 v1, v1, v5
	s_waitcnt lgkmcnt(0)
	v_add_f32_e32 v2, v2, v3
	ds_bpermute_b32 v3, v4, v1
	ds_bpermute_b32 v4, v4, v2
	s_waitcnt lgkmcnt(1)
	v_add_f32_e32 v1, v1, v3
	s_waitcnt lgkmcnt(0)
	v_add_f32_e32 v2, v2, v4
	;; [unrolled: 6-line block ×3, first 2 shown]
	s_or_b64 exec, exec, s[0:1]
	v_cmp_eq_u32_e32 vcc, 0, v0
	s_and_saveexec_b64 s[0:1], vcc
	s_cbranch_execz .LBB42_13
.LBB42_16:
	s_lshl_b64 s[0:1], s[6:7], 3
	s_add_u32 s0, s2, s0
	s_addc_u32 s1, s3, s1
	v_mov_b32_e32 v0, 0
	s_waitcnt lgkmcnt(0)
	global_store_dwordx2 v0, v[1:2], s[0:1]
	s_endpgm
	.section	.rodata,"a",@progbits
	.p2align	6, 0x0
	.amdhsa_kernel _ZL30rocblas_reduction_kernel_part2ILi512ELi2E25rocblas_finalize_identity19rocblas_complex_numIfES2_EviPT2_PT3_
		.amdhsa_group_segment_fixed_size 512
		.amdhsa_private_segment_fixed_size 0
		.amdhsa_kernarg_size 24
		.amdhsa_user_sgpr_count 6
		.amdhsa_user_sgpr_private_segment_buffer 1
		.amdhsa_user_sgpr_dispatch_ptr 0
		.amdhsa_user_sgpr_queue_ptr 0
		.amdhsa_user_sgpr_kernarg_segment_ptr 1
		.amdhsa_user_sgpr_dispatch_id 0
		.amdhsa_user_sgpr_flat_scratch_init 0
		.amdhsa_user_sgpr_private_segment_size 0
		.amdhsa_uses_dynamic_stack 0
		.amdhsa_system_sgpr_private_segment_wavefront_offset 0
		.amdhsa_system_sgpr_workgroup_id_x 1
		.amdhsa_system_sgpr_workgroup_id_y 0
		.amdhsa_system_sgpr_workgroup_id_z 0
		.amdhsa_system_sgpr_workgroup_info 0
		.amdhsa_system_vgpr_workitem_id 0
		.amdhsa_next_free_vgpr 11
		.amdhsa_next_free_sgpr 14
		.amdhsa_reserve_vcc 1
		.amdhsa_reserve_flat_scratch 0
		.amdhsa_float_round_mode_32 0
		.amdhsa_float_round_mode_16_64 0
		.amdhsa_float_denorm_mode_32 3
		.amdhsa_float_denorm_mode_16_64 3
		.amdhsa_dx10_clamp 1
		.amdhsa_ieee_mode 1
		.amdhsa_fp16_overflow 0
		.amdhsa_exception_fp_ieee_invalid_op 0
		.amdhsa_exception_fp_denorm_src 0
		.amdhsa_exception_fp_ieee_div_zero 0
		.amdhsa_exception_fp_ieee_overflow 0
		.amdhsa_exception_fp_ieee_underflow 0
		.amdhsa_exception_fp_ieee_inexact 0
		.amdhsa_exception_int_div_zero 0
	.end_amdhsa_kernel
	.section	.text._ZL30rocblas_reduction_kernel_part2ILi512ELi2E25rocblas_finalize_identity19rocblas_complex_numIfES2_EviPT2_PT3_,"axG",@progbits,_ZL30rocblas_reduction_kernel_part2ILi512ELi2E25rocblas_finalize_identity19rocblas_complex_numIfES2_EviPT2_PT3_,comdat
.Lfunc_end42:
	.size	_ZL30rocblas_reduction_kernel_part2ILi512ELi2E25rocblas_finalize_identity19rocblas_complex_numIfES2_EviPT2_PT3_, .Lfunc_end42-_ZL30rocblas_reduction_kernel_part2ILi512ELi2E25rocblas_finalize_identity19rocblas_complex_numIfES2_EviPT2_PT3_
                                        ; -- End function
	.set _ZL30rocblas_reduction_kernel_part2ILi512ELi2E25rocblas_finalize_identity19rocblas_complex_numIfES2_EviPT2_PT3_.num_vgpr, 11
	.set _ZL30rocblas_reduction_kernel_part2ILi512ELi2E25rocblas_finalize_identity19rocblas_complex_numIfES2_EviPT2_PT3_.num_agpr, 0
	.set _ZL30rocblas_reduction_kernel_part2ILi512ELi2E25rocblas_finalize_identity19rocblas_complex_numIfES2_EviPT2_PT3_.numbered_sgpr, 14
	.set _ZL30rocblas_reduction_kernel_part2ILi512ELi2E25rocblas_finalize_identity19rocblas_complex_numIfES2_EviPT2_PT3_.num_named_barrier, 0
	.set _ZL30rocblas_reduction_kernel_part2ILi512ELi2E25rocblas_finalize_identity19rocblas_complex_numIfES2_EviPT2_PT3_.private_seg_size, 0
	.set _ZL30rocblas_reduction_kernel_part2ILi512ELi2E25rocblas_finalize_identity19rocblas_complex_numIfES2_EviPT2_PT3_.uses_vcc, 1
	.set _ZL30rocblas_reduction_kernel_part2ILi512ELi2E25rocblas_finalize_identity19rocblas_complex_numIfES2_EviPT2_PT3_.uses_flat_scratch, 0
	.set _ZL30rocblas_reduction_kernel_part2ILi512ELi2E25rocblas_finalize_identity19rocblas_complex_numIfES2_EviPT2_PT3_.has_dyn_sized_stack, 0
	.set _ZL30rocblas_reduction_kernel_part2ILi512ELi2E25rocblas_finalize_identity19rocblas_complex_numIfES2_EviPT2_PT3_.has_recursion, 0
	.set _ZL30rocblas_reduction_kernel_part2ILi512ELi2E25rocblas_finalize_identity19rocblas_complex_numIfES2_EviPT2_PT3_.has_indirect_call, 0
	.section	.AMDGPU.csdata,"",@progbits
; Kernel info:
; codeLenInByte = 928
; TotalNumSgprs: 18
; NumVgprs: 11
; ScratchSize: 0
; MemoryBound: 0
; FloatMode: 240
; IeeeMode: 1
; LDSByteSize: 512 bytes/workgroup (compile time only)
; SGPRBlocks: 2
; VGPRBlocks: 2
; NumSGPRsForWavesPerEU: 18
; NumVGPRsForWavesPerEU: 11
; Occupancy: 10
; WaveLimiterHint : 0
; COMPUTE_PGM_RSRC2:SCRATCH_EN: 0
; COMPUTE_PGM_RSRC2:USER_SGPR: 6
; COMPUTE_PGM_RSRC2:TRAP_HANDLER: 0
; COMPUTE_PGM_RSRC2:TGID_X_EN: 1
; COMPUTE_PGM_RSRC2:TGID_Y_EN: 0
; COMPUTE_PGM_RSRC2:TGID_Z_EN: 0
; COMPUTE_PGM_RSRC2:TIDIG_COMP_CNT: 0
	.section	.text._ZL28rocblas_dot_batched_4_kernelIiLi32ELi4ELb0E19rocblas_complex_numIdES1_PKS1_EviT5_lT_lS4_lS5_liPT4_,"axG",@progbits,_ZL28rocblas_dot_batched_4_kernelIiLi32ELi4ELb0E19rocblas_complex_numIdES1_PKS1_EviT5_lT_lS4_lS5_liPT4_,comdat
	.globl	_ZL28rocblas_dot_batched_4_kernelIiLi32ELi4ELb0E19rocblas_complex_numIdES1_PKS1_EviT5_lT_lS4_lS5_liPT4_ ; -- Begin function _ZL28rocblas_dot_batched_4_kernelIiLi32ELi4ELb0E19rocblas_complex_numIdES1_PKS1_EviT5_lT_lS4_lS5_liPT4_
	.p2align	8
	.type	_ZL28rocblas_dot_batched_4_kernelIiLi32ELi4ELb0E19rocblas_complex_numIdES1_PKS1_EviT5_lT_lS4_lS5_liPT4_,@function
_ZL28rocblas_dot_batched_4_kernelIiLi32ELi4ELb0E19rocblas_complex_numIdES1_PKS1_EviT5_lT_lS4_lS5_liPT4_: ; @_ZL28rocblas_dot_batched_4_kernelIiLi32ELi4ELb0E19rocblas_complex_numIdES1_PKS1_EviT5_lT_lS4_lS5_liPT4_
; %bb.0:
	s_load_dword s0, s[4:5], 0x48
	v_lshl_add_u32 v1, s6, 2, v1
	s_waitcnt lgkmcnt(0)
	v_cmp_gt_u32_e32 vcc, s0, v1
	s_and_saveexec_b64 s[0:1], vcc
	s_cbranch_execz .LBB43_7
; %bb.1:
	s_load_dword s12, s[4:5], 0x0
	s_load_dwordx2 s[6:7], s[4:5], 0x50
	v_mov_b32_e32 v3, 0
	v_mov_b32_e32 v5, 0
	;; [unrolled: 1-line block ×5, first 2 shown]
	s_waitcnt lgkmcnt(0)
	v_cmp_gt_i32_e32 vcc, s12, v0
	s_and_saveexec_b64 s[8:9], vcc
	s_cbranch_execz .LBB43_5
; %bb.2:
	s_load_dwordx2 s[10:11], s[4:5], 0x40
	s_load_dword s14, s[4:5], 0x38
	s_load_dwordx4 s[0:3], s[4:5], 0x8
	s_load_dword s20, s[4:5], 0x18
	s_waitcnt lgkmcnt(0)
	v_mad_u64_u32 v[3:4], s[16:17], s10, v1, 0
	s_load_dwordx4 s[16:19], s[4:5], 0x20
	s_load_dwordx2 s[22:23], s[4:5], 0x30
	v_mad_i64_i32 v[5:6], s[4:5], s14, v0, 0
	s_ashr_i32 s21, s20, 31
	s_ashr_i32 s15, s14, 31
	v_mad_u64_u32 v[7:8], s[4:5], s11, v1, v[4:5]
	v_lshlrev_b64 v[5:6], 4, v[5:6]
	s_waitcnt lgkmcnt(0)
	s_lshl_b64 s[4:5], s[22:23], 4
	v_mov_b32_e32 v4, v7
	v_lshlrev_b64 v[3:4], 4, v[3:4]
	s_add_u32 s10, s18, s4
	v_add_co_u32_e32 v5, vcc, v5, v3
	v_addc_co_u32_e32 v6, vcc, v6, v4, vcc
	s_addc_u32 s4, s19, s5
	v_mov_b32_e32 v7, s4
	v_add_co_u32_e32 v8, vcc, s10, v5
	v_mad_u64_u32 v[3:4], s[4:5], s16, v1, 0
	v_addc_co_u32_e32 v11, vcc, v7, v6, vcc
	v_mad_i64_i32 v[5:6], s[4:5], s20, v0, 0
	v_add_co_u32_e32 v7, vcc, 8, v8
	v_mad_u64_u32 v[9:10], s[4:5], s17, v1, v[4:5]
	v_lshlrev_b64 v[5:6], 4, v[5:6]
	v_addc_co_u32_e32 v8, vcc, 0, v11, vcc
	v_mov_b32_e32 v4, v9
	v_lshlrev_b64 v[3:4], 4, v[3:4]
	s_lshl_b64 s[4:5], s[14:15], 9
	s_lshl_b64 s[2:3], s[2:3], 4
	v_add_co_u32_e32 v3, vcc, v5, v3
	s_add_u32 s0, s0, s2
	v_addc_co_u32_e32 v4, vcc, v6, v4, vcc
	s_addc_u32 s1, s1, s3
	v_mov_b32_e32 v5, s1
	v_add_co_u32_e32 v3, vcc, s0, v3
	v_addc_co_u32_e32 v4, vcc, v5, v4, vcc
	v_add_co_u32_e32 v9, vcc, 8, v3
	v_addc_co_u32_e32 v10, vcc, 0, v4, vcc
	v_mov_b32_e32 v3, 0
	v_mov_b32_e32 v5, 0
	s_lshl_b64 s[2:3], s[20:21], 9
	v_mov_b32_e32 v4, 0
	s_mov_b64 s[10:11], 0
	v_mov_b32_e32 v6, 0
	v_mov_b32_e32 v11, v0
.LBB43_3:                               ; =>This Inner Loop Header: Depth=1
	global_load_dwordx4 v[12:15], v[9:10], off offset:-8
	global_load_dwordx4 v[16:19], v[7:8], off offset:-8
	v_add_co_u32_e64 v7, s[0:1], s4, v7
	v_add_u32_e32 v11, 32, v11
	v_add_co_u32_e32 v9, vcc, s2, v9
	s_waitcnt vmcnt(0)
	v_mul_f64 v[20:21], v[14:15], v[18:19]
	v_fma_f64 v[20:21], v[12:13], v[16:17], -v[20:21]
	v_mul_f64 v[12:13], v[12:13], v[18:19]
	v_add_f64 v[3:4], v[3:4], v[20:21]
	v_fma_f64 v[12:13], v[14:15], v[16:17], v[12:13]
	v_mov_b32_e32 v14, s5
	v_addc_co_u32_e64 v8, s[0:1], v8, v14, s[0:1]
	v_mov_b32_e32 v15, s3
	v_cmp_le_i32_e64 s[0:1], s12, v11
	s_or_b64 s[10:11], s[0:1], s[10:11]
	v_addc_co_u32_e32 v10, vcc, v10, v15, vcc
	v_add_f64 v[5:6], v[5:6], v[12:13]
	s_andn2_b64 exec, exec, s[10:11]
	s_cbranch_execnz .LBB43_3
; %bb.4:
	s_or_b64 exec, exec, s[10:11]
.LBB43_5:
	s_or_b64 exec, exec, s[8:9]
	v_mbcnt_lo_u32_b32 v7, -1, 0
	v_mbcnt_hi_u32_b32 v11, -1, v7
	v_and_b32_e32 v12, 63, v11
	v_cmp_gt_u32_e32 vcc, 48, v12
	v_cndmask_b32_e64 v7, 0, 16, vcc
	v_add_lshl_u32 v10, v7, v11, 2
	ds_bpermute_b32 v7, v10, v3
	ds_bpermute_b32 v8, v10, v4
	;; [unrolled: 1-line block ×4, first 2 shown]
	v_cmp_gt_u32_e32 vcc, 56, v12
	s_waitcnt lgkmcnt(0)
	v_add_f64 v[3:4], v[3:4], v[7:8]
	v_cndmask_b32_e64 v7, 0, 8, vcc
	v_add_f64 v[5:6], v[5:6], v[9:10]
	v_add_lshl_u32 v10, v7, v11, 2
	v_cmp_gt_u32_e32 vcc, 60, v12
	s_barrier
	ds_bpermute_b32 v7, v10, v3
	ds_bpermute_b32 v8, v10, v4
	;; [unrolled: 1-line block ×4, first 2 shown]
	s_waitcnt lgkmcnt(2)
	v_add_f64 v[3:4], v[3:4], v[7:8]
	v_cndmask_b32_e64 v7, 0, 4, vcc
	s_waitcnt lgkmcnt(0)
	v_add_f64 v[5:6], v[5:6], v[9:10]
	v_add_lshl_u32 v10, v7, v11, 2
	v_cmp_gt_u32_e32 vcc, 62, v12
	ds_bpermute_b32 v7, v10, v3
	ds_bpermute_b32 v8, v10, v4
	;; [unrolled: 1-line block ×4, first 2 shown]
	s_waitcnt lgkmcnt(2)
	v_add_f64 v[3:4], v[3:4], v[7:8]
	v_cndmask_b32_e64 v7, 0, 2, vcc
	s_waitcnt lgkmcnt(0)
	v_add_f64 v[5:6], v[5:6], v[9:10]
	v_add_lshl_u32 v10, v7, v11, 2
	v_cmp_ne_u32_e32 vcc, 63, v12
	ds_bpermute_b32 v7, v10, v3
	ds_bpermute_b32 v8, v10, v4
	ds_bpermute_b32 v9, v10, v5
	ds_bpermute_b32 v10, v10, v6
	s_waitcnt lgkmcnt(2)
	v_add_f64 v[3:4], v[3:4], v[7:8]
	v_addc_co_u32_e32 v7, vcc, 0, v11, vcc
	s_waitcnt lgkmcnt(0)
	v_add_f64 v[5:6], v[5:6], v[9:10]
	v_lshlrev_b32_e32 v10, 2, v7
	v_cmp_eq_u32_e32 vcc, 0, v0
	ds_bpermute_b32 v7, v10, v3
	ds_bpermute_b32 v8, v10, v4
	ds_bpermute_b32 v9, v10, v5
	ds_bpermute_b32 v10, v10, v6
	s_and_b64 exec, exec, vcc
	s_cbranch_execz .LBB43_7
; %bb.6:
	s_waitcnt lgkmcnt(0)
	v_add_f64 v[5:6], v[5:6], v[9:10]
	v_add_f64 v[3:4], v[3:4], v[7:8]
	v_lshlrev_b64 v[0:1], 4, v[1:2]
	v_mov_b32_e32 v2, s7
	v_add_co_u32_e32 v0, vcc, s6, v0
	v_addc_co_u32_e32 v1, vcc, v2, v1, vcc
	global_store_dwordx4 v[0:1], v[3:6], off
.LBB43_7:
	s_endpgm
	.section	.rodata,"a",@progbits
	.p2align	6, 0x0
	.amdhsa_kernel _ZL28rocblas_dot_batched_4_kernelIiLi32ELi4ELb0E19rocblas_complex_numIdES1_PKS1_EviT5_lT_lS4_lS5_liPT4_
		.amdhsa_group_segment_fixed_size 0
		.amdhsa_private_segment_fixed_size 0
		.amdhsa_kernarg_size 88
		.amdhsa_user_sgpr_count 6
		.amdhsa_user_sgpr_private_segment_buffer 1
		.amdhsa_user_sgpr_dispatch_ptr 0
		.amdhsa_user_sgpr_queue_ptr 0
		.amdhsa_user_sgpr_kernarg_segment_ptr 1
		.amdhsa_user_sgpr_dispatch_id 0
		.amdhsa_user_sgpr_flat_scratch_init 0
		.amdhsa_user_sgpr_private_segment_size 0
		.amdhsa_uses_dynamic_stack 0
		.amdhsa_system_sgpr_private_segment_wavefront_offset 0
		.amdhsa_system_sgpr_workgroup_id_x 1
		.amdhsa_system_sgpr_workgroup_id_y 0
		.amdhsa_system_sgpr_workgroup_id_z 0
		.amdhsa_system_sgpr_workgroup_info 0
		.amdhsa_system_vgpr_workitem_id 1
		.amdhsa_next_free_vgpr 22
		.amdhsa_next_free_sgpr 24
		.amdhsa_reserve_vcc 1
		.amdhsa_reserve_flat_scratch 0
		.amdhsa_float_round_mode_32 0
		.amdhsa_float_round_mode_16_64 0
		.amdhsa_float_denorm_mode_32 3
		.amdhsa_float_denorm_mode_16_64 3
		.amdhsa_dx10_clamp 1
		.amdhsa_ieee_mode 1
		.amdhsa_fp16_overflow 0
		.amdhsa_exception_fp_ieee_invalid_op 0
		.amdhsa_exception_fp_denorm_src 0
		.amdhsa_exception_fp_ieee_div_zero 0
		.amdhsa_exception_fp_ieee_overflow 0
		.amdhsa_exception_fp_ieee_underflow 0
		.amdhsa_exception_fp_ieee_inexact 0
		.amdhsa_exception_int_div_zero 0
	.end_amdhsa_kernel
	.section	.text._ZL28rocblas_dot_batched_4_kernelIiLi32ELi4ELb0E19rocblas_complex_numIdES1_PKS1_EviT5_lT_lS4_lS5_liPT4_,"axG",@progbits,_ZL28rocblas_dot_batched_4_kernelIiLi32ELi4ELb0E19rocblas_complex_numIdES1_PKS1_EviT5_lT_lS4_lS5_liPT4_,comdat
.Lfunc_end43:
	.size	_ZL28rocblas_dot_batched_4_kernelIiLi32ELi4ELb0E19rocblas_complex_numIdES1_PKS1_EviT5_lT_lS4_lS5_liPT4_, .Lfunc_end43-_ZL28rocblas_dot_batched_4_kernelIiLi32ELi4ELb0E19rocblas_complex_numIdES1_PKS1_EviT5_lT_lS4_lS5_liPT4_
                                        ; -- End function
	.set _ZL28rocblas_dot_batched_4_kernelIiLi32ELi4ELb0E19rocblas_complex_numIdES1_PKS1_EviT5_lT_lS4_lS5_liPT4_.num_vgpr, 22
	.set _ZL28rocblas_dot_batched_4_kernelIiLi32ELi4ELb0E19rocblas_complex_numIdES1_PKS1_EviT5_lT_lS4_lS5_liPT4_.num_agpr, 0
	.set _ZL28rocblas_dot_batched_4_kernelIiLi32ELi4ELb0E19rocblas_complex_numIdES1_PKS1_EviT5_lT_lS4_lS5_liPT4_.numbered_sgpr, 24
	.set _ZL28rocblas_dot_batched_4_kernelIiLi32ELi4ELb0E19rocblas_complex_numIdES1_PKS1_EviT5_lT_lS4_lS5_liPT4_.num_named_barrier, 0
	.set _ZL28rocblas_dot_batched_4_kernelIiLi32ELi4ELb0E19rocblas_complex_numIdES1_PKS1_EviT5_lT_lS4_lS5_liPT4_.private_seg_size, 0
	.set _ZL28rocblas_dot_batched_4_kernelIiLi32ELi4ELb0E19rocblas_complex_numIdES1_PKS1_EviT5_lT_lS4_lS5_liPT4_.uses_vcc, 1
	.set _ZL28rocblas_dot_batched_4_kernelIiLi32ELi4ELb0E19rocblas_complex_numIdES1_PKS1_EviT5_lT_lS4_lS5_liPT4_.uses_flat_scratch, 0
	.set _ZL28rocblas_dot_batched_4_kernelIiLi32ELi4ELb0E19rocblas_complex_numIdES1_PKS1_EviT5_lT_lS4_lS5_liPT4_.has_dyn_sized_stack, 0
	.set _ZL28rocblas_dot_batched_4_kernelIiLi32ELi4ELb0E19rocblas_complex_numIdES1_PKS1_EviT5_lT_lS4_lS5_liPT4_.has_recursion, 0
	.set _ZL28rocblas_dot_batched_4_kernelIiLi32ELi4ELb0E19rocblas_complex_numIdES1_PKS1_EviT5_lT_lS4_lS5_liPT4_.has_indirect_call, 0
	.section	.AMDGPU.csdata,"",@progbits
; Kernel info:
; codeLenInByte = 912
; TotalNumSgprs: 28
; NumVgprs: 22
; ScratchSize: 0
; MemoryBound: 0
; FloatMode: 240
; IeeeMode: 1
; LDSByteSize: 0 bytes/workgroup (compile time only)
; SGPRBlocks: 3
; VGPRBlocks: 5
; NumSGPRsForWavesPerEU: 28
; NumVGPRsForWavesPerEU: 22
; Occupancy: 10
; WaveLimiterHint : 0
; COMPUTE_PGM_RSRC2:SCRATCH_EN: 0
; COMPUTE_PGM_RSRC2:USER_SGPR: 6
; COMPUTE_PGM_RSRC2:TRAP_HANDLER: 0
; COMPUTE_PGM_RSRC2:TGID_X_EN: 1
; COMPUTE_PGM_RSRC2:TGID_Y_EN: 0
; COMPUTE_PGM_RSRC2:TGID_Z_EN: 0
; COMPUTE_PGM_RSRC2:TIDIG_COMP_CNT: 1
	.section	.text._ZL28rocblas_dot_batched_4_kernelIiLi64ELi4ELb0E19rocblas_complex_numIdES1_PKS1_EviT5_lT_lS4_lS5_liPT4_,"axG",@progbits,_ZL28rocblas_dot_batched_4_kernelIiLi64ELi4ELb0E19rocblas_complex_numIdES1_PKS1_EviT5_lT_lS4_lS5_liPT4_,comdat
	.globl	_ZL28rocblas_dot_batched_4_kernelIiLi64ELi4ELb0E19rocblas_complex_numIdES1_PKS1_EviT5_lT_lS4_lS5_liPT4_ ; -- Begin function _ZL28rocblas_dot_batched_4_kernelIiLi64ELi4ELb0E19rocblas_complex_numIdES1_PKS1_EviT5_lT_lS4_lS5_liPT4_
	.p2align	8
	.type	_ZL28rocblas_dot_batched_4_kernelIiLi64ELi4ELb0E19rocblas_complex_numIdES1_PKS1_EviT5_lT_lS4_lS5_liPT4_,@function
_ZL28rocblas_dot_batched_4_kernelIiLi64ELi4ELb0E19rocblas_complex_numIdES1_PKS1_EviT5_lT_lS4_lS5_liPT4_: ; @_ZL28rocblas_dot_batched_4_kernelIiLi64ELi4ELb0E19rocblas_complex_numIdES1_PKS1_EviT5_lT_lS4_lS5_liPT4_
; %bb.0:
	s_load_dword s0, s[4:5], 0x48
	v_lshl_add_u32 v1, s6, 2, v1
	s_waitcnt lgkmcnt(0)
	v_cmp_gt_u32_e32 vcc, s0, v1
	s_and_saveexec_b64 s[0:1], vcc
	s_cbranch_execz .LBB44_7
; %bb.1:
	s_load_dword s12, s[4:5], 0x0
	s_load_dwordx2 s[6:7], s[4:5], 0x50
	v_mov_b32_e32 v3, 0
	v_mov_b32_e32 v5, 0
	;; [unrolled: 1-line block ×5, first 2 shown]
	s_waitcnt lgkmcnt(0)
	v_cmp_gt_i32_e32 vcc, s12, v0
	s_and_saveexec_b64 s[8:9], vcc
	s_cbranch_execz .LBB44_5
; %bb.2:
	s_load_dwordx2 s[10:11], s[4:5], 0x40
	s_load_dword s14, s[4:5], 0x38
	s_load_dwordx4 s[0:3], s[4:5], 0x8
	s_load_dword s20, s[4:5], 0x18
	s_waitcnt lgkmcnt(0)
	v_mad_u64_u32 v[3:4], s[16:17], s10, v1, 0
	s_load_dwordx4 s[16:19], s[4:5], 0x20
	s_load_dwordx2 s[22:23], s[4:5], 0x30
	v_mad_i64_i32 v[5:6], s[4:5], s14, v0, 0
	s_ashr_i32 s21, s20, 31
	s_ashr_i32 s15, s14, 31
	v_mad_u64_u32 v[7:8], s[4:5], s11, v1, v[4:5]
	v_lshlrev_b64 v[5:6], 4, v[5:6]
	s_waitcnt lgkmcnt(0)
	s_lshl_b64 s[4:5], s[22:23], 4
	v_mov_b32_e32 v4, v7
	v_lshlrev_b64 v[3:4], 4, v[3:4]
	s_add_u32 s10, s18, s4
	v_add_co_u32_e32 v5, vcc, v5, v3
	v_addc_co_u32_e32 v6, vcc, v6, v4, vcc
	s_addc_u32 s4, s19, s5
	v_mov_b32_e32 v7, s4
	v_add_co_u32_e32 v8, vcc, s10, v5
	v_mad_u64_u32 v[3:4], s[4:5], s16, v1, 0
	v_addc_co_u32_e32 v11, vcc, v7, v6, vcc
	v_mad_i64_i32 v[5:6], s[4:5], s20, v0, 0
	v_add_co_u32_e32 v7, vcc, 8, v8
	v_mad_u64_u32 v[9:10], s[4:5], s17, v1, v[4:5]
	v_lshlrev_b64 v[5:6], 4, v[5:6]
	v_addc_co_u32_e32 v8, vcc, 0, v11, vcc
	v_mov_b32_e32 v4, v9
	v_lshlrev_b64 v[3:4], 4, v[3:4]
	s_lshl_b64 s[4:5], s[14:15], 10
	s_lshl_b64 s[2:3], s[2:3], 4
	v_add_co_u32_e32 v3, vcc, v5, v3
	s_add_u32 s0, s0, s2
	v_addc_co_u32_e32 v4, vcc, v6, v4, vcc
	s_addc_u32 s1, s1, s3
	v_mov_b32_e32 v5, s1
	v_add_co_u32_e32 v3, vcc, s0, v3
	v_addc_co_u32_e32 v4, vcc, v5, v4, vcc
	v_add_co_u32_e32 v9, vcc, 8, v3
	v_addc_co_u32_e32 v10, vcc, 0, v4, vcc
	v_mov_b32_e32 v3, 0
	v_mov_b32_e32 v5, 0
	s_lshl_b64 s[2:3], s[20:21], 10
	v_mov_b32_e32 v4, 0
	s_mov_b64 s[10:11], 0
	v_mov_b32_e32 v6, 0
	v_mov_b32_e32 v11, v0
.LBB44_3:                               ; =>This Inner Loop Header: Depth=1
	global_load_dwordx4 v[12:15], v[9:10], off offset:-8
	global_load_dwordx4 v[16:19], v[7:8], off offset:-8
	v_add_co_u32_e64 v7, s[0:1], s4, v7
	v_add_u32_e32 v11, 64, v11
	v_add_co_u32_e32 v9, vcc, s2, v9
	s_waitcnt vmcnt(0)
	v_mul_f64 v[20:21], v[14:15], v[18:19]
	v_fma_f64 v[20:21], v[12:13], v[16:17], -v[20:21]
	v_mul_f64 v[12:13], v[12:13], v[18:19]
	v_add_f64 v[3:4], v[3:4], v[20:21]
	v_fma_f64 v[12:13], v[14:15], v[16:17], v[12:13]
	v_mov_b32_e32 v14, s5
	v_addc_co_u32_e64 v8, s[0:1], v8, v14, s[0:1]
	v_mov_b32_e32 v15, s3
	v_cmp_le_i32_e64 s[0:1], s12, v11
	s_or_b64 s[10:11], s[0:1], s[10:11]
	v_addc_co_u32_e32 v10, vcc, v10, v15, vcc
	v_add_f64 v[5:6], v[5:6], v[12:13]
	s_andn2_b64 exec, exec, s[10:11]
	s_cbranch_execnz .LBB44_3
; %bb.4:
	s_or_b64 exec, exec, s[10:11]
.LBB44_5:
	s_or_b64 exec, exec, s[8:9]
	v_mbcnt_lo_u32_b32 v7, -1, 0
	v_mbcnt_hi_u32_b32 v11, -1, v7
	v_mov_b32_e32 v7, 0x80
	v_lshl_or_b32 v10, v11, 2, v7
	ds_bpermute_b32 v7, v10, v3
	ds_bpermute_b32 v8, v10, v4
	ds_bpermute_b32 v9, v10, v5
	ds_bpermute_b32 v10, v10, v6
	v_and_b32_e32 v12, 63, v11
	v_cmp_gt_u32_e32 vcc, 48, v12
	s_waitcnt lgkmcnt(2)
	v_add_f64 v[3:4], v[3:4], v[7:8]
	v_cndmask_b32_e64 v7, 0, 16, vcc
	s_waitcnt lgkmcnt(0)
	v_add_f64 v[5:6], v[5:6], v[9:10]
	v_add_lshl_u32 v10, v7, v11, 2
	v_cmp_gt_u32_e32 vcc, 56, v12
	s_barrier
	ds_bpermute_b32 v7, v10, v3
	ds_bpermute_b32 v8, v10, v4
	;; [unrolled: 1-line block ×4, first 2 shown]
	s_waitcnt lgkmcnt(2)
	v_add_f64 v[3:4], v[3:4], v[7:8]
	v_cndmask_b32_e64 v7, 0, 8, vcc
	s_waitcnt lgkmcnt(0)
	v_add_f64 v[5:6], v[5:6], v[9:10]
	v_add_lshl_u32 v10, v7, v11, 2
	v_cmp_gt_u32_e32 vcc, 60, v12
	ds_bpermute_b32 v7, v10, v3
	ds_bpermute_b32 v8, v10, v4
	;; [unrolled: 1-line block ×4, first 2 shown]
	s_waitcnt lgkmcnt(2)
	v_add_f64 v[3:4], v[3:4], v[7:8]
	v_cndmask_b32_e64 v7, 0, 4, vcc
	s_waitcnt lgkmcnt(0)
	v_add_f64 v[5:6], v[5:6], v[9:10]
	v_add_lshl_u32 v10, v7, v11, 2
	v_cmp_gt_u32_e32 vcc, 62, v12
	ds_bpermute_b32 v7, v10, v3
	ds_bpermute_b32 v8, v10, v4
	;; [unrolled: 1-line block ×4, first 2 shown]
	s_waitcnt lgkmcnt(2)
	v_add_f64 v[3:4], v[3:4], v[7:8]
	v_cndmask_b32_e64 v7, 0, 2, vcc
	s_waitcnt lgkmcnt(0)
	v_add_f64 v[5:6], v[5:6], v[9:10]
	v_add_lshl_u32 v10, v7, v11, 2
	v_cmp_ne_u32_e32 vcc, 63, v12
	ds_bpermute_b32 v7, v10, v3
	ds_bpermute_b32 v8, v10, v4
	;; [unrolled: 1-line block ×4, first 2 shown]
	s_waitcnt lgkmcnt(2)
	v_add_f64 v[3:4], v[3:4], v[7:8]
	v_addc_co_u32_e32 v7, vcc, 0, v11, vcc
	s_waitcnt lgkmcnt(0)
	v_add_f64 v[5:6], v[5:6], v[9:10]
	v_lshlrev_b32_e32 v10, 2, v7
	v_cmp_eq_u32_e32 vcc, 0, v0
	ds_bpermute_b32 v7, v10, v3
	ds_bpermute_b32 v8, v10, v4
	;; [unrolled: 1-line block ×4, first 2 shown]
	s_and_b64 exec, exec, vcc
	s_cbranch_execz .LBB44_7
; %bb.6:
	s_waitcnt lgkmcnt(0)
	v_add_f64 v[5:6], v[5:6], v[9:10]
	v_add_f64 v[3:4], v[3:4], v[7:8]
	v_lshlrev_b64 v[0:1], 4, v[1:2]
	v_mov_b32_e32 v2, s7
	v_add_co_u32_e32 v0, vcc, s6, v0
	v_addc_co_u32_e32 v1, vcc, v2, v1, vcc
	global_store_dwordx4 v[0:1], v[3:6], off
.LBB44_7:
	s_endpgm
	.section	.rodata,"a",@progbits
	.p2align	6, 0x0
	.amdhsa_kernel _ZL28rocblas_dot_batched_4_kernelIiLi64ELi4ELb0E19rocblas_complex_numIdES1_PKS1_EviT5_lT_lS4_lS5_liPT4_
		.amdhsa_group_segment_fixed_size 0
		.amdhsa_private_segment_fixed_size 0
		.amdhsa_kernarg_size 88
		.amdhsa_user_sgpr_count 6
		.amdhsa_user_sgpr_private_segment_buffer 1
		.amdhsa_user_sgpr_dispatch_ptr 0
		.amdhsa_user_sgpr_queue_ptr 0
		.amdhsa_user_sgpr_kernarg_segment_ptr 1
		.amdhsa_user_sgpr_dispatch_id 0
		.amdhsa_user_sgpr_flat_scratch_init 0
		.amdhsa_user_sgpr_private_segment_size 0
		.amdhsa_uses_dynamic_stack 0
		.amdhsa_system_sgpr_private_segment_wavefront_offset 0
		.amdhsa_system_sgpr_workgroup_id_x 1
		.amdhsa_system_sgpr_workgroup_id_y 0
		.amdhsa_system_sgpr_workgroup_id_z 0
		.amdhsa_system_sgpr_workgroup_info 0
		.amdhsa_system_vgpr_workitem_id 1
		.amdhsa_next_free_vgpr 22
		.amdhsa_next_free_sgpr 24
		.amdhsa_reserve_vcc 1
		.amdhsa_reserve_flat_scratch 0
		.amdhsa_float_round_mode_32 0
		.amdhsa_float_round_mode_16_64 0
		.amdhsa_float_denorm_mode_32 3
		.amdhsa_float_denorm_mode_16_64 3
		.amdhsa_dx10_clamp 1
		.amdhsa_ieee_mode 1
		.amdhsa_fp16_overflow 0
		.amdhsa_exception_fp_ieee_invalid_op 0
		.amdhsa_exception_fp_denorm_src 0
		.amdhsa_exception_fp_ieee_div_zero 0
		.amdhsa_exception_fp_ieee_overflow 0
		.amdhsa_exception_fp_ieee_underflow 0
		.amdhsa_exception_fp_ieee_inexact 0
		.amdhsa_exception_int_div_zero 0
	.end_amdhsa_kernel
	.section	.text._ZL28rocblas_dot_batched_4_kernelIiLi64ELi4ELb0E19rocblas_complex_numIdES1_PKS1_EviT5_lT_lS4_lS5_liPT4_,"axG",@progbits,_ZL28rocblas_dot_batched_4_kernelIiLi64ELi4ELb0E19rocblas_complex_numIdES1_PKS1_EviT5_lT_lS4_lS5_liPT4_,comdat
.Lfunc_end44:
	.size	_ZL28rocblas_dot_batched_4_kernelIiLi64ELi4ELb0E19rocblas_complex_numIdES1_PKS1_EviT5_lT_lS4_lS5_liPT4_, .Lfunc_end44-_ZL28rocblas_dot_batched_4_kernelIiLi64ELi4ELb0E19rocblas_complex_numIdES1_PKS1_EviT5_lT_lS4_lS5_liPT4_
                                        ; -- End function
	.set _ZL28rocblas_dot_batched_4_kernelIiLi64ELi4ELb0E19rocblas_complex_numIdES1_PKS1_EviT5_lT_lS4_lS5_liPT4_.num_vgpr, 22
	.set _ZL28rocblas_dot_batched_4_kernelIiLi64ELi4ELb0E19rocblas_complex_numIdES1_PKS1_EviT5_lT_lS4_lS5_liPT4_.num_agpr, 0
	.set _ZL28rocblas_dot_batched_4_kernelIiLi64ELi4ELb0E19rocblas_complex_numIdES1_PKS1_EviT5_lT_lS4_lS5_liPT4_.numbered_sgpr, 24
	.set _ZL28rocblas_dot_batched_4_kernelIiLi64ELi4ELb0E19rocblas_complex_numIdES1_PKS1_EviT5_lT_lS4_lS5_liPT4_.num_named_barrier, 0
	.set _ZL28rocblas_dot_batched_4_kernelIiLi64ELi4ELb0E19rocblas_complex_numIdES1_PKS1_EviT5_lT_lS4_lS5_liPT4_.private_seg_size, 0
	.set _ZL28rocblas_dot_batched_4_kernelIiLi64ELi4ELb0E19rocblas_complex_numIdES1_PKS1_EviT5_lT_lS4_lS5_liPT4_.uses_vcc, 1
	.set _ZL28rocblas_dot_batched_4_kernelIiLi64ELi4ELb0E19rocblas_complex_numIdES1_PKS1_EviT5_lT_lS4_lS5_liPT4_.uses_flat_scratch, 0
	.set _ZL28rocblas_dot_batched_4_kernelIiLi64ELi4ELb0E19rocblas_complex_numIdES1_PKS1_EviT5_lT_lS4_lS5_liPT4_.has_dyn_sized_stack, 0
	.set _ZL28rocblas_dot_batched_4_kernelIiLi64ELi4ELb0E19rocblas_complex_numIdES1_PKS1_EviT5_lT_lS4_lS5_liPT4_.has_recursion, 0
	.set _ZL28rocblas_dot_batched_4_kernelIiLi64ELi4ELb0E19rocblas_complex_numIdES1_PKS1_EviT5_lT_lS4_lS5_liPT4_.has_indirect_call, 0
	.section	.AMDGPU.csdata,"",@progbits
; Kernel info:
; codeLenInByte = 988
; TotalNumSgprs: 28
; NumVgprs: 22
; ScratchSize: 0
; MemoryBound: 0
; FloatMode: 240
; IeeeMode: 1
; LDSByteSize: 0 bytes/workgroup (compile time only)
; SGPRBlocks: 3
; VGPRBlocks: 5
; NumSGPRsForWavesPerEU: 28
; NumVGPRsForWavesPerEU: 22
; Occupancy: 10
; WaveLimiterHint : 0
; COMPUTE_PGM_RSRC2:SCRATCH_EN: 0
; COMPUTE_PGM_RSRC2:USER_SGPR: 6
; COMPUTE_PGM_RSRC2:TRAP_HANDLER: 0
; COMPUTE_PGM_RSRC2:TGID_X_EN: 1
; COMPUTE_PGM_RSRC2:TGID_Y_EN: 0
; COMPUTE_PGM_RSRC2:TGID_Z_EN: 0
; COMPUTE_PGM_RSRC2:TIDIG_COMP_CNT: 1
	.section	.text._ZL26rocblas_dot_kernel_inc1by2ILb1ELi1024ELi32ELb0E19rocblas_complex_numIdEPKS1_S1_EviT4_llS4_lliPT5_PT3_,"axG",@progbits,_ZL26rocblas_dot_kernel_inc1by2ILb1ELi1024ELi32ELb0E19rocblas_complex_numIdEPKS1_S1_EviT4_llS4_lliPT5_PT3_,comdat
	.globl	_ZL26rocblas_dot_kernel_inc1by2ILb1ELi1024ELi32ELb0E19rocblas_complex_numIdEPKS1_S1_EviT4_llS4_lliPT5_PT3_ ; -- Begin function _ZL26rocblas_dot_kernel_inc1by2ILb1ELi1024ELi32ELb0E19rocblas_complex_numIdEPKS1_S1_EviT4_llS4_lliPT5_PT3_
	.p2align	8
	.type	_ZL26rocblas_dot_kernel_inc1by2ILb1ELi1024ELi32ELb0E19rocblas_complex_numIdEPKS1_S1_EviT4_llS4_lliPT5_PT3_,@function
_ZL26rocblas_dot_kernel_inc1by2ILb1ELi1024ELi32ELb0E19rocblas_complex_numIdEPKS1_S1_EviT4_llS4_lliPT5_PT3_: ; @_ZL26rocblas_dot_kernel_inc1by2ILb1ELi1024ELi32ELb0E19rocblas_complex_numIdEPKS1_S1_EviT4_llS4_lliPT5_PT3_
; %bb.0:
	s_mov_b32 s2, s7
	s_load_dword s10, s[4:5], 0x0
	s_load_dwordx2 s[6:7], s[4:5], 0x48
	v_mov_b32_e32 v1, 0
	v_mov_b32_e32 v3, 0
	s_mov_b32 s3, 0
	v_mov_b32_e32 v2, 0
	v_mov_b32_e32 v4, 0
	s_waitcnt lgkmcnt(0)
	v_cmp_gt_i32_e32 vcc, s10, v0
	s_and_saveexec_b64 s[8:9], vcc
	s_cbranch_execz .LBB45_4
; %bb.1:
	s_load_dwordx4 s[12:15], s[4:5], 0x28
	s_load_dwordx2 s[0:1], s[4:5], 0x20
	s_load_dwordx2 s[20:21], s[4:5], 0x8
	s_load_dwordx4 s[16:19], s[4:5], 0x10
	v_lshlrev_b32_e32 v1, 4, v0
	s_waitcnt lgkmcnt(0)
	s_mul_i32 s4, s15, s2
	s_mul_hi_u32 s5, s14, s2
	s_add_i32 s5, s5, s4
	s_mul_i32 s4, s14, s2
	s_lshl_b64 s[4:5], s[4:5], 4
	s_lshl_b64 s[12:13], s[12:13], 4
	s_add_u32 s4, s4, s12
	s_addc_u32 s5, s5, s13
	s_add_u32 s0, s0, s4
	s_addc_u32 s1, s1, s5
	v_mov_b32_e32 v2, s1
	v_add_co_u32_e32 v3, vcc, s0, v1
	s_mul_i32 s0, s19, s2
	s_mul_hi_u32 s1, s18, s2
	s_add_i32 s1, s1, s0
	s_mul_i32 s0, s18, s2
	s_lshl_b64 s[0:1], s[0:1], 4
	s_lshl_b64 s[4:5], s[16:17], 4
	s_add_u32 s0, s0, s4
	v_addc_co_u32_e32 v2, vcc, 0, v2, vcc
	s_addc_u32 s1, s1, s5
	v_add_co_u32_e32 v5, vcc, 8, v3
	s_add_u32 s0, s20, s0
	v_addc_co_u32_e32 v6, vcc, 0, v2, vcc
	s_addc_u32 s1, s21, s1
	v_mov_b32_e32 v2, s1
	v_add_co_u32_e32 v1, vcc, s0, v1
	v_addc_co_u32_e32 v2, vcc, 0, v2, vcc
	v_add_co_u32_e32 v7, vcc, 8, v1
	v_addc_co_u32_e32 v8, vcc, 0, v2, vcc
	v_mov_b32_e32 v1, 0
	v_mov_b32_e32 v3, 0
	v_or_b32_e32 v9, 0x400, v0
	v_mov_b32_e32 v2, 0
	s_mov_b64 s[4:5], 0
	v_mov_b32_e32 v4, 0
	s_mov_b32 s11, s3
.LBB45_2:                               ; =>This Inner Loop Header: Depth=1
	global_load_dwordx4 v[10:13], v[5:6], off offset:-8
	global_load_dwordx4 v[14:17], v[7:8], off offset:-8
	s_add_i32 s12, s11, 1
	s_cmp_gt_u32 s11, 30
	v_cmp_le_i32_e64 s[0:1], s10, v9
	v_add_co_u32_e32 v5, vcc, 0x4000, v5
	s_mov_b32 s11, s12
	s_cselect_b64 s[12:13], -1, 0
	v_addc_co_u32_e32 v6, vcc, 0, v6, vcc
	s_or_b64 s[0:1], s[12:13], s[0:1]
	v_add_co_u32_e32 v7, vcc, 0x4000, v7
	s_and_b64 s[0:1], exec, s[0:1]
	v_add_u32_e32 v9, 0x400, v9
	s_or_b64 s[4:5], s[0:1], s[4:5]
	v_addc_co_u32_e32 v8, vcc, 0, v8, vcc
	s_waitcnt vmcnt(0)
	v_mul_f64 v[18:19], v[12:13], v[16:17]
	v_fma_f64 v[18:19], v[10:11], v[14:15], -v[18:19]
	v_mul_f64 v[10:11], v[10:11], v[16:17]
	v_add_f64 v[3:4], v[3:4], v[18:19]
	v_fma_f64 v[10:11], v[12:13], v[14:15], v[10:11]
	v_add_f64 v[1:2], v[1:2], v[10:11]
	s_andn2_b64 exec, exec, s[4:5]
	s_cbranch_execnz .LBB45_2
; %bb.3:
	s_or_b64 exec, exec, s[4:5]
.LBB45_4:
	s_or_b64 exec, exec, s[8:9]
	v_and_b32_e32 v14, 63, v0
	v_cmp_gt_u32_e32 vcc, 64, v0
	v_lshlrev_b32_e32 v9, 4, v14
	s_and_saveexec_b64 s[0:1], vcc
; %bb.5:
	v_mov_b32_e32 v5, 0
	v_mov_b32_e32 v6, v5
	v_mov_b32_e32 v7, v5
	v_mov_b32_e32 v8, v5
	ds_write_b128 v9, v[5:8]
; %bb.6:
	s_or_b64 exec, exec, s[0:1]
	v_mbcnt_lo_u32_b32 v5, -1, 0
	v_mbcnt_hi_u32_b32 v13, -1, v5
	v_mov_b32_e32 v5, 0x80
	v_lshl_or_b32 v8, v13, 2, v5
	ds_bpermute_b32 v5, v8, v3
	ds_bpermute_b32 v6, v8, v4
	ds_bpermute_b32 v7, v8, v1
	ds_bpermute_b32 v8, v8, v2
	v_and_b32_e32 v15, 63, v13
	v_cmp_gt_u32_e64 s[0:1], 48, v15
	s_waitcnt lgkmcnt(2)
	v_add_f64 v[3:4], v[3:4], v[5:6]
	v_cndmask_b32_e64 v5, 0, 16, s[0:1]
	s_waitcnt lgkmcnt(0)
	v_add_f64 v[1:2], v[1:2], v[7:8]
	v_add_lshl_u32 v8, v5, v13, 2
	v_cmp_gt_u32_e64 s[0:1], 56, v15
	s_barrier
	ds_bpermute_b32 v5, v8, v3
	ds_bpermute_b32 v6, v8, v4
	;; [unrolled: 1-line block ×4, first 2 shown]
	s_waitcnt lgkmcnt(2)
	v_add_f64 v[3:4], v[3:4], v[5:6]
	v_cndmask_b32_e64 v5, 0, 8, s[0:1]
	s_waitcnt lgkmcnt(0)
	v_add_f64 v[1:2], v[1:2], v[7:8]
	v_add_lshl_u32 v10, v5, v13, 2
	v_cmp_gt_u32_e64 s[0:1], 60, v15
	ds_bpermute_b32 v5, v10, v3
	ds_bpermute_b32 v6, v10, v4
	;; [unrolled: 1-line block ×4, first 2 shown]
	s_waitcnt lgkmcnt(2)
	v_add_f64 v[3:4], v[3:4], v[5:6]
	v_cndmask_b32_e64 v5, 0, 4, s[0:1]
	s_waitcnt lgkmcnt(0)
	v_add_f64 v[1:2], v[1:2], v[7:8]
	v_add_lshl_u32 v11, v5, v13, 2
	v_cmp_gt_u32_e64 s[0:1], 62, v15
	ds_bpermute_b32 v5, v11, v3
	ds_bpermute_b32 v6, v11, v4
	;; [unrolled: 1-line block ×4, first 2 shown]
	s_waitcnt lgkmcnt(2)
	v_add_f64 v[3:4], v[3:4], v[5:6]
	s_waitcnt lgkmcnt(0)
	v_add_f64 v[5:6], v[1:2], v[7:8]
	v_cndmask_b32_e64 v1, 0, 2, s[0:1]
	v_add_lshl_u32 v12, v1, v13, 2
	v_cmp_ne_u32_e64 s[0:1], 63, v15
	ds_bpermute_b32 v1, v12, v3
	ds_bpermute_b32 v2, v12, v4
	;; [unrolled: 1-line block ×4, first 2 shown]
	s_waitcnt lgkmcnt(2)
	v_add_f64 v[1:2], v[3:4], v[1:2]
	s_waitcnt lgkmcnt(0)
	v_add_f64 v[3:4], v[5:6], v[7:8]
	v_addc_co_u32_e64 v5, s[0:1], 0, v13, s[0:1]
	v_lshlrev_b32_e32 v13, 2, v5
	v_cmp_eq_u32_e64 s[0:1], 0, v14
	ds_bpermute_b32 v5, v13, v1
	ds_bpermute_b32 v6, v13, v2
	;; [unrolled: 1-line block ×4, first 2 shown]
	s_and_saveexec_b64 s[4:5], s[0:1]
	s_cbranch_execz .LBB45_8
; %bb.7:
	s_waitcnt lgkmcnt(0)
	v_add_f64 v[3:4], v[3:4], v[7:8]
	v_add_f64 v[1:2], v[1:2], v[5:6]
	v_lshrrev_b32_e32 v5, 2, v0
	v_and_b32_e32 v5, 0xf0, v5
	ds_write_b128 v5, v[1:4]
.LBB45_8:
	s_or_b64 exec, exec, s[4:5]
	v_mov_b32_e32 v3, 0
	v_mov_b32_e32 v1, 0
	;; [unrolled: 1-line block ×4, first 2 shown]
	v_cmp_gt_u32_e64 s[0:1], 16, v0
	s_waitcnt lgkmcnt(0)
	s_barrier
	s_and_saveexec_b64 s[4:5], s[0:1]
	s_cbranch_execnz .LBB45_12
; %bb.9:
	s_or_b64 exec, exec, s[4:5]
	s_and_saveexec_b64 s[0:1], vcc
	s_cbranch_execnz .LBB45_13
.LBB45_10:
	s_or_b64 exec, exec, s[0:1]
	v_cmp_eq_u32_e32 vcc, 0, v0
	s_and_saveexec_b64 s[0:1], vcc
	s_cbranch_execnz .LBB45_14
.LBB45_11:
	s_endpgm
.LBB45_12:
	ds_read_b128 v[1:4], v9
	s_or_b64 exec, exec, s[4:5]
	s_and_saveexec_b64 s[0:1], vcc
	s_cbranch_execz .LBB45_10
.LBB45_13:
	s_waitcnt lgkmcnt(0)
	ds_bpermute_b32 v5, v10, v1
	ds_bpermute_b32 v6, v10, v2
	ds_bpermute_b32 v7, v10, v3
	ds_bpermute_b32 v8, v10, v4
	s_waitcnt lgkmcnt(2)
	v_add_f64 v[1:2], v[1:2], v[5:6]
	s_waitcnt lgkmcnt(0)
	v_add_f64 v[3:4], v[3:4], v[7:8]
	ds_bpermute_b32 v5, v11, v1
	ds_bpermute_b32 v6, v11, v2
	ds_bpermute_b32 v7, v11, v3
	ds_bpermute_b32 v8, v11, v4
	s_waitcnt lgkmcnt(2)
	v_add_f64 v[1:2], v[1:2], v[5:6]
	s_waitcnt lgkmcnt(0)
	v_add_f64 v[3:4], v[3:4], v[7:8]
	;; [unrolled: 8-line block ×4, first 2 shown]
	s_or_b64 exec, exec, s[0:1]
	v_cmp_eq_u32_e32 vcc, 0, v0
	s_and_saveexec_b64 s[0:1], vcc
	s_cbranch_execz .LBB45_11
.LBB45_14:
	s_lshl_b64 s[0:1], s[2:3], 4
	s_add_u32 s0, s6, s0
	s_addc_u32 s1, s7, s1
	v_mov_b32_e32 v0, 0
	s_waitcnt lgkmcnt(0)
	global_store_dwordx4 v0, v[1:4], s[0:1]
	s_endpgm
	.section	.rodata,"a",@progbits
	.p2align	6, 0x0
	.amdhsa_kernel _ZL26rocblas_dot_kernel_inc1by2ILb1ELi1024ELi32ELb0E19rocblas_complex_numIdEPKS1_S1_EviT4_llS4_lliPT5_PT3_
		.amdhsa_group_segment_fixed_size 1024
		.amdhsa_private_segment_fixed_size 0
		.amdhsa_kernarg_size 80
		.amdhsa_user_sgpr_count 6
		.amdhsa_user_sgpr_private_segment_buffer 1
		.amdhsa_user_sgpr_dispatch_ptr 0
		.amdhsa_user_sgpr_queue_ptr 0
		.amdhsa_user_sgpr_kernarg_segment_ptr 1
		.amdhsa_user_sgpr_dispatch_id 0
		.amdhsa_user_sgpr_flat_scratch_init 0
		.amdhsa_user_sgpr_private_segment_size 0
		.amdhsa_uses_dynamic_stack 0
		.amdhsa_system_sgpr_private_segment_wavefront_offset 0
		.amdhsa_system_sgpr_workgroup_id_x 1
		.amdhsa_system_sgpr_workgroup_id_y 0
		.amdhsa_system_sgpr_workgroup_id_z 1
		.amdhsa_system_sgpr_workgroup_info 0
		.amdhsa_system_vgpr_workitem_id 0
		.amdhsa_next_free_vgpr 20
		.amdhsa_next_free_sgpr 22
		.amdhsa_reserve_vcc 1
		.amdhsa_reserve_flat_scratch 0
		.amdhsa_float_round_mode_32 0
		.amdhsa_float_round_mode_16_64 0
		.amdhsa_float_denorm_mode_32 3
		.amdhsa_float_denorm_mode_16_64 3
		.amdhsa_dx10_clamp 1
		.amdhsa_ieee_mode 1
		.amdhsa_fp16_overflow 0
		.amdhsa_exception_fp_ieee_invalid_op 0
		.amdhsa_exception_fp_denorm_src 0
		.amdhsa_exception_fp_ieee_div_zero 0
		.amdhsa_exception_fp_ieee_overflow 0
		.amdhsa_exception_fp_ieee_underflow 0
		.amdhsa_exception_fp_ieee_inexact 0
		.amdhsa_exception_int_div_zero 0
	.end_amdhsa_kernel
	.section	.text._ZL26rocblas_dot_kernel_inc1by2ILb1ELi1024ELi32ELb0E19rocblas_complex_numIdEPKS1_S1_EviT4_llS4_lliPT5_PT3_,"axG",@progbits,_ZL26rocblas_dot_kernel_inc1by2ILb1ELi1024ELi32ELb0E19rocblas_complex_numIdEPKS1_S1_EviT4_llS4_lliPT5_PT3_,comdat
.Lfunc_end45:
	.size	_ZL26rocblas_dot_kernel_inc1by2ILb1ELi1024ELi32ELb0E19rocblas_complex_numIdEPKS1_S1_EviT4_llS4_lliPT5_PT3_, .Lfunc_end45-_ZL26rocblas_dot_kernel_inc1by2ILb1ELi1024ELi32ELb0E19rocblas_complex_numIdEPKS1_S1_EviT4_llS4_lliPT5_PT3_
                                        ; -- End function
	.set _ZL26rocblas_dot_kernel_inc1by2ILb1ELi1024ELi32ELb0E19rocblas_complex_numIdEPKS1_S1_EviT4_llS4_lliPT5_PT3_.num_vgpr, 20
	.set _ZL26rocblas_dot_kernel_inc1by2ILb1ELi1024ELi32ELb0E19rocblas_complex_numIdEPKS1_S1_EviT4_llS4_lliPT5_PT3_.num_agpr, 0
	.set _ZL26rocblas_dot_kernel_inc1by2ILb1ELi1024ELi32ELb0E19rocblas_complex_numIdEPKS1_S1_EviT4_llS4_lliPT5_PT3_.numbered_sgpr, 22
	.set _ZL26rocblas_dot_kernel_inc1by2ILb1ELi1024ELi32ELb0E19rocblas_complex_numIdEPKS1_S1_EviT4_llS4_lliPT5_PT3_.num_named_barrier, 0
	.set _ZL26rocblas_dot_kernel_inc1by2ILb1ELi1024ELi32ELb0E19rocblas_complex_numIdEPKS1_S1_EviT4_llS4_lliPT5_PT3_.private_seg_size, 0
	.set _ZL26rocblas_dot_kernel_inc1by2ILb1ELi1024ELi32ELb0E19rocblas_complex_numIdEPKS1_S1_EviT4_llS4_lliPT5_PT3_.uses_vcc, 1
	.set _ZL26rocblas_dot_kernel_inc1by2ILb1ELi1024ELi32ELb0E19rocblas_complex_numIdEPKS1_S1_EviT4_llS4_lliPT5_PT3_.uses_flat_scratch, 0
	.set _ZL26rocblas_dot_kernel_inc1by2ILb1ELi1024ELi32ELb0E19rocblas_complex_numIdEPKS1_S1_EviT4_llS4_lliPT5_PT3_.has_dyn_sized_stack, 0
	.set _ZL26rocblas_dot_kernel_inc1by2ILb1ELi1024ELi32ELb0E19rocblas_complex_numIdEPKS1_S1_EviT4_llS4_lliPT5_PT3_.has_recursion, 0
	.set _ZL26rocblas_dot_kernel_inc1by2ILb1ELi1024ELi32ELb0E19rocblas_complex_numIdEPKS1_S1_EviT4_llS4_lliPT5_PT3_.has_indirect_call, 0
	.section	.AMDGPU.csdata,"",@progbits
; Kernel info:
; codeLenInByte = 1340
; TotalNumSgprs: 26
; NumVgprs: 20
; ScratchSize: 0
; MemoryBound: 0
; FloatMode: 240
; IeeeMode: 1
; LDSByteSize: 1024 bytes/workgroup (compile time only)
; SGPRBlocks: 3
; VGPRBlocks: 4
; NumSGPRsForWavesPerEU: 26
; NumVGPRsForWavesPerEU: 20
; Occupancy: 10
; WaveLimiterHint : 0
; COMPUTE_PGM_RSRC2:SCRATCH_EN: 0
; COMPUTE_PGM_RSRC2:USER_SGPR: 6
; COMPUTE_PGM_RSRC2:TRAP_HANDLER: 0
; COMPUTE_PGM_RSRC2:TGID_X_EN: 1
; COMPUTE_PGM_RSRC2:TGID_Y_EN: 0
; COMPUTE_PGM_RSRC2:TGID_Z_EN: 1
; COMPUTE_PGM_RSRC2:TIDIG_COMP_CNT: 0
	.section	.text._ZL18rocblas_dot_kernelIiLb1ELi1024ELi32ELb0E19rocblas_complex_numIdEPKS1_S1_EviT5_lT_lS4_lS5_liPT6_PT4_,"axG",@progbits,_ZL18rocblas_dot_kernelIiLb1ELi1024ELi32ELb0E19rocblas_complex_numIdEPKS1_S1_EviT5_lT_lS4_lS5_liPT6_PT4_,comdat
	.globl	_ZL18rocblas_dot_kernelIiLb1ELi1024ELi32ELb0E19rocblas_complex_numIdEPKS1_S1_EviT5_lT_lS4_lS5_liPT6_PT4_ ; -- Begin function _ZL18rocblas_dot_kernelIiLb1ELi1024ELi32ELb0E19rocblas_complex_numIdEPKS1_S1_EviT5_lT_lS4_lS5_liPT6_PT4_
	.p2align	8
	.type	_ZL18rocblas_dot_kernelIiLb1ELi1024ELi32ELb0E19rocblas_complex_numIdEPKS1_S1_EviT5_lT_lS4_lS5_liPT6_PT4_,@function
_ZL18rocblas_dot_kernelIiLb1ELi1024ELi32ELb0E19rocblas_complex_numIdEPKS1_S1_EviT5_lT_lS4_lS5_liPT6_PT4_: ; @_ZL18rocblas_dot_kernelIiLb1ELi1024ELi32ELb0E19rocblas_complex_numIdEPKS1_S1_EviT5_lT_lS4_lS5_liPT6_PT4_
; %bb.0:
	s_load_dword s14, s[4:5], 0x0
	s_load_dwordx2 s[8:9], s[4:5], 0x58
	v_mov_b32_e32 v1, 0
	v_mov_b32_e32 v5, 0
	s_mov_b32 s6, s7
	s_mov_b32 s7, 0
	v_mov_b32_e32 v2, 0
	v_mov_b32_e32 v6, 0
	s_waitcnt lgkmcnt(0)
	v_cmp_gt_i32_e32 vcc, s14, v0
	s_and_saveexec_b64 s[10:11], vcc
	s_cbranch_execz .LBB46_4
; %bb.1:
	s_load_dword s22, s[4:5], 0x38
	s_load_dwordx2 s[12:13], s[4:5], 0x40
	s_load_dword s15, s[4:5], 0x60
	s_load_dwordx4 s[0:3], s[4:5], 0x20
	s_load_dwordx4 s[16:19], s[4:5], 0x8
	s_load_dword s23, s[4:5], 0x18
	s_load_dwordx2 s[20:21], s[4:5], 0x30
	s_waitcnt lgkmcnt(0)
	s_lshl_b32 s15, s15, 10
	s_mul_i32 s1, s1, s6
	s_mul_hi_u32 s24, s0, s6
	v_mad_i64_i32 v[1:2], s[4:5], s23, v0, 0
	s_add_i32 s1, s24, s1
	s_mul_i32 s0, s0, s6
	s_lshl_b64 s[0:1], s[0:1], 4
	s_lshl_b64 s[4:5], s[18:19], 4
	s_add_u32 s4, s16, s4
	s_addc_u32 s5, s17, s5
	v_lshlrev_b64 v[1:2], 4, v[1:2]
	s_add_u32 s0, s4, s0
	s_addc_u32 s1, s5, s1
	v_mov_b32_e32 v3, s1
	v_add_co_u32_e32 v1, vcc, s0, v1
	v_addc_co_u32_e32 v2, vcc, v3, v2, vcc
	v_add_co_u32_e32 v3, vcc, 8, v1
	s_mul_hi_i32 s1, s23, s15
	s_mul_i32 s0, s23, s15
	v_addc_co_u32_e32 v4, vcc, 0, v2, vcc
	s_lshl_b64 s[4:5], s[0:1], 4
	s_mul_i32 s13, s13, s6
	s_mul_hi_u32 s16, s12, s6
	v_mad_i64_i32 v[1:2], s[0:1], s22, v0, 0
	s_add_i32 s1, s16, s13
	s_mul_i32 s0, s12, s6
	s_lshl_b64 s[0:1], s[0:1], 4
	s_lshl_b64 s[12:13], s[20:21], 4
	s_add_u32 s2, s2, s12
	s_addc_u32 s3, s3, s13
	v_lshlrev_b64 v[1:2], 4, v[1:2]
	s_add_u32 s0, s2, s0
	s_addc_u32 s1, s3, s1
	v_mov_b32_e32 v5, s1
	v_add_co_u32_e32 v1, vcc, s0, v1
	v_addc_co_u32_e32 v2, vcc, v5, v2, vcc
	v_add_co_u32_e32 v7, vcc, 8, v1
	s_mul_hi_i32 s1, s22, s15
	s_mul_i32 s0, s22, s15
	v_addc_co_u32_e32 v8, vcc, 0, v2, vcc
	s_lshl_b64 s[2:3], s[0:1], 4
	v_mov_b32_e32 v1, 0
	v_mov_b32_e32 v5, 0
	v_or_b32_e32 v9, s15, v0
	v_mov_b32_e32 v2, 0
	s_mov_b64 s[12:13], 0
	v_mov_b32_e32 v10, s5
	v_mov_b32_e32 v11, s3
	;; [unrolled: 1-line block ×3, first 2 shown]
	s_mov_b32 s3, s7
.LBB46_2:                               ; =>This Inner Loop Header: Depth=1
	global_load_dwordx4 v[12:15], v[7:8], off offset:-8
	global_load_dwordx4 v[16:19], v[3:4], off offset:-8
	v_add_co_u32_e64 v3, s[0:1], s4, v3
	v_addc_co_u32_e64 v4, s[0:1], v4, v10, s[0:1]
	s_add_i32 s5, s3, 1
	v_add_co_u32_e64 v7, s[0:1], s2, v7
	v_addc_co_u32_e64 v8, s[0:1], v8, v11, s[0:1]
	s_cmp_gt_u32 s3, 30
	v_cmp_le_i32_e32 vcc, s14, v9
	s_cselect_b64 s[0:1], -1, 0
	s_or_b64 s[0:1], s[0:1], vcc
	s_and_b64 s[0:1], exec, s[0:1]
	v_add_u32_e32 v9, s15, v9
	s_or_b64 s[12:13], s[0:1], s[12:13]
	s_mov_b32 s3, s5
	s_waitcnt vmcnt(0)
	v_mul_f64 v[20:21], v[14:15], v[18:19]
	v_fma_f64 v[20:21], v[12:13], v[16:17], -v[20:21]
	v_mul_f64 v[12:13], v[12:13], v[18:19]
	v_add_f64 v[5:6], v[5:6], v[20:21]
	v_fma_f64 v[12:13], v[14:15], v[16:17], v[12:13]
	v_add_f64 v[1:2], v[1:2], v[12:13]
	s_andn2_b64 exec, exec, s[12:13]
	s_cbranch_execnz .LBB46_2
; %bb.3:
	s_or_b64 exec, exec, s[12:13]
.LBB46_4:
	s_or_b64 exec, exec, s[10:11]
	v_and_b32_e32 v14, 63, v0
	v_cmp_gt_u32_e32 vcc, 64, v0
	v_lshlrev_b32_e32 v9, 4, v14
	s_and_saveexec_b64 s[0:1], vcc
; %bb.5:
	v_mov_b32_e32 v10, 0
	v_mov_b32_e32 v11, v10
	;; [unrolled: 1-line block ×4, first 2 shown]
	ds_write_b128 v9, v[10:13]
; %bb.6:
	s_or_b64 exec, exec, s[0:1]
	v_mbcnt_lo_u32_b32 v3, -1, 0
	v_mbcnt_hi_u32_b32 v13, -1, v3
	v_mov_b32_e32 v3, 0x80
	v_lshl_or_b32 v8, v13, 2, v3
	ds_bpermute_b32 v3, v8, v5
	ds_bpermute_b32 v4, v8, v6
	;; [unrolled: 1-line block ×4, first 2 shown]
	v_and_b32_e32 v15, 63, v13
	v_cmp_gt_u32_e64 s[0:1], 48, v15
	s_waitcnt lgkmcnt(2)
	v_add_f64 v[3:4], v[5:6], v[3:4]
	v_cndmask_b32_e64 v5, 0, 16, s[0:1]
	s_waitcnt lgkmcnt(0)
	v_add_f64 v[1:2], v[1:2], v[7:8]
	v_add_lshl_u32 v8, v5, v13, 2
	v_cmp_gt_u32_e64 s[0:1], 56, v15
	s_barrier
	ds_bpermute_b32 v5, v8, v3
	ds_bpermute_b32 v6, v8, v4
	;; [unrolled: 1-line block ×4, first 2 shown]
	s_waitcnt lgkmcnt(2)
	v_add_f64 v[3:4], v[3:4], v[5:6]
	v_cndmask_b32_e64 v5, 0, 8, s[0:1]
	s_waitcnt lgkmcnt(0)
	v_add_f64 v[1:2], v[1:2], v[7:8]
	v_add_lshl_u32 v10, v5, v13, 2
	v_cmp_gt_u32_e64 s[0:1], 60, v15
	ds_bpermute_b32 v5, v10, v3
	ds_bpermute_b32 v6, v10, v4
	;; [unrolled: 1-line block ×4, first 2 shown]
	s_waitcnt lgkmcnt(2)
	v_add_f64 v[3:4], v[3:4], v[5:6]
	v_cndmask_b32_e64 v5, 0, 4, s[0:1]
	s_waitcnt lgkmcnt(0)
	v_add_f64 v[1:2], v[1:2], v[7:8]
	v_add_lshl_u32 v11, v5, v13, 2
	v_cmp_gt_u32_e64 s[0:1], 62, v15
	ds_bpermute_b32 v5, v11, v3
	ds_bpermute_b32 v6, v11, v4
	;; [unrolled: 1-line block ×4, first 2 shown]
	s_waitcnt lgkmcnt(2)
	v_add_f64 v[3:4], v[3:4], v[5:6]
	s_waitcnt lgkmcnt(0)
	v_add_f64 v[5:6], v[1:2], v[7:8]
	v_cndmask_b32_e64 v1, 0, 2, s[0:1]
	v_add_lshl_u32 v12, v1, v13, 2
	v_cmp_ne_u32_e64 s[0:1], 63, v15
	ds_bpermute_b32 v1, v12, v3
	ds_bpermute_b32 v2, v12, v4
	ds_bpermute_b32 v7, v12, v5
	ds_bpermute_b32 v8, v12, v6
	s_waitcnt lgkmcnt(2)
	v_add_f64 v[1:2], v[3:4], v[1:2]
	s_waitcnt lgkmcnt(0)
	v_add_f64 v[3:4], v[5:6], v[7:8]
	v_addc_co_u32_e64 v5, s[0:1], 0, v13, s[0:1]
	v_lshlrev_b32_e32 v13, 2, v5
	v_cmp_eq_u32_e64 s[0:1], 0, v14
	ds_bpermute_b32 v5, v13, v1
	ds_bpermute_b32 v6, v13, v2
	;; [unrolled: 1-line block ×4, first 2 shown]
	s_and_saveexec_b64 s[2:3], s[0:1]
	s_cbranch_execz .LBB46_8
; %bb.7:
	s_waitcnt lgkmcnt(0)
	v_add_f64 v[3:4], v[3:4], v[7:8]
	v_add_f64 v[1:2], v[1:2], v[5:6]
	v_lshrrev_b32_e32 v5, 2, v0
	v_and_b32_e32 v5, 0xf0, v5
	ds_write_b128 v5, v[1:4]
.LBB46_8:
	s_or_b64 exec, exec, s[2:3]
	v_mov_b32_e32 v3, 0
	v_mov_b32_e32 v1, 0
	;; [unrolled: 1-line block ×4, first 2 shown]
	v_cmp_gt_u32_e64 s[0:1], 16, v0
	s_waitcnt lgkmcnt(0)
	s_barrier
	s_and_saveexec_b64 s[2:3], s[0:1]
	s_cbranch_execnz .LBB46_12
; %bb.9:
	s_or_b64 exec, exec, s[2:3]
	s_and_saveexec_b64 s[0:1], vcc
	s_cbranch_execnz .LBB46_13
.LBB46_10:
	s_or_b64 exec, exec, s[0:1]
	v_cmp_eq_u32_e32 vcc, 0, v0
	s_and_saveexec_b64 s[0:1], vcc
	s_cbranch_execnz .LBB46_14
.LBB46_11:
	s_endpgm
.LBB46_12:
	ds_read_b128 v[1:4], v9
	s_or_b64 exec, exec, s[2:3]
	s_and_saveexec_b64 s[0:1], vcc
	s_cbranch_execz .LBB46_10
.LBB46_13:
	s_waitcnt lgkmcnt(0)
	ds_bpermute_b32 v5, v10, v1
	ds_bpermute_b32 v6, v10, v2
	ds_bpermute_b32 v7, v10, v3
	ds_bpermute_b32 v8, v10, v4
	s_waitcnt lgkmcnt(2)
	v_add_f64 v[1:2], v[1:2], v[5:6]
	s_waitcnt lgkmcnt(0)
	v_add_f64 v[3:4], v[3:4], v[7:8]
	ds_bpermute_b32 v5, v11, v1
	ds_bpermute_b32 v6, v11, v2
	ds_bpermute_b32 v7, v11, v3
	ds_bpermute_b32 v8, v11, v4
	s_waitcnt lgkmcnt(2)
	v_add_f64 v[1:2], v[1:2], v[5:6]
	s_waitcnt lgkmcnt(0)
	v_add_f64 v[3:4], v[3:4], v[7:8]
	;; [unrolled: 8-line block ×4, first 2 shown]
	s_or_b64 exec, exec, s[0:1]
	v_cmp_eq_u32_e32 vcc, 0, v0
	s_and_saveexec_b64 s[0:1], vcc
	s_cbranch_execz .LBB46_11
.LBB46_14:
	s_lshl_b64 s[0:1], s[6:7], 4
	s_add_u32 s0, s8, s0
	s_addc_u32 s1, s9, s1
	v_mov_b32_e32 v0, 0
	s_waitcnt lgkmcnt(0)
	global_store_dwordx4 v0, v[1:4], s[0:1]
	s_endpgm
	.section	.rodata,"a",@progbits
	.p2align	6, 0x0
	.amdhsa_kernel _ZL18rocblas_dot_kernelIiLb1ELi1024ELi32ELb0E19rocblas_complex_numIdEPKS1_S1_EviT5_lT_lS4_lS5_liPT6_PT4_
		.amdhsa_group_segment_fixed_size 1024
		.amdhsa_private_segment_fixed_size 0
		.amdhsa_kernarg_size 352
		.amdhsa_user_sgpr_count 6
		.amdhsa_user_sgpr_private_segment_buffer 1
		.amdhsa_user_sgpr_dispatch_ptr 0
		.amdhsa_user_sgpr_queue_ptr 0
		.amdhsa_user_sgpr_kernarg_segment_ptr 1
		.amdhsa_user_sgpr_dispatch_id 0
		.amdhsa_user_sgpr_flat_scratch_init 0
		.amdhsa_user_sgpr_private_segment_size 0
		.amdhsa_uses_dynamic_stack 0
		.amdhsa_system_sgpr_private_segment_wavefront_offset 0
		.amdhsa_system_sgpr_workgroup_id_x 1
		.amdhsa_system_sgpr_workgroup_id_y 0
		.amdhsa_system_sgpr_workgroup_id_z 1
		.amdhsa_system_sgpr_workgroup_info 0
		.amdhsa_system_vgpr_workitem_id 0
		.amdhsa_next_free_vgpr 22
		.amdhsa_next_free_sgpr 25
		.amdhsa_reserve_vcc 1
		.amdhsa_reserve_flat_scratch 0
		.amdhsa_float_round_mode_32 0
		.amdhsa_float_round_mode_16_64 0
		.amdhsa_float_denorm_mode_32 3
		.amdhsa_float_denorm_mode_16_64 3
		.amdhsa_dx10_clamp 1
		.amdhsa_ieee_mode 1
		.amdhsa_fp16_overflow 0
		.amdhsa_exception_fp_ieee_invalid_op 0
		.amdhsa_exception_fp_denorm_src 0
		.amdhsa_exception_fp_ieee_div_zero 0
		.amdhsa_exception_fp_ieee_overflow 0
		.amdhsa_exception_fp_ieee_underflow 0
		.amdhsa_exception_fp_ieee_inexact 0
		.amdhsa_exception_int_div_zero 0
	.end_amdhsa_kernel
	.section	.text._ZL18rocblas_dot_kernelIiLb1ELi1024ELi32ELb0E19rocblas_complex_numIdEPKS1_S1_EviT5_lT_lS4_lS5_liPT6_PT4_,"axG",@progbits,_ZL18rocblas_dot_kernelIiLb1ELi1024ELi32ELb0E19rocblas_complex_numIdEPKS1_S1_EviT5_lT_lS4_lS5_liPT6_PT4_,comdat
.Lfunc_end46:
	.size	_ZL18rocblas_dot_kernelIiLb1ELi1024ELi32ELb0E19rocblas_complex_numIdEPKS1_S1_EviT5_lT_lS4_lS5_liPT6_PT4_, .Lfunc_end46-_ZL18rocblas_dot_kernelIiLb1ELi1024ELi32ELb0E19rocblas_complex_numIdEPKS1_S1_EviT5_lT_lS4_lS5_liPT6_PT4_
                                        ; -- End function
	.set _ZL18rocblas_dot_kernelIiLb1ELi1024ELi32ELb0E19rocblas_complex_numIdEPKS1_S1_EviT5_lT_lS4_lS5_liPT6_PT4_.num_vgpr, 22
	.set _ZL18rocblas_dot_kernelIiLb1ELi1024ELi32ELb0E19rocblas_complex_numIdEPKS1_S1_EviT5_lT_lS4_lS5_liPT6_PT4_.num_agpr, 0
	.set _ZL18rocblas_dot_kernelIiLb1ELi1024ELi32ELb0E19rocblas_complex_numIdEPKS1_S1_EviT5_lT_lS4_lS5_liPT6_PT4_.numbered_sgpr, 25
	.set _ZL18rocblas_dot_kernelIiLb1ELi1024ELi32ELb0E19rocblas_complex_numIdEPKS1_S1_EviT5_lT_lS4_lS5_liPT6_PT4_.num_named_barrier, 0
	.set _ZL18rocblas_dot_kernelIiLb1ELi1024ELi32ELb0E19rocblas_complex_numIdEPKS1_S1_EviT5_lT_lS4_lS5_liPT6_PT4_.private_seg_size, 0
	.set _ZL18rocblas_dot_kernelIiLb1ELi1024ELi32ELb0E19rocblas_complex_numIdEPKS1_S1_EviT5_lT_lS4_lS5_liPT6_PT4_.uses_vcc, 1
	.set _ZL18rocblas_dot_kernelIiLb1ELi1024ELi32ELb0E19rocblas_complex_numIdEPKS1_S1_EviT5_lT_lS4_lS5_liPT6_PT4_.uses_flat_scratch, 0
	.set _ZL18rocblas_dot_kernelIiLb1ELi1024ELi32ELb0E19rocblas_complex_numIdEPKS1_S1_EviT5_lT_lS4_lS5_liPT6_PT4_.has_dyn_sized_stack, 0
	.set _ZL18rocblas_dot_kernelIiLb1ELi1024ELi32ELb0E19rocblas_complex_numIdEPKS1_S1_EviT5_lT_lS4_lS5_liPT6_PT4_.has_recursion, 0
	.set _ZL18rocblas_dot_kernelIiLb1ELi1024ELi32ELb0E19rocblas_complex_numIdEPKS1_S1_EviT5_lT_lS4_lS5_liPT6_PT4_.has_indirect_call, 0
	.section	.AMDGPU.csdata,"",@progbits
; Kernel info:
; codeLenInByte = 1424
; TotalNumSgprs: 29
; NumVgprs: 22
; ScratchSize: 0
; MemoryBound: 0
; FloatMode: 240
; IeeeMode: 1
; LDSByteSize: 1024 bytes/workgroup (compile time only)
; SGPRBlocks: 3
; VGPRBlocks: 5
; NumSGPRsForWavesPerEU: 29
; NumVGPRsForWavesPerEU: 22
; Occupancy: 10
; WaveLimiterHint : 0
; COMPUTE_PGM_RSRC2:SCRATCH_EN: 0
; COMPUTE_PGM_RSRC2:USER_SGPR: 6
; COMPUTE_PGM_RSRC2:TRAP_HANDLER: 0
; COMPUTE_PGM_RSRC2:TGID_X_EN: 1
; COMPUTE_PGM_RSRC2:TGID_Y_EN: 0
; COMPUTE_PGM_RSRC2:TGID_Z_EN: 1
; COMPUTE_PGM_RSRC2:TIDIG_COMP_CNT: 0
	.section	.text._ZL24rocblas_dot_kernel_magsqIiLb1ELi1024ELi32ELb0E19rocblas_complex_numIdEPKS1_S1_EviT5_lT_liPT6_PT4_,"axG",@progbits,_ZL24rocblas_dot_kernel_magsqIiLb1ELi1024ELi32ELb0E19rocblas_complex_numIdEPKS1_S1_EviT5_lT_liPT6_PT4_,comdat
	.globl	_ZL24rocblas_dot_kernel_magsqIiLb1ELi1024ELi32ELb0E19rocblas_complex_numIdEPKS1_S1_EviT5_lT_liPT6_PT4_ ; -- Begin function _ZL24rocblas_dot_kernel_magsqIiLb1ELi1024ELi32ELb0E19rocblas_complex_numIdEPKS1_S1_EviT5_lT_liPT6_PT4_
	.p2align	8
	.type	_ZL24rocblas_dot_kernel_magsqIiLb1ELi1024ELi32ELb0E19rocblas_complex_numIdEPKS1_S1_EviT5_lT_liPT6_PT4_,@function
_ZL24rocblas_dot_kernel_magsqIiLb1ELi1024ELi32ELb0E19rocblas_complex_numIdEPKS1_S1_EviT5_lT_liPT6_PT4_: ; @_ZL24rocblas_dot_kernel_magsqIiLb1ELi1024ELi32ELb0E19rocblas_complex_numIdEPKS1_S1_EviT5_lT_liPT6_PT4_
; %bb.0:
	s_mov_b32 s2, s7
	s_load_dword s12, s[4:5], 0x0
	s_load_dwordx2 s[6:7], s[4:5], 0x38
	v_mov_b32_e32 v1, 0
	v_mov_b32_e32 v3, 0
	s_mov_b32 s3, 0
	v_mov_b32_e32 v2, 0
	v_mov_b32_e32 v4, 0
	s_waitcnt lgkmcnt(0)
	v_cmp_gt_i32_e32 vcc, s12, v0
	s_and_saveexec_b64 s[8:9], vcc
	s_cbranch_execz .LBB47_4
; %bb.1:
	s_load_dword s10, s[4:5], 0x40
	s_load_dwordx2 s[0:1], s[4:5], 0x20
	s_load_dwordx4 s[16:19], s[4:5], 0x8
	s_load_dword s11, s[4:5], 0x18
	s_waitcnt lgkmcnt(0)
	s_lshl_b32 s13, s10, 10
	s_mul_i32 s1, s1, s2
	s_mul_hi_u32 s10, s0, s2
	v_mad_i64_i32 v[1:2], s[4:5], s11, v0, 0
	s_add_i32 s1, s10, s1
	s_mul_i32 s0, s0, s2
	s_lshl_b64 s[0:1], s[0:1], 4
	s_lshl_b64 s[4:5], s[18:19], 4
	s_add_u32 s4, s16, s4
	s_addc_u32 s5, s17, s5
	v_lshlrev_b64 v[1:2], 4, v[1:2]
	s_add_u32 s0, s4, s0
	s_addc_u32 s1, s5, s1
	v_mov_b32_e32 v3, s1
	v_add_co_u32_e32 v5, vcc, s0, v1
	s_mul_hi_i32 s1, s11, s13
	s_mul_i32 s0, s11, s13
	v_addc_co_u32_e32 v6, vcc, v3, v2, vcc
	s_lshl_b64 s[4:5], s[0:1], 4
	v_mov_b32_e32 v1, 0
	v_mov_b32_e32 v3, 0
	v_or_b32_e32 v7, s13, v0
	v_mov_b32_e32 v2, 0
	s_mov_b64 s[10:11], 0
	v_mov_b32_e32 v8, s5
	v_mov_b32_e32 v4, 0
	s_mov_b32 s5, s3
.LBB47_2:                               ; =>This Inner Loop Header: Depth=1
	global_load_dwordx4 v[9:12], v[5:6], off
	s_add_i32 s14, s5, 1
	v_add_co_u32_e64 v5, s[0:1], s4, v5
	v_addc_co_u32_e64 v6, s[0:1], v6, v8, s[0:1]
	s_cmp_gt_u32 s5, 30
	v_cmp_le_i32_e32 vcc, s12, v7
	s_cselect_b64 s[0:1], -1, 0
	s_or_b64 s[0:1], s[0:1], vcc
	s_and_b64 s[0:1], exec, s[0:1]
	v_add_u32_e32 v7, s13, v7
	s_or_b64 s[10:11], s[0:1], s[10:11]
	s_mov_b32 s5, s14
	s_waitcnt vmcnt(0)
	v_mul_f64 v[13:14], v[11:12], v[11:12]
	v_mul_f64 v[11:12], v[9:10], v[11:12]
	v_fma_f64 v[9:10], v[9:10], v[9:10], -v[13:14]
	v_fma_f64 v[1:2], v[11:12], 2.0, v[1:2]
	v_add_f64 v[3:4], v[3:4], v[9:10]
	s_andn2_b64 exec, exec, s[10:11]
	s_cbranch_execnz .LBB47_2
; %bb.3:
	s_or_b64 exec, exec, s[10:11]
.LBB47_4:
	s_or_b64 exec, exec, s[8:9]
	v_and_b32_e32 v14, 63, v0
	v_cmp_gt_u32_e32 vcc, 64, v0
	v_lshlrev_b32_e32 v9, 4, v14
	s_and_saveexec_b64 s[0:1], vcc
; %bb.5:
	v_mov_b32_e32 v5, 0
	v_mov_b32_e32 v6, v5
	;; [unrolled: 1-line block ×4, first 2 shown]
	ds_write_b128 v9, v[5:8]
; %bb.6:
	s_or_b64 exec, exec, s[0:1]
	v_mbcnt_lo_u32_b32 v5, -1, 0
	v_mbcnt_hi_u32_b32 v13, -1, v5
	v_mov_b32_e32 v5, 0x80
	v_lshl_or_b32 v8, v13, 2, v5
	ds_bpermute_b32 v5, v8, v3
	ds_bpermute_b32 v6, v8, v4
	;; [unrolled: 1-line block ×4, first 2 shown]
	v_and_b32_e32 v15, 63, v13
	v_cmp_gt_u32_e64 s[0:1], 48, v15
	s_waitcnt lgkmcnt(2)
	v_add_f64 v[3:4], v[3:4], v[5:6]
	v_cndmask_b32_e64 v5, 0, 16, s[0:1]
	s_waitcnt lgkmcnt(0)
	v_add_f64 v[1:2], v[1:2], v[7:8]
	v_add_lshl_u32 v8, v5, v13, 2
	v_cmp_gt_u32_e64 s[0:1], 56, v15
	s_barrier
	ds_bpermute_b32 v5, v8, v3
	ds_bpermute_b32 v6, v8, v4
	;; [unrolled: 1-line block ×4, first 2 shown]
	s_waitcnt lgkmcnt(2)
	v_add_f64 v[3:4], v[3:4], v[5:6]
	v_cndmask_b32_e64 v5, 0, 8, s[0:1]
	s_waitcnt lgkmcnt(0)
	v_add_f64 v[1:2], v[1:2], v[7:8]
	v_add_lshl_u32 v10, v5, v13, 2
	v_cmp_gt_u32_e64 s[0:1], 60, v15
	ds_bpermute_b32 v5, v10, v3
	ds_bpermute_b32 v6, v10, v4
	;; [unrolled: 1-line block ×4, first 2 shown]
	s_waitcnt lgkmcnt(2)
	v_add_f64 v[3:4], v[3:4], v[5:6]
	v_cndmask_b32_e64 v5, 0, 4, s[0:1]
	s_waitcnt lgkmcnt(0)
	v_add_f64 v[1:2], v[1:2], v[7:8]
	v_add_lshl_u32 v11, v5, v13, 2
	v_cmp_gt_u32_e64 s[0:1], 62, v15
	ds_bpermute_b32 v5, v11, v3
	ds_bpermute_b32 v6, v11, v4
	;; [unrolled: 1-line block ×4, first 2 shown]
	s_waitcnt lgkmcnt(2)
	v_add_f64 v[3:4], v[3:4], v[5:6]
	s_waitcnt lgkmcnt(0)
	v_add_f64 v[5:6], v[1:2], v[7:8]
	v_cndmask_b32_e64 v1, 0, 2, s[0:1]
	v_add_lshl_u32 v12, v1, v13, 2
	v_cmp_ne_u32_e64 s[0:1], 63, v15
	ds_bpermute_b32 v1, v12, v3
	ds_bpermute_b32 v2, v12, v4
	;; [unrolled: 1-line block ×4, first 2 shown]
	s_waitcnt lgkmcnt(2)
	v_add_f64 v[1:2], v[3:4], v[1:2]
	s_waitcnt lgkmcnt(0)
	v_add_f64 v[3:4], v[5:6], v[7:8]
	v_addc_co_u32_e64 v5, s[0:1], 0, v13, s[0:1]
	v_lshlrev_b32_e32 v13, 2, v5
	v_cmp_eq_u32_e64 s[0:1], 0, v14
	ds_bpermute_b32 v5, v13, v1
	ds_bpermute_b32 v6, v13, v2
	;; [unrolled: 1-line block ×4, first 2 shown]
	s_and_saveexec_b64 s[4:5], s[0:1]
	s_cbranch_execz .LBB47_8
; %bb.7:
	s_waitcnt lgkmcnt(0)
	v_add_f64 v[3:4], v[3:4], v[7:8]
	v_add_f64 v[1:2], v[1:2], v[5:6]
	v_lshrrev_b32_e32 v5, 2, v0
	v_and_b32_e32 v5, 0xf0, v5
	ds_write_b128 v5, v[1:4]
.LBB47_8:
	s_or_b64 exec, exec, s[4:5]
	v_mov_b32_e32 v3, 0
	v_mov_b32_e32 v1, 0
	;; [unrolled: 1-line block ×4, first 2 shown]
	v_cmp_gt_u32_e64 s[0:1], 16, v0
	s_waitcnt lgkmcnt(0)
	s_barrier
	s_and_saveexec_b64 s[4:5], s[0:1]
	s_cbranch_execnz .LBB47_12
; %bb.9:
	s_or_b64 exec, exec, s[4:5]
	s_and_saveexec_b64 s[0:1], vcc
	s_cbranch_execnz .LBB47_13
.LBB47_10:
	s_or_b64 exec, exec, s[0:1]
	v_cmp_eq_u32_e32 vcc, 0, v0
	s_and_saveexec_b64 s[0:1], vcc
	s_cbranch_execnz .LBB47_14
.LBB47_11:
	s_endpgm
.LBB47_12:
	ds_read_b128 v[1:4], v9
	s_or_b64 exec, exec, s[4:5]
	s_and_saveexec_b64 s[0:1], vcc
	s_cbranch_execz .LBB47_10
.LBB47_13:
	s_waitcnt lgkmcnt(0)
	ds_bpermute_b32 v5, v10, v1
	ds_bpermute_b32 v6, v10, v2
	ds_bpermute_b32 v7, v10, v3
	ds_bpermute_b32 v8, v10, v4
	s_waitcnt lgkmcnt(2)
	v_add_f64 v[1:2], v[1:2], v[5:6]
	s_waitcnt lgkmcnt(0)
	v_add_f64 v[3:4], v[3:4], v[7:8]
	ds_bpermute_b32 v5, v11, v1
	ds_bpermute_b32 v6, v11, v2
	ds_bpermute_b32 v7, v11, v3
	ds_bpermute_b32 v8, v11, v4
	s_waitcnt lgkmcnt(2)
	v_add_f64 v[1:2], v[1:2], v[5:6]
	s_waitcnt lgkmcnt(0)
	v_add_f64 v[3:4], v[3:4], v[7:8]
	;; [unrolled: 8-line block ×4, first 2 shown]
	s_or_b64 exec, exec, s[0:1]
	v_cmp_eq_u32_e32 vcc, 0, v0
	s_and_saveexec_b64 s[0:1], vcc
	s_cbranch_execz .LBB47_11
.LBB47_14:
	s_lshl_b64 s[0:1], s[2:3], 4
	s_add_u32 s0, s6, s0
	s_addc_u32 s1, s7, s1
	v_mov_b32_e32 v0, 0
	s_waitcnt lgkmcnt(0)
	global_store_dwordx4 v0, v[1:4], s[0:1]
	s_endpgm
	.section	.rodata,"a",@progbits
	.p2align	6, 0x0
	.amdhsa_kernel _ZL24rocblas_dot_kernel_magsqIiLb1ELi1024ELi32ELb0E19rocblas_complex_numIdEPKS1_S1_EviT5_lT_liPT6_PT4_
		.amdhsa_group_segment_fixed_size 1024
		.amdhsa_private_segment_fixed_size 0
		.amdhsa_kernarg_size 320
		.amdhsa_user_sgpr_count 6
		.amdhsa_user_sgpr_private_segment_buffer 1
		.amdhsa_user_sgpr_dispatch_ptr 0
		.amdhsa_user_sgpr_queue_ptr 0
		.amdhsa_user_sgpr_kernarg_segment_ptr 1
		.amdhsa_user_sgpr_dispatch_id 0
		.amdhsa_user_sgpr_flat_scratch_init 0
		.amdhsa_user_sgpr_private_segment_size 0
		.amdhsa_uses_dynamic_stack 0
		.amdhsa_system_sgpr_private_segment_wavefront_offset 0
		.amdhsa_system_sgpr_workgroup_id_x 1
		.amdhsa_system_sgpr_workgroup_id_y 0
		.amdhsa_system_sgpr_workgroup_id_z 1
		.amdhsa_system_sgpr_workgroup_info 0
		.amdhsa_system_vgpr_workitem_id 0
		.amdhsa_next_free_vgpr 16
		.amdhsa_next_free_sgpr 20
		.amdhsa_reserve_vcc 1
		.amdhsa_reserve_flat_scratch 0
		.amdhsa_float_round_mode_32 0
		.amdhsa_float_round_mode_16_64 0
		.amdhsa_float_denorm_mode_32 3
		.amdhsa_float_denorm_mode_16_64 3
		.amdhsa_dx10_clamp 1
		.amdhsa_ieee_mode 1
		.amdhsa_fp16_overflow 0
		.amdhsa_exception_fp_ieee_invalid_op 0
		.amdhsa_exception_fp_denorm_src 0
		.amdhsa_exception_fp_ieee_div_zero 0
		.amdhsa_exception_fp_ieee_overflow 0
		.amdhsa_exception_fp_ieee_underflow 0
		.amdhsa_exception_fp_ieee_inexact 0
		.amdhsa_exception_int_div_zero 0
	.end_amdhsa_kernel
	.section	.text._ZL24rocblas_dot_kernel_magsqIiLb1ELi1024ELi32ELb0E19rocblas_complex_numIdEPKS1_S1_EviT5_lT_liPT6_PT4_,"axG",@progbits,_ZL24rocblas_dot_kernel_magsqIiLb1ELi1024ELi32ELb0E19rocblas_complex_numIdEPKS1_S1_EviT5_lT_liPT6_PT4_,comdat
.Lfunc_end47:
	.size	_ZL24rocblas_dot_kernel_magsqIiLb1ELi1024ELi32ELb0E19rocblas_complex_numIdEPKS1_S1_EviT5_lT_liPT6_PT4_, .Lfunc_end47-_ZL24rocblas_dot_kernel_magsqIiLb1ELi1024ELi32ELb0E19rocblas_complex_numIdEPKS1_S1_EviT5_lT_liPT6_PT4_
                                        ; -- End function
	.set _ZL24rocblas_dot_kernel_magsqIiLb1ELi1024ELi32ELb0E19rocblas_complex_numIdEPKS1_S1_EviT5_lT_liPT6_PT4_.num_vgpr, 16
	.set _ZL24rocblas_dot_kernel_magsqIiLb1ELi1024ELi32ELb0E19rocblas_complex_numIdEPKS1_S1_EviT5_lT_liPT6_PT4_.num_agpr, 0
	.set _ZL24rocblas_dot_kernel_magsqIiLb1ELi1024ELi32ELb0E19rocblas_complex_numIdEPKS1_S1_EviT5_lT_liPT6_PT4_.numbered_sgpr, 20
	.set _ZL24rocblas_dot_kernel_magsqIiLb1ELi1024ELi32ELb0E19rocblas_complex_numIdEPKS1_S1_EviT5_lT_liPT6_PT4_.num_named_barrier, 0
	.set _ZL24rocblas_dot_kernel_magsqIiLb1ELi1024ELi32ELb0E19rocblas_complex_numIdEPKS1_S1_EviT5_lT_liPT6_PT4_.private_seg_size, 0
	.set _ZL24rocblas_dot_kernel_magsqIiLb1ELi1024ELi32ELb0E19rocblas_complex_numIdEPKS1_S1_EviT5_lT_liPT6_PT4_.uses_vcc, 1
	.set _ZL24rocblas_dot_kernel_magsqIiLb1ELi1024ELi32ELb0E19rocblas_complex_numIdEPKS1_S1_EviT5_lT_liPT6_PT4_.uses_flat_scratch, 0
	.set _ZL24rocblas_dot_kernel_magsqIiLb1ELi1024ELi32ELb0E19rocblas_complex_numIdEPKS1_S1_EviT5_lT_liPT6_PT4_.has_dyn_sized_stack, 0
	.set _ZL24rocblas_dot_kernel_magsqIiLb1ELi1024ELi32ELb0E19rocblas_complex_numIdEPKS1_S1_EviT5_lT_liPT6_PT4_.has_recursion, 0
	.set _ZL24rocblas_dot_kernel_magsqIiLb1ELi1024ELi32ELb0E19rocblas_complex_numIdEPKS1_S1_EviT5_lT_liPT6_PT4_.has_indirect_call, 0
	.section	.AMDGPU.csdata,"",@progbits
; Kernel info:
; codeLenInByte = 1268
; TotalNumSgprs: 24
; NumVgprs: 16
; ScratchSize: 0
; MemoryBound: 0
; FloatMode: 240
; IeeeMode: 1
; LDSByteSize: 1024 bytes/workgroup (compile time only)
; SGPRBlocks: 2
; VGPRBlocks: 3
; NumSGPRsForWavesPerEU: 24
; NumVGPRsForWavesPerEU: 16
; Occupancy: 10
; WaveLimiterHint : 0
; COMPUTE_PGM_RSRC2:SCRATCH_EN: 0
; COMPUTE_PGM_RSRC2:USER_SGPR: 6
; COMPUTE_PGM_RSRC2:TRAP_HANDLER: 0
; COMPUTE_PGM_RSRC2:TGID_X_EN: 1
; COMPUTE_PGM_RSRC2:TGID_Y_EN: 0
; COMPUTE_PGM_RSRC2:TGID_Z_EN: 1
; COMPUTE_PGM_RSRC2:TIDIG_COMP_CNT: 0
	.section	.text._ZL38rocblas_dot_kernel_gfx942_float_doubleIiLi1024E19rocblas_complex_numIdEPKS1_S1_EviT2_lT_lS4_lS5_lPT3_PT1_,"axG",@progbits,_ZL38rocblas_dot_kernel_gfx942_float_doubleIiLi1024E19rocblas_complex_numIdEPKS1_S1_EviT2_lT_lS4_lS5_lPT3_PT1_,comdat
	.globl	_ZL38rocblas_dot_kernel_gfx942_float_doubleIiLi1024E19rocblas_complex_numIdEPKS1_S1_EviT2_lT_lS4_lS5_lPT3_PT1_ ; -- Begin function _ZL38rocblas_dot_kernel_gfx942_float_doubleIiLi1024E19rocblas_complex_numIdEPKS1_S1_EviT2_lT_lS4_lS5_lPT3_PT1_
	.p2align	8
	.type	_ZL38rocblas_dot_kernel_gfx942_float_doubleIiLi1024E19rocblas_complex_numIdEPKS1_S1_EviT2_lT_lS4_lS5_lPT3_PT1_,@function
_ZL38rocblas_dot_kernel_gfx942_float_doubleIiLi1024E19rocblas_complex_numIdEPKS1_S1_EviT2_lT_lS4_lS5_lPT3_PT1_: ; @_ZL38rocblas_dot_kernel_gfx942_float_doubleIiLi1024E19rocblas_complex_numIdEPKS1_S1_EviT2_lT_lS4_lS5_lPT3_PT1_
; %bb.0:
	s_endpgm
	.section	.rodata,"a",@progbits
	.p2align	6, 0x0
	.amdhsa_kernel _ZL38rocblas_dot_kernel_gfx942_float_doubleIiLi1024E19rocblas_complex_numIdEPKS1_S1_EviT2_lT_lS4_lS5_lPT3_PT1_
		.amdhsa_group_segment_fixed_size 0
		.amdhsa_private_segment_fixed_size 0
		.amdhsa_kernarg_size 88
		.amdhsa_user_sgpr_count 6
		.amdhsa_user_sgpr_private_segment_buffer 1
		.amdhsa_user_sgpr_dispatch_ptr 0
		.amdhsa_user_sgpr_queue_ptr 0
		.amdhsa_user_sgpr_kernarg_segment_ptr 1
		.amdhsa_user_sgpr_dispatch_id 0
		.amdhsa_user_sgpr_flat_scratch_init 0
		.amdhsa_user_sgpr_private_segment_size 0
		.amdhsa_uses_dynamic_stack 0
		.amdhsa_system_sgpr_private_segment_wavefront_offset 0
		.amdhsa_system_sgpr_workgroup_id_x 1
		.amdhsa_system_sgpr_workgroup_id_y 0
		.amdhsa_system_sgpr_workgroup_id_z 0
		.amdhsa_system_sgpr_workgroup_info 0
		.amdhsa_system_vgpr_workitem_id 0
		.amdhsa_next_free_vgpr 1
		.amdhsa_next_free_sgpr 0
		.amdhsa_reserve_vcc 0
		.amdhsa_reserve_flat_scratch 0
		.amdhsa_float_round_mode_32 0
		.amdhsa_float_round_mode_16_64 0
		.amdhsa_float_denorm_mode_32 3
		.amdhsa_float_denorm_mode_16_64 3
		.amdhsa_dx10_clamp 1
		.amdhsa_ieee_mode 1
		.amdhsa_fp16_overflow 0
		.amdhsa_exception_fp_ieee_invalid_op 0
		.amdhsa_exception_fp_denorm_src 0
		.amdhsa_exception_fp_ieee_div_zero 0
		.amdhsa_exception_fp_ieee_overflow 0
		.amdhsa_exception_fp_ieee_underflow 0
		.amdhsa_exception_fp_ieee_inexact 0
		.amdhsa_exception_int_div_zero 0
	.end_amdhsa_kernel
	.section	.text._ZL38rocblas_dot_kernel_gfx942_float_doubleIiLi1024E19rocblas_complex_numIdEPKS1_S1_EviT2_lT_lS4_lS5_lPT3_PT1_,"axG",@progbits,_ZL38rocblas_dot_kernel_gfx942_float_doubleIiLi1024E19rocblas_complex_numIdEPKS1_S1_EviT2_lT_lS4_lS5_lPT3_PT1_,comdat
.Lfunc_end48:
	.size	_ZL38rocblas_dot_kernel_gfx942_float_doubleIiLi1024E19rocblas_complex_numIdEPKS1_S1_EviT2_lT_lS4_lS5_lPT3_PT1_, .Lfunc_end48-_ZL38rocblas_dot_kernel_gfx942_float_doubleIiLi1024E19rocblas_complex_numIdEPKS1_S1_EviT2_lT_lS4_lS5_lPT3_PT1_
                                        ; -- End function
	.set _ZL38rocblas_dot_kernel_gfx942_float_doubleIiLi1024E19rocblas_complex_numIdEPKS1_S1_EviT2_lT_lS4_lS5_lPT3_PT1_.num_vgpr, 0
	.set _ZL38rocblas_dot_kernel_gfx942_float_doubleIiLi1024E19rocblas_complex_numIdEPKS1_S1_EviT2_lT_lS4_lS5_lPT3_PT1_.num_agpr, 0
	.set _ZL38rocblas_dot_kernel_gfx942_float_doubleIiLi1024E19rocblas_complex_numIdEPKS1_S1_EviT2_lT_lS4_lS5_lPT3_PT1_.numbered_sgpr, 0
	.set _ZL38rocblas_dot_kernel_gfx942_float_doubleIiLi1024E19rocblas_complex_numIdEPKS1_S1_EviT2_lT_lS4_lS5_lPT3_PT1_.num_named_barrier, 0
	.set _ZL38rocblas_dot_kernel_gfx942_float_doubleIiLi1024E19rocblas_complex_numIdEPKS1_S1_EviT2_lT_lS4_lS5_lPT3_PT1_.private_seg_size, 0
	.set _ZL38rocblas_dot_kernel_gfx942_float_doubleIiLi1024E19rocblas_complex_numIdEPKS1_S1_EviT2_lT_lS4_lS5_lPT3_PT1_.uses_vcc, 0
	.set _ZL38rocblas_dot_kernel_gfx942_float_doubleIiLi1024E19rocblas_complex_numIdEPKS1_S1_EviT2_lT_lS4_lS5_lPT3_PT1_.uses_flat_scratch, 0
	.set _ZL38rocblas_dot_kernel_gfx942_float_doubleIiLi1024E19rocblas_complex_numIdEPKS1_S1_EviT2_lT_lS4_lS5_lPT3_PT1_.has_dyn_sized_stack, 0
	.set _ZL38rocblas_dot_kernel_gfx942_float_doubleIiLi1024E19rocblas_complex_numIdEPKS1_S1_EviT2_lT_lS4_lS5_lPT3_PT1_.has_recursion, 0
	.set _ZL38rocblas_dot_kernel_gfx942_float_doubleIiLi1024E19rocblas_complex_numIdEPKS1_S1_EviT2_lT_lS4_lS5_lPT3_PT1_.has_indirect_call, 0
	.section	.AMDGPU.csdata,"",@progbits
; Kernel info:
; codeLenInByte = 4
; TotalNumSgprs: 4
; NumVgprs: 0
; ScratchSize: 0
; MemoryBound: 0
; FloatMode: 240
; IeeeMode: 1
; LDSByteSize: 0 bytes/workgroup (compile time only)
; SGPRBlocks: 0
; VGPRBlocks: 0
; NumSGPRsForWavesPerEU: 4
; NumVGPRsForWavesPerEU: 1
; Occupancy: 10
; WaveLimiterHint : 0
; COMPUTE_PGM_RSRC2:SCRATCH_EN: 0
; COMPUTE_PGM_RSRC2:USER_SGPR: 6
; COMPUTE_PGM_RSRC2:TRAP_HANDLER: 0
; COMPUTE_PGM_RSRC2:TGID_X_EN: 1
; COMPUTE_PGM_RSRC2:TGID_Y_EN: 0
; COMPUTE_PGM_RSRC2:TGID_Z_EN: 0
; COMPUTE_PGM_RSRC2:TIDIG_COMP_CNT: 0
	.section	.text._ZL30rocblas_reduction_kernel_part2ILi1024ELi4E25rocblas_finalize_identity19rocblas_complex_numIdES2_EviPT2_PT3_,"axG",@progbits,_ZL30rocblas_reduction_kernel_part2ILi1024ELi4E25rocblas_finalize_identity19rocblas_complex_numIdES2_EviPT2_PT3_,comdat
	.globl	_ZL30rocblas_reduction_kernel_part2ILi1024ELi4E25rocblas_finalize_identity19rocblas_complex_numIdES2_EviPT2_PT3_ ; -- Begin function _ZL30rocblas_reduction_kernel_part2ILi1024ELi4E25rocblas_finalize_identity19rocblas_complex_numIdES2_EviPT2_PT3_
	.p2align	8
	.type	_ZL30rocblas_reduction_kernel_part2ILi1024ELi4E25rocblas_finalize_identity19rocblas_complex_numIdES2_EviPT2_PT3_,@function
_ZL30rocblas_reduction_kernel_part2ILi1024ELi4E25rocblas_finalize_identity19rocblas_complex_numIdES2_EviPT2_PT3_: ; @_ZL30rocblas_reduction_kernel_part2ILi1024ELi4E25rocblas_finalize_identity19rocblas_complex_numIdES2_EviPT2_PT3_
; %bb.0:
	s_load_dword s14, s[4:5], 0x0
	s_load_dwordx4 s[8:11], s[4:5], 0x8
	v_lshlrev_b32_e32 v7, 2, v0
	v_mov_b32_e32 v1, 0
	v_mov_b32_e32 v3, 0
	s_waitcnt lgkmcnt(0)
	s_ashr_i32 s0, s14, 31
	s_mul_i32 s2, s0, s6
	s_lshr_b32 s0, s0, 30
	s_add_i32 s0, s14, s0
	s_mul_hi_u32 s1, s14, s6
	s_and_b32 s15, s0, -4
	s_mov_b32 s7, 0
	s_add_i32 s3, s1, s2
	s_mul_i32 s2, s14, s6
	v_mov_b32_e32 v2, 0
	v_mov_b32_e32 v4, 0
	v_cmp_gt_i32_e32 vcc, s15, v7
	s_and_saveexec_b64 s[4:5], vcc
	s_cbranch_execz .LBB49_4
; %bb.1:
	s_lshl_b64 s[0:1], s[2:3], 4
	s_add_u32 s0, s8, s0
	v_lshlrev_b32_e32 v1, 6, v0
	s_addc_u32 s1, s9, s1
	v_mov_b32_e32 v2, s1
	v_add_co_u32_e32 v1, vcc, s0, v1
	v_addc_co_u32_e32 v2, vcc, 0, v2, vcc
	v_add_co_u32_e32 v5, vcc, 56, v1
	v_addc_co_u32_e32 v6, vcc, 0, v2, vcc
	v_mov_b32_e32 v1, 0
	v_mov_b32_e32 v3, 0
	v_mov_b32_e32 v2, 0
	v_mov_b32_e32 v4, 0
	s_mov_b64 s[12:13], 0
.LBB49_2:                               ; =>This Inner Loop Header: Depth=1
	global_load_dwordx4 v[8:11], v[5:6], off offset:-56
	global_load_dwordx4 v[12:15], v[5:6], off offset:-40
	global_load_dwordx4 v[16:19], v[5:6], off offset:-24
	v_add_u32_e32 v7, 0x1000, v7
	v_cmp_le_i32_e64 s[0:1], s15, v7
	s_or_b64 s[12:13], s[0:1], s[12:13]
	s_waitcnt vmcnt(2)
	v_add_f64 v[3:4], v[3:4], v[8:9]
	v_add_f64 v[1:2], v[1:2], v[10:11]
	global_load_dwordx4 v[8:11], v[5:6], off offset:-8
	v_add_co_u32_e32 v5, vcc, 0x10000, v5
	v_addc_co_u32_e32 v6, vcc, 0, v6, vcc
	s_waitcnt vmcnt(2)
	v_add_f64 v[3:4], v[3:4], v[12:13]
	v_add_f64 v[1:2], v[1:2], v[14:15]
	s_waitcnt vmcnt(1)
	v_add_f64 v[3:4], v[3:4], v[16:17]
	v_add_f64 v[1:2], v[1:2], v[18:19]
	;; [unrolled: 3-line block ×3, first 2 shown]
	s_andn2_b64 exec, exec, s[12:13]
	s_cbranch_execnz .LBB49_2
; %bb.3:
	s_or_b64 exec, exec, s[12:13]
.LBB49_4:
	s_or_b64 exec, exec, s[4:5]
	s_sub_i32 s0, s14, s15
	v_cmp_gt_u32_e32 vcc, s0, v0
	s_and_saveexec_b64 s[0:1], vcc
	s_cbranch_execz .LBB49_6
; %bb.5:
	s_lshl_b64 s[2:3], s[2:3], 4
	v_xad_u32 v5, v0, -1, s14
	v_mov_b32_e32 v6, 0
	s_add_u32 s2, s8, s2
	v_lshlrev_b64 v[5:6], 4, v[5:6]
	s_addc_u32 s3, s9, s3
	v_mov_b32_e32 v7, s3
	v_add_co_u32_e32 v5, vcc, s2, v5
	v_addc_co_u32_e32 v6, vcc, v7, v6, vcc
	global_load_dwordx4 v[5:8], v[5:6], off
	s_waitcnt vmcnt(0)
	v_add_f64 v[3:4], v[3:4], v[5:6]
	v_add_f64 v[1:2], v[1:2], v[7:8]
.LBB49_6:
	s_or_b64 exec, exec, s[0:1]
	v_and_b32_e32 v14, 63, v0
	v_cmp_gt_u32_e32 vcc, 64, v0
	v_lshlrev_b32_e32 v9, 4, v14
	s_and_saveexec_b64 s[0:1], vcc
; %bb.7:
	v_mov_b32_e32 v5, 0
	v_mov_b32_e32 v6, v5
	;; [unrolled: 1-line block ×4, first 2 shown]
	ds_write_b128 v9, v[5:8]
; %bb.8:
	s_or_b64 exec, exec, s[0:1]
	v_mbcnt_lo_u32_b32 v5, -1, 0
	v_mbcnt_hi_u32_b32 v13, -1, v5
	v_mov_b32_e32 v5, 0x80
	v_lshl_or_b32 v8, v13, 2, v5
	ds_bpermute_b32 v5, v8, v3
	ds_bpermute_b32 v6, v8, v4
	;; [unrolled: 1-line block ×4, first 2 shown]
	v_and_b32_e32 v15, 63, v13
	v_cmp_gt_u32_e64 s[0:1], 48, v15
	s_waitcnt lgkmcnt(2)
	v_add_f64 v[3:4], v[3:4], v[5:6]
	v_cndmask_b32_e64 v5, 0, 16, s[0:1]
	s_waitcnt lgkmcnt(0)
	v_add_f64 v[1:2], v[1:2], v[7:8]
	v_add_lshl_u32 v8, v5, v13, 2
	v_cmp_gt_u32_e64 s[0:1], 56, v15
	s_barrier
	ds_bpermute_b32 v5, v8, v3
	ds_bpermute_b32 v6, v8, v4
	;; [unrolled: 1-line block ×4, first 2 shown]
	s_waitcnt lgkmcnt(2)
	v_add_f64 v[3:4], v[3:4], v[5:6]
	v_cndmask_b32_e64 v5, 0, 8, s[0:1]
	s_waitcnt lgkmcnt(0)
	v_add_f64 v[1:2], v[1:2], v[7:8]
	v_add_lshl_u32 v10, v5, v13, 2
	v_cmp_gt_u32_e64 s[0:1], 60, v15
	ds_bpermute_b32 v5, v10, v3
	ds_bpermute_b32 v6, v10, v4
	;; [unrolled: 1-line block ×4, first 2 shown]
	s_waitcnt lgkmcnt(2)
	v_add_f64 v[3:4], v[3:4], v[5:6]
	v_cndmask_b32_e64 v5, 0, 4, s[0:1]
	s_waitcnt lgkmcnt(0)
	v_add_f64 v[1:2], v[1:2], v[7:8]
	v_add_lshl_u32 v11, v5, v13, 2
	v_cmp_gt_u32_e64 s[0:1], 62, v15
	ds_bpermute_b32 v5, v11, v3
	ds_bpermute_b32 v6, v11, v4
	;; [unrolled: 1-line block ×4, first 2 shown]
	s_waitcnt lgkmcnt(2)
	v_add_f64 v[3:4], v[3:4], v[5:6]
	s_waitcnt lgkmcnt(0)
	v_add_f64 v[5:6], v[1:2], v[7:8]
	v_cndmask_b32_e64 v1, 0, 2, s[0:1]
	v_add_lshl_u32 v12, v1, v13, 2
	v_cmp_ne_u32_e64 s[0:1], 63, v15
	ds_bpermute_b32 v1, v12, v3
	ds_bpermute_b32 v2, v12, v4
	;; [unrolled: 1-line block ×4, first 2 shown]
	s_waitcnt lgkmcnt(2)
	v_add_f64 v[1:2], v[3:4], v[1:2]
	s_waitcnt lgkmcnt(0)
	v_add_f64 v[3:4], v[5:6], v[7:8]
	v_addc_co_u32_e64 v5, s[0:1], 0, v13, s[0:1]
	v_lshlrev_b32_e32 v13, 2, v5
	v_cmp_eq_u32_e64 s[0:1], 0, v14
	ds_bpermute_b32 v5, v13, v1
	ds_bpermute_b32 v6, v13, v2
	;; [unrolled: 1-line block ×4, first 2 shown]
	s_and_saveexec_b64 s[2:3], s[0:1]
	s_cbranch_execz .LBB49_10
; %bb.9:
	s_waitcnt lgkmcnt(0)
	v_add_f64 v[3:4], v[3:4], v[7:8]
	v_add_f64 v[1:2], v[1:2], v[5:6]
	v_lshrrev_b32_e32 v5, 2, v0
	v_and_b32_e32 v5, 0xf0, v5
	ds_write_b128 v5, v[1:4]
.LBB49_10:
	s_or_b64 exec, exec, s[2:3]
	v_mov_b32_e32 v3, 0
	v_mov_b32_e32 v1, 0
	;; [unrolled: 1-line block ×4, first 2 shown]
	v_cmp_gt_u32_e64 s[0:1], 16, v0
	s_waitcnt lgkmcnt(0)
	s_barrier
	s_and_saveexec_b64 s[2:3], s[0:1]
	s_cbranch_execnz .LBB49_14
; %bb.11:
	s_or_b64 exec, exec, s[2:3]
	s_and_saveexec_b64 s[0:1], vcc
	s_cbranch_execnz .LBB49_15
.LBB49_12:
	s_or_b64 exec, exec, s[0:1]
	v_cmp_eq_u32_e32 vcc, 0, v0
	s_and_saveexec_b64 s[0:1], vcc
	s_cbranch_execnz .LBB49_16
.LBB49_13:
	s_endpgm
.LBB49_14:
	ds_read_b128 v[1:4], v9
	s_or_b64 exec, exec, s[2:3]
	s_and_saveexec_b64 s[0:1], vcc
	s_cbranch_execz .LBB49_12
.LBB49_15:
	s_waitcnt lgkmcnt(0)
	ds_bpermute_b32 v5, v10, v1
	ds_bpermute_b32 v6, v10, v2
	ds_bpermute_b32 v7, v10, v3
	ds_bpermute_b32 v8, v10, v4
	s_waitcnt lgkmcnt(2)
	v_add_f64 v[1:2], v[1:2], v[5:6]
	s_waitcnt lgkmcnt(0)
	v_add_f64 v[3:4], v[3:4], v[7:8]
	ds_bpermute_b32 v5, v11, v1
	ds_bpermute_b32 v6, v11, v2
	ds_bpermute_b32 v7, v11, v3
	ds_bpermute_b32 v8, v11, v4
	s_waitcnt lgkmcnt(2)
	v_add_f64 v[1:2], v[1:2], v[5:6]
	s_waitcnt lgkmcnt(0)
	v_add_f64 v[3:4], v[3:4], v[7:8]
	;; [unrolled: 8-line block ×4, first 2 shown]
	s_or_b64 exec, exec, s[0:1]
	v_cmp_eq_u32_e32 vcc, 0, v0
	s_and_saveexec_b64 s[0:1], vcc
	s_cbranch_execz .LBB49_13
.LBB49_16:
	s_lshl_b64 s[0:1], s[6:7], 4
	s_add_u32 s0, s10, s0
	s_addc_u32 s1, s11, s1
	v_mov_b32_e32 v0, 0
	s_waitcnt lgkmcnt(0)
	global_store_dwordx4 v0, v[1:4], s[0:1]
	s_endpgm
	.section	.rodata,"a",@progbits
	.p2align	6, 0x0
	.amdhsa_kernel _ZL30rocblas_reduction_kernel_part2ILi1024ELi4E25rocblas_finalize_identity19rocblas_complex_numIdES2_EviPT2_PT3_
		.amdhsa_group_segment_fixed_size 1024
		.amdhsa_private_segment_fixed_size 0
		.amdhsa_kernarg_size 24
		.amdhsa_user_sgpr_count 6
		.amdhsa_user_sgpr_private_segment_buffer 1
		.amdhsa_user_sgpr_dispatch_ptr 0
		.amdhsa_user_sgpr_queue_ptr 0
		.amdhsa_user_sgpr_kernarg_segment_ptr 1
		.amdhsa_user_sgpr_dispatch_id 0
		.amdhsa_user_sgpr_flat_scratch_init 0
		.amdhsa_user_sgpr_private_segment_size 0
		.amdhsa_uses_dynamic_stack 0
		.amdhsa_system_sgpr_private_segment_wavefront_offset 0
		.amdhsa_system_sgpr_workgroup_id_x 1
		.amdhsa_system_sgpr_workgroup_id_y 0
		.amdhsa_system_sgpr_workgroup_id_z 0
		.amdhsa_system_sgpr_workgroup_info 0
		.amdhsa_system_vgpr_workitem_id 0
		.amdhsa_next_free_vgpr 20
		.amdhsa_next_free_sgpr 16
		.amdhsa_reserve_vcc 1
		.amdhsa_reserve_flat_scratch 0
		.amdhsa_float_round_mode_32 0
		.amdhsa_float_round_mode_16_64 0
		.amdhsa_float_denorm_mode_32 3
		.amdhsa_float_denorm_mode_16_64 3
		.amdhsa_dx10_clamp 1
		.amdhsa_ieee_mode 1
		.amdhsa_fp16_overflow 0
		.amdhsa_exception_fp_ieee_invalid_op 0
		.amdhsa_exception_fp_denorm_src 0
		.amdhsa_exception_fp_ieee_div_zero 0
		.amdhsa_exception_fp_ieee_overflow 0
		.amdhsa_exception_fp_ieee_underflow 0
		.amdhsa_exception_fp_ieee_inexact 0
		.amdhsa_exception_int_div_zero 0
	.end_amdhsa_kernel
	.section	.text._ZL30rocblas_reduction_kernel_part2ILi1024ELi4E25rocblas_finalize_identity19rocblas_complex_numIdES2_EviPT2_PT3_,"axG",@progbits,_ZL30rocblas_reduction_kernel_part2ILi1024ELi4E25rocblas_finalize_identity19rocblas_complex_numIdES2_EviPT2_PT3_,comdat
.Lfunc_end49:
	.size	_ZL30rocblas_reduction_kernel_part2ILi1024ELi4E25rocblas_finalize_identity19rocblas_complex_numIdES2_EviPT2_PT3_, .Lfunc_end49-_ZL30rocblas_reduction_kernel_part2ILi1024ELi4E25rocblas_finalize_identity19rocblas_complex_numIdES2_EviPT2_PT3_
                                        ; -- End function
	.set _ZL30rocblas_reduction_kernel_part2ILi1024ELi4E25rocblas_finalize_identity19rocblas_complex_numIdES2_EviPT2_PT3_.num_vgpr, 20
	.set _ZL30rocblas_reduction_kernel_part2ILi1024ELi4E25rocblas_finalize_identity19rocblas_complex_numIdES2_EviPT2_PT3_.num_agpr, 0
	.set _ZL30rocblas_reduction_kernel_part2ILi1024ELi4E25rocblas_finalize_identity19rocblas_complex_numIdES2_EviPT2_PT3_.numbered_sgpr, 16
	.set _ZL30rocblas_reduction_kernel_part2ILi1024ELi4E25rocblas_finalize_identity19rocblas_complex_numIdES2_EviPT2_PT3_.num_named_barrier, 0
	.set _ZL30rocblas_reduction_kernel_part2ILi1024ELi4E25rocblas_finalize_identity19rocblas_complex_numIdES2_EviPT2_PT3_.private_seg_size, 0
	.set _ZL30rocblas_reduction_kernel_part2ILi1024ELi4E25rocblas_finalize_identity19rocblas_complex_numIdES2_EviPT2_PT3_.uses_vcc, 1
	.set _ZL30rocblas_reduction_kernel_part2ILi1024ELi4E25rocblas_finalize_identity19rocblas_complex_numIdES2_EviPT2_PT3_.uses_flat_scratch, 0
	.set _ZL30rocblas_reduction_kernel_part2ILi1024ELi4E25rocblas_finalize_identity19rocblas_complex_numIdES2_EviPT2_PT3_.has_dyn_sized_stack, 0
	.set _ZL30rocblas_reduction_kernel_part2ILi1024ELi4E25rocblas_finalize_identity19rocblas_complex_numIdES2_EviPT2_PT3_.has_recursion, 0
	.set _ZL30rocblas_reduction_kernel_part2ILi1024ELi4E25rocblas_finalize_identity19rocblas_complex_numIdES2_EviPT2_PT3_.has_indirect_call, 0
	.section	.AMDGPU.csdata,"",@progbits
; Kernel info:
; codeLenInByte = 1336
; TotalNumSgprs: 20
; NumVgprs: 20
; ScratchSize: 0
; MemoryBound: 1
; FloatMode: 240
; IeeeMode: 1
; LDSByteSize: 1024 bytes/workgroup (compile time only)
; SGPRBlocks: 2
; VGPRBlocks: 4
; NumSGPRsForWavesPerEU: 20
; NumVGPRsForWavesPerEU: 20
; Occupancy: 10
; WaveLimiterHint : 0
; COMPUTE_PGM_RSRC2:SCRATCH_EN: 0
; COMPUTE_PGM_RSRC2:USER_SGPR: 6
; COMPUTE_PGM_RSRC2:TRAP_HANDLER: 0
; COMPUTE_PGM_RSRC2:TGID_X_EN: 1
; COMPUTE_PGM_RSRC2:TGID_Y_EN: 0
; COMPUTE_PGM_RSRC2:TGID_Z_EN: 0
; COMPUTE_PGM_RSRC2:TIDIG_COMP_CNT: 0
	.section	.text._ZL23rocblas_dot_kernel_inc1ILb0ELi512ELi2ELb0E19rocblas_complex_numIdEPKS1_S1_EviT4_llS4_lliPT5_PT3_,"axG",@progbits,_ZL23rocblas_dot_kernel_inc1ILb0ELi512ELi2ELb0E19rocblas_complex_numIdEPKS1_S1_EviT4_llS4_lliPT5_PT3_,comdat
	.globl	_ZL23rocblas_dot_kernel_inc1ILb0ELi512ELi2ELb0E19rocblas_complex_numIdEPKS1_S1_EviT4_llS4_lliPT5_PT3_ ; -- Begin function _ZL23rocblas_dot_kernel_inc1ILb0ELi512ELi2ELb0E19rocblas_complex_numIdEPKS1_S1_EviT4_llS4_lliPT5_PT3_
	.p2align	8
	.type	_ZL23rocblas_dot_kernel_inc1ILb0ELi512ELi2ELb0E19rocblas_complex_numIdEPKS1_S1_EviT4_llS4_lliPT5_PT3_,@function
_ZL23rocblas_dot_kernel_inc1ILb0ELi512ELi2ELb0E19rocblas_complex_numIdEPKS1_S1_EviT4_llS4_lliPT5_PT3_: ; @_ZL23rocblas_dot_kernel_inc1ILb0ELi512ELi2ELb0E19rocblas_complex_numIdEPKS1_S1_EviT4_llS4_lliPT5_PT3_
; %bb.0:
	s_mov_b32 s2, s7
	s_load_dword s7, s[4:5], 0x0
	s_load_dword s10, s[4:5], 0x50
	v_lshl_or_b32 v5, s6, 9, v0
	v_mov_b32_e32 v1, 0
	v_mov_b32_e32 v3, 0
	s_mov_b32 s3, 0
	v_mov_b32_e32 v2, 0
	v_mov_b32_e32 v4, 0
	s_waitcnt lgkmcnt(0)
	v_cmp_gt_i32_e32 vcc, s7, v5
	s_and_saveexec_b64 s[0:1], vcc
	s_cbranch_execz .LBB50_4
; %bb.1:
	s_load_dwordx4 s[12:15], s[4:5], 0x10
	s_load_dwordx2 s[8:9], s[4:5], 0x8
	s_load_dwordx2 s[20:21], s[4:5], 0x20
	s_load_dwordx4 s[16:19], s[4:5], 0x28
	v_ashrrev_i32_e32 v6, 31, v5
	s_waitcnt lgkmcnt(0)
	s_mul_i32 s11, s15, s2
	s_mul_hi_u32 s15, s14, s2
	s_add_i32 s15, s15, s11
	s_mul_i32 s14, s14, s2
	s_lshl_b64 s[14:15], s[14:15], 4
	s_add_u32 s11, s8, s14
	s_addc_u32 s14, s9, s15
	s_lshl_b64 s[8:9], s[12:13], 4
	s_add_u32 s11, s11, s8
	s_addc_u32 s12, s14, s9
	s_mul_i32 s8, s19, s2
	s_mul_hi_u32 s9, s18, s2
	s_add_i32 s9, s9, s8
	s_mul_i32 s8, s18, s2
	s_lshl_b64 s[8:9], s[8:9], 4
	s_add_u32 s13, s20, s8
	s_addc_u32 s14, s21, s9
	s_lshl_b64 s[8:9], s[16:17], 4
	s_add_u32 s13, s13, s8
	v_lshlrev_b64 v[1:2], 4, v[5:6]
	s_addc_u32 s14, s14, s9
	v_mov_b32_e32 v3, s14
	v_add_co_u32_e32 v9, vcc, s13, v1
	v_addc_co_u32_e32 v10, vcc, v3, v2, vcc
	v_mov_b32_e32 v3, s12
	v_add_co_u32_e32 v11, vcc, s11, v1
	v_addc_co_u32_e32 v12, vcc, v3, v2, vcc
	global_load_dwordx4 v[1:4], v[11:12], off
	global_load_dwordx4 v[5:8], v[9:10], off
	s_add_i32 s8, s6, s10
	s_waitcnt vmcnt(0)
	v_mul_f64 v[9:10], v[7:8], v[3:4]
	v_mul_f64 v[3:4], v[5:6], v[3:4]
	v_fma_f64 v[5:6], v[5:6], v[1:2], -v[9:10]
	v_fma_f64 v[3:4], v[7:8], v[1:2], v[3:4]
	v_add_f64 v[1:2], v[5:6], 0
	v_add_f64 v[3:4], v[3:4], 0
	v_lshl_or_b32 v5, s8, 9, v0
	v_cmp_gt_i32_e32 vcc, s7, v5
	s_and_saveexec_b64 s[8:9], vcc
	s_cbranch_execz .LBB50_3
; %bb.2:
	v_ashrrev_i32_e32 v6, 31, v5
	v_lshlrev_b64 v[9:10], 4, v[5:6]
	v_mov_b32_e32 v6, s14
	v_add_co_u32_e32 v5, vcc, s13, v9
	v_addc_co_u32_e32 v6, vcc, v6, v10, vcc
	v_mov_b32_e32 v11, s12
	v_add_co_u32_e32 v9, vcc, s11, v9
	v_addc_co_u32_e32 v10, vcc, v11, v10, vcc
	global_load_dwordx4 v[5:8], v[5:6], off
	s_nop 0
	global_load_dwordx4 v[9:12], v[9:10], off
	s_waitcnt vmcnt(0)
	v_mul_f64 v[13:14], v[5:6], v[11:12]
	v_mul_f64 v[11:12], v[7:8], v[11:12]
	v_fma_f64 v[7:8], v[7:8], v[9:10], v[13:14]
	v_fma_f64 v[5:6], v[5:6], v[9:10], -v[11:12]
	v_add_f64 v[3:4], v[3:4], v[7:8]
	v_add_f64 v[1:2], v[1:2], v[5:6]
.LBB50_3:
	s_or_b64 exec, exec, s[8:9]
.LBB50_4:
	s_or_b64 exec, exec, s[0:1]
	v_and_b32_e32 v10, 63, v0
	v_cmp_gt_u32_e32 vcc, 64, v0
	v_lshlrev_b32_e32 v9, 4, v10
	s_and_saveexec_b64 s[0:1], vcc
; %bb.5:
	v_mov_b32_e32 v5, 0
	v_mov_b32_e32 v6, v5
	;; [unrolled: 1-line block ×4, first 2 shown]
	ds_write_b128 v9, v[5:8]
; %bb.6:
	s_or_b64 exec, exec, s[0:1]
	v_mbcnt_lo_u32_b32 v5, -1, 0
	v_mbcnt_hi_u32_b32 v13, -1, v5
	v_mov_b32_e32 v5, 0x80
	v_lshl_or_b32 v8, v13, 2, v5
	ds_bpermute_b32 v5, v8, v1
	ds_bpermute_b32 v6, v8, v2
	;; [unrolled: 1-line block ×4, first 2 shown]
	v_and_b32_e32 v14, 63, v13
	v_cmp_gt_u32_e64 s[0:1], 48, v14
	s_waitcnt lgkmcnt(2)
	v_add_f64 v[1:2], v[1:2], v[5:6]
	v_cndmask_b32_e64 v5, 0, 16, s[0:1]
	s_waitcnt lgkmcnt(0)
	v_add_f64 v[3:4], v[3:4], v[7:8]
	v_add_lshl_u32 v8, v5, v13, 2
	v_cmp_gt_u32_e64 s[0:1], 56, v14
	s_barrier
	ds_bpermute_b32 v5, v8, v1
	ds_bpermute_b32 v6, v8, v2
	ds_bpermute_b32 v7, v8, v3
	ds_bpermute_b32 v8, v8, v4
	s_waitcnt lgkmcnt(2)
	v_add_f64 v[1:2], v[1:2], v[5:6]
	v_cndmask_b32_e64 v5, 0, 8, s[0:1]
	s_waitcnt lgkmcnt(0)
	v_add_f64 v[3:4], v[3:4], v[7:8]
	v_add_lshl_u32 v8, v5, v13, 2
	v_cmp_gt_u32_e64 s[0:1], 60, v14
	ds_bpermute_b32 v5, v8, v1
	ds_bpermute_b32 v6, v8, v2
	;; [unrolled: 1-line block ×4, first 2 shown]
	s_waitcnt lgkmcnt(2)
	v_add_f64 v[1:2], v[1:2], v[5:6]
	v_cndmask_b32_e64 v5, 0, 4, s[0:1]
	s_waitcnt lgkmcnt(0)
	v_add_f64 v[3:4], v[3:4], v[7:8]
	v_add_lshl_u32 v11, v5, v13, 2
	v_cmp_gt_u32_e64 s[0:1], 62, v14
	ds_bpermute_b32 v5, v11, v1
	ds_bpermute_b32 v6, v11, v2
	;; [unrolled: 1-line block ×4, first 2 shown]
	s_waitcnt lgkmcnt(2)
	v_add_f64 v[1:2], v[1:2], v[5:6]
	v_cndmask_b32_e64 v5, 0, 2, s[0:1]
	s_waitcnt lgkmcnt(0)
	v_add_f64 v[3:4], v[3:4], v[7:8]
	v_add_lshl_u32 v12, v5, v13, 2
	v_cmp_ne_u32_e64 s[0:1], 63, v14
	ds_bpermute_b32 v5, v12, v1
	ds_bpermute_b32 v6, v12, v2
	;; [unrolled: 1-line block ×4, first 2 shown]
	s_waitcnt lgkmcnt(2)
	v_add_f64 v[1:2], v[1:2], v[5:6]
	v_addc_co_u32_e64 v5, s[0:1], 0, v13, s[0:1]
	s_waitcnt lgkmcnt(0)
	v_add_f64 v[3:4], v[3:4], v[7:8]
	v_lshlrev_b32_e32 v13, 2, v5
	v_cmp_eq_u32_e64 s[0:1], 0, v10
	ds_bpermute_b32 v5, v13, v1
	ds_bpermute_b32 v6, v13, v2
	;; [unrolled: 1-line block ×4, first 2 shown]
	s_and_saveexec_b64 s[8:9], s[0:1]
	s_cbranch_execz .LBB50_8
; %bb.7:
	s_waitcnt lgkmcnt(0)
	v_add_f64 v[3:4], v[3:4], v[7:8]
	v_add_f64 v[1:2], v[1:2], v[5:6]
	v_lshrrev_b32_e32 v5, 2, v0
	v_and_b32_e32 v5, 0x70, v5
	ds_write_b128 v5, v[1:4]
.LBB50_8:
	s_or_b64 exec, exec, s[8:9]
	v_mov_b32_e32 v3, 0
	v_mov_b32_e32 v1, 0
	;; [unrolled: 1-line block ×4, first 2 shown]
	v_cmp_gt_u32_e64 s[0:1], 8, v0
	s_waitcnt lgkmcnt(0)
	s_barrier
	s_and_saveexec_b64 s[8:9], s[0:1]
	s_cbranch_execnz .LBB50_12
; %bb.9:
	s_or_b64 exec, exec, s[8:9]
	s_and_saveexec_b64 s[0:1], vcc
	s_cbranch_execnz .LBB50_13
.LBB50_10:
	s_or_b64 exec, exec, s[0:1]
	v_cmp_eq_u32_e32 vcc, 0, v0
	s_and_saveexec_b64 s[0:1], vcc
	s_cbranch_execnz .LBB50_14
.LBB50_11:
	s_endpgm
.LBB50_12:
	ds_read_b128 v[1:4], v9
	s_or_b64 exec, exec, s[8:9]
	s_and_saveexec_b64 s[0:1], vcc
	s_cbranch_execz .LBB50_10
.LBB50_13:
	s_waitcnt lgkmcnt(0)
	ds_bpermute_b32 v5, v11, v1
	ds_bpermute_b32 v6, v11, v2
	ds_bpermute_b32 v7, v11, v3
	ds_bpermute_b32 v8, v11, v4
	s_waitcnt lgkmcnt(2)
	v_add_f64 v[1:2], v[1:2], v[5:6]
	s_waitcnt lgkmcnt(0)
	v_add_f64 v[3:4], v[3:4], v[7:8]
	ds_bpermute_b32 v5, v12, v1
	ds_bpermute_b32 v6, v12, v2
	ds_bpermute_b32 v7, v12, v3
	ds_bpermute_b32 v8, v12, v4
	s_waitcnt lgkmcnt(2)
	v_add_f64 v[1:2], v[1:2], v[5:6]
	s_waitcnt lgkmcnt(0)
	v_add_f64 v[3:4], v[3:4], v[7:8]
	;; [unrolled: 8-line block ×3, first 2 shown]
	s_or_b64 exec, exec, s[0:1]
	v_cmp_eq_u32_e32 vcc, 0, v0
	s_and_saveexec_b64 s[0:1], vcc
	s_cbranch_execz .LBB50_11
.LBB50_14:
	s_cmp_lg_u32 s10, 1
	s_cbranch_scc0 .LBB50_16
; %bb.15:
	s_load_dwordx2 s[0:1], s[4:5], 0x40
	s_mul_hi_u32 s9, s10, s2
	s_mul_i32 s8, s10, s2
	s_lshl_b64 s[8:9], s[8:9], 4
	s_mov_b32 s7, 0
	s_waitcnt lgkmcnt(0)
	s_add_u32 s8, s0, s8
	s_addc_u32 s9, s1, s9
	s_lshl_b64 s[0:1], s[6:7], 4
	s_add_u32 s0, s8, s0
	s_addc_u32 s1, s9, s1
	v_mov_b32_e32 v0, 0
	global_store_dwordx2 v0, v[1:2], s[0:1]
	s_cbranch_execz .LBB50_17
	s_branch .LBB50_18
.LBB50_16:
                                        ; implicit-def: $sgpr0_sgpr1
.LBB50_17:
	s_load_dwordx2 s[0:1], s[4:5], 0x48
	s_lshl_b64 s[2:3], s[2:3], 4
	v_mov_b32_e32 v0, 0
	s_waitcnt lgkmcnt(0)
	s_add_u32 s0, s0, s2
	s_addc_u32 s1, s1, s3
	global_store_dwordx2 v0, v[1:2], s[0:1]
.LBB50_18:
	v_mov_b32_e32 v0, 0
	s_waitcnt lgkmcnt(0)
	global_store_dwordx2 v0, v[3:4], s[0:1] offset:8
	s_endpgm
	.section	.rodata,"a",@progbits
	.p2align	6, 0x0
	.amdhsa_kernel _ZL23rocblas_dot_kernel_inc1ILb0ELi512ELi2ELb0E19rocblas_complex_numIdEPKS1_S1_EviT4_llS4_lliPT5_PT3_
		.amdhsa_group_segment_fixed_size 1024
		.amdhsa_private_segment_fixed_size 0
		.amdhsa_kernarg_size 336
		.amdhsa_user_sgpr_count 6
		.amdhsa_user_sgpr_private_segment_buffer 1
		.amdhsa_user_sgpr_dispatch_ptr 0
		.amdhsa_user_sgpr_queue_ptr 0
		.amdhsa_user_sgpr_kernarg_segment_ptr 1
		.amdhsa_user_sgpr_dispatch_id 0
		.amdhsa_user_sgpr_flat_scratch_init 0
		.amdhsa_user_sgpr_private_segment_size 0
		.amdhsa_uses_dynamic_stack 0
		.amdhsa_system_sgpr_private_segment_wavefront_offset 0
		.amdhsa_system_sgpr_workgroup_id_x 1
		.amdhsa_system_sgpr_workgroup_id_y 0
		.amdhsa_system_sgpr_workgroup_id_z 1
		.amdhsa_system_sgpr_workgroup_info 0
		.amdhsa_system_vgpr_workitem_id 0
		.amdhsa_next_free_vgpr 15
		.amdhsa_next_free_sgpr 22
		.amdhsa_reserve_vcc 1
		.amdhsa_reserve_flat_scratch 0
		.amdhsa_float_round_mode_32 0
		.amdhsa_float_round_mode_16_64 0
		.amdhsa_float_denorm_mode_32 3
		.amdhsa_float_denorm_mode_16_64 3
		.amdhsa_dx10_clamp 1
		.amdhsa_ieee_mode 1
		.amdhsa_fp16_overflow 0
		.amdhsa_exception_fp_ieee_invalid_op 0
		.amdhsa_exception_fp_denorm_src 0
		.amdhsa_exception_fp_ieee_div_zero 0
		.amdhsa_exception_fp_ieee_overflow 0
		.amdhsa_exception_fp_ieee_underflow 0
		.amdhsa_exception_fp_ieee_inexact 0
		.amdhsa_exception_int_div_zero 0
	.end_amdhsa_kernel
	.section	.text._ZL23rocblas_dot_kernel_inc1ILb0ELi512ELi2ELb0E19rocblas_complex_numIdEPKS1_S1_EviT4_llS4_lliPT5_PT3_,"axG",@progbits,_ZL23rocblas_dot_kernel_inc1ILb0ELi512ELi2ELb0E19rocblas_complex_numIdEPKS1_S1_EviT4_llS4_lliPT5_PT3_,comdat
.Lfunc_end50:
	.size	_ZL23rocblas_dot_kernel_inc1ILb0ELi512ELi2ELb0E19rocblas_complex_numIdEPKS1_S1_EviT4_llS4_lliPT5_PT3_, .Lfunc_end50-_ZL23rocblas_dot_kernel_inc1ILb0ELi512ELi2ELb0E19rocblas_complex_numIdEPKS1_S1_EviT4_llS4_lliPT5_PT3_
                                        ; -- End function
	.set _ZL23rocblas_dot_kernel_inc1ILb0ELi512ELi2ELb0E19rocblas_complex_numIdEPKS1_S1_EviT4_llS4_lliPT5_PT3_.num_vgpr, 15
	.set _ZL23rocblas_dot_kernel_inc1ILb0ELi512ELi2ELb0E19rocblas_complex_numIdEPKS1_S1_EviT4_llS4_lliPT5_PT3_.num_agpr, 0
	.set _ZL23rocblas_dot_kernel_inc1ILb0ELi512ELi2ELb0E19rocblas_complex_numIdEPKS1_S1_EviT4_llS4_lliPT5_PT3_.numbered_sgpr, 22
	.set _ZL23rocblas_dot_kernel_inc1ILb0ELi512ELi2ELb0E19rocblas_complex_numIdEPKS1_S1_EviT4_llS4_lliPT5_PT3_.num_named_barrier, 0
	.set _ZL23rocblas_dot_kernel_inc1ILb0ELi512ELi2ELb0E19rocblas_complex_numIdEPKS1_S1_EviT4_llS4_lliPT5_PT3_.private_seg_size, 0
	.set _ZL23rocblas_dot_kernel_inc1ILb0ELi512ELi2ELb0E19rocblas_complex_numIdEPKS1_S1_EviT4_llS4_lliPT5_PT3_.uses_vcc, 1
	.set _ZL23rocblas_dot_kernel_inc1ILb0ELi512ELi2ELb0E19rocblas_complex_numIdEPKS1_S1_EviT4_llS4_lliPT5_PT3_.uses_flat_scratch, 0
	.set _ZL23rocblas_dot_kernel_inc1ILb0ELi512ELi2ELb0E19rocblas_complex_numIdEPKS1_S1_EviT4_llS4_lliPT5_PT3_.has_dyn_sized_stack, 0
	.set _ZL23rocblas_dot_kernel_inc1ILb0ELi512ELi2ELb0E19rocblas_complex_numIdEPKS1_S1_EviT4_llS4_lliPT5_PT3_.has_recursion, 0
	.set _ZL23rocblas_dot_kernel_inc1ILb0ELi512ELi2ELb0E19rocblas_complex_numIdEPKS1_S1_EviT4_llS4_lliPT5_PT3_.has_indirect_call, 0
	.section	.AMDGPU.csdata,"",@progbits
; Kernel info:
; codeLenInByte = 1408
; TotalNumSgprs: 26
; NumVgprs: 15
; ScratchSize: 0
; MemoryBound: 0
; FloatMode: 240
; IeeeMode: 1
; LDSByteSize: 1024 bytes/workgroup (compile time only)
; SGPRBlocks: 3
; VGPRBlocks: 3
; NumSGPRsForWavesPerEU: 26
; NumVGPRsForWavesPerEU: 15
; Occupancy: 10
; WaveLimiterHint : 0
; COMPUTE_PGM_RSRC2:SCRATCH_EN: 0
; COMPUTE_PGM_RSRC2:USER_SGPR: 6
; COMPUTE_PGM_RSRC2:TRAP_HANDLER: 0
; COMPUTE_PGM_RSRC2:TGID_X_EN: 1
; COMPUTE_PGM_RSRC2:TGID_Y_EN: 0
; COMPUTE_PGM_RSRC2:TGID_Z_EN: 1
; COMPUTE_PGM_RSRC2:TIDIG_COMP_CNT: 0
	.section	.text._ZL18rocblas_dot_kernelIiLb0ELi512ELi2ELb0E19rocblas_complex_numIdEPKS1_S1_EviT5_lT_lS4_lS5_liPT6_PT4_,"axG",@progbits,_ZL18rocblas_dot_kernelIiLb0ELi512ELi2ELb0E19rocblas_complex_numIdEPKS1_S1_EviT5_lT_lS4_lS5_liPT6_PT4_,comdat
	.globl	_ZL18rocblas_dot_kernelIiLb0ELi512ELi2ELb0E19rocblas_complex_numIdEPKS1_S1_EviT5_lT_lS4_lS5_liPT6_PT4_ ; -- Begin function _ZL18rocblas_dot_kernelIiLb0ELi512ELi2ELb0E19rocblas_complex_numIdEPKS1_S1_EviT5_lT_lS4_lS5_liPT6_PT4_
	.p2align	8
	.type	_ZL18rocblas_dot_kernelIiLb0ELi512ELi2ELb0E19rocblas_complex_numIdEPKS1_S1_EviT5_lT_lS4_lS5_liPT6_PT4_,@function
_ZL18rocblas_dot_kernelIiLb0ELi512ELi2ELb0E19rocblas_complex_numIdEPKS1_S1_EviT5_lT_lS4_lS5_liPT6_PT4_: ; @_ZL18rocblas_dot_kernelIiLb0ELi512ELi2ELb0E19rocblas_complex_numIdEPKS1_S1_EviT5_lT_lS4_lS5_liPT6_PT4_
; %bb.0:
	s_load_dword s8, s[4:5], 0x0
	s_load_dword s10, s[4:5], 0x60
	v_lshl_or_b32 v5, s6, 9, v0
	v_mov_b32_e32 v1, 0
	v_mov_b32_e32 v3, 0
	s_mov_b32 s2, s7
	s_mov_b32 s3, 0
	v_mov_b32_e32 v2, 0
	v_mov_b32_e32 v4, 0
	s_waitcnt lgkmcnt(0)
	v_cmp_gt_i32_e32 vcc, s8, v5
	s_and_saveexec_b64 s[0:1], vcc
	s_cbranch_execz .LBB51_4
; %bb.1:
	s_load_dwordx4 s[16:19], s[4:5], 0x20
	s_load_dwordx4 s[20:23], s[4:5], 0x8
	s_load_dword s7, s[4:5], 0x18
	s_load_dwordx2 s[14:15], s[4:5], 0x30
	s_load_dword s13, s[4:5], 0x38
	s_load_dwordx2 s[24:25], s[4:5], 0x40
	s_waitcnt lgkmcnt(0)
	s_mul_i32 s9, s17, s2
	s_mul_hi_u32 s11, s16, s2
	s_add_i32 s17, s11, s9
	s_mul_i32 s16, s16, s2
	s_lshl_b64 s[16:17], s[16:17], 4
	s_add_u32 s9, s20, s16
	s_addc_u32 s12, s21, s17
	s_lshl_b64 s[16:17], s[22:23], 4
	s_add_u32 s11, s9, s16
	s_mul_i32 s9, s25, s2
	s_mul_hi_u32 s16, s24, s2
	s_addc_u32 s12, s12, s17
	s_add_i32 s17, s16, s9
	s_mul_i32 s16, s24, s2
	s_lshl_b64 s[16:17], s[16:17], 4
	s_add_u32 s9, s18, s16
	s_addc_u32 s18, s19, s17
	v_mad_i64_i32 v[1:2], s[16:17], v5, s13, 0
	s_lshl_b64 s[14:15], s[14:15], 4
	v_mad_i64_i32 v[3:4], s[16:17], v5, s7, 0
	s_add_u32 s14, s9, s14
	v_lshlrev_b64 v[1:2], 4, v[1:2]
	s_addc_u32 s15, s18, s15
	v_mov_b32_e32 v6, s15
	v_add_co_u32_e32 v9, vcc, s14, v1
	v_addc_co_u32_e32 v10, vcc, v6, v2, vcc
	v_lshlrev_b64 v[1:2], 4, v[3:4]
	v_mov_b32_e32 v3, s12
	v_add_co_u32_e32 v11, vcc, s11, v1
	v_addc_co_u32_e32 v12, vcc, v3, v2, vcc
	global_load_dwordx4 v[1:4], v[11:12], off
	global_load_dwordx4 v[5:8], v[9:10], off
	s_add_i32 s9, s6, s10
	s_waitcnt vmcnt(0)
	v_mul_f64 v[9:10], v[7:8], v[3:4]
	v_mul_f64 v[3:4], v[5:6], v[3:4]
	v_fma_f64 v[5:6], v[5:6], v[1:2], -v[9:10]
	v_fma_f64 v[3:4], v[7:8], v[1:2], v[3:4]
	v_add_f64 v[1:2], v[5:6], 0
	v_add_f64 v[3:4], v[3:4], 0
	v_lshl_or_b32 v5, s9, 9, v0
	v_cmp_gt_i32_e32 vcc, s8, v5
	s_and_saveexec_b64 s[8:9], vcc
	s_cbranch_execz .LBB51_3
; %bb.2:
	v_mad_i64_i32 v[6:7], s[16:17], v5, s13, 0
	v_mad_i64_i32 v[9:10], s[16:17], v5, s7, 0
	v_lshlrev_b64 v[6:7], 4, v[6:7]
	v_mov_b32_e32 v8, s15
	v_add_co_u32_e32 v5, vcc, s14, v6
	v_lshlrev_b64 v[9:10], 4, v[9:10]
	v_addc_co_u32_e32 v6, vcc, v8, v7, vcc
	v_mov_b32_e32 v11, s12
	v_add_co_u32_e32 v9, vcc, s11, v9
	v_addc_co_u32_e32 v10, vcc, v11, v10, vcc
	global_load_dwordx4 v[5:8], v[5:6], off
	s_nop 0
	global_load_dwordx4 v[9:12], v[9:10], off
	s_waitcnt vmcnt(0)
	v_mul_f64 v[13:14], v[5:6], v[11:12]
	v_mul_f64 v[11:12], v[7:8], v[11:12]
	v_fma_f64 v[7:8], v[7:8], v[9:10], v[13:14]
	v_fma_f64 v[5:6], v[5:6], v[9:10], -v[11:12]
	v_add_f64 v[3:4], v[3:4], v[7:8]
	v_add_f64 v[1:2], v[1:2], v[5:6]
.LBB51_3:
	s_or_b64 exec, exec, s[8:9]
.LBB51_4:
	s_or_b64 exec, exec, s[0:1]
	v_and_b32_e32 v10, 63, v0
	v_cmp_gt_u32_e32 vcc, 64, v0
	v_lshlrev_b32_e32 v9, 4, v10
	s_and_saveexec_b64 s[0:1], vcc
; %bb.5:
	v_mov_b32_e32 v5, 0
	v_mov_b32_e32 v6, v5
	v_mov_b32_e32 v7, v5
	v_mov_b32_e32 v8, v5
	ds_write_b128 v9, v[5:8]
; %bb.6:
	s_or_b64 exec, exec, s[0:1]
	v_mbcnt_lo_u32_b32 v5, -1, 0
	v_mbcnt_hi_u32_b32 v13, -1, v5
	v_mov_b32_e32 v5, 0x80
	v_lshl_or_b32 v8, v13, 2, v5
	ds_bpermute_b32 v5, v8, v1
	ds_bpermute_b32 v6, v8, v2
	;; [unrolled: 1-line block ×4, first 2 shown]
	v_and_b32_e32 v14, 63, v13
	v_cmp_gt_u32_e64 s[0:1], 48, v14
	s_waitcnt lgkmcnt(2)
	v_add_f64 v[1:2], v[1:2], v[5:6]
	v_cndmask_b32_e64 v5, 0, 16, s[0:1]
	s_waitcnt lgkmcnt(0)
	v_add_f64 v[3:4], v[3:4], v[7:8]
	v_add_lshl_u32 v8, v5, v13, 2
	v_cmp_gt_u32_e64 s[0:1], 56, v14
	s_barrier
	ds_bpermute_b32 v5, v8, v1
	ds_bpermute_b32 v6, v8, v2
	;; [unrolled: 1-line block ×4, first 2 shown]
	s_waitcnt lgkmcnt(2)
	v_add_f64 v[1:2], v[1:2], v[5:6]
	v_cndmask_b32_e64 v5, 0, 8, s[0:1]
	s_waitcnt lgkmcnt(0)
	v_add_f64 v[3:4], v[3:4], v[7:8]
	v_add_lshl_u32 v8, v5, v13, 2
	v_cmp_gt_u32_e64 s[0:1], 60, v14
	ds_bpermute_b32 v5, v8, v1
	ds_bpermute_b32 v6, v8, v2
	;; [unrolled: 1-line block ×4, first 2 shown]
	s_waitcnt lgkmcnt(2)
	v_add_f64 v[1:2], v[1:2], v[5:6]
	v_cndmask_b32_e64 v5, 0, 4, s[0:1]
	s_waitcnt lgkmcnt(0)
	v_add_f64 v[3:4], v[3:4], v[7:8]
	v_add_lshl_u32 v11, v5, v13, 2
	v_cmp_gt_u32_e64 s[0:1], 62, v14
	ds_bpermute_b32 v5, v11, v1
	ds_bpermute_b32 v6, v11, v2
	ds_bpermute_b32 v7, v11, v3
	ds_bpermute_b32 v8, v11, v4
	s_waitcnt lgkmcnt(2)
	v_add_f64 v[1:2], v[1:2], v[5:6]
	v_cndmask_b32_e64 v5, 0, 2, s[0:1]
	s_waitcnt lgkmcnt(0)
	v_add_f64 v[3:4], v[3:4], v[7:8]
	v_add_lshl_u32 v12, v5, v13, 2
	v_cmp_ne_u32_e64 s[0:1], 63, v14
	ds_bpermute_b32 v5, v12, v1
	ds_bpermute_b32 v6, v12, v2
	;; [unrolled: 1-line block ×4, first 2 shown]
	s_waitcnt lgkmcnt(2)
	v_add_f64 v[1:2], v[1:2], v[5:6]
	v_addc_co_u32_e64 v5, s[0:1], 0, v13, s[0:1]
	s_waitcnt lgkmcnt(0)
	v_add_f64 v[3:4], v[3:4], v[7:8]
	v_lshlrev_b32_e32 v13, 2, v5
	v_cmp_eq_u32_e64 s[0:1], 0, v10
	ds_bpermute_b32 v5, v13, v1
	ds_bpermute_b32 v6, v13, v2
	;; [unrolled: 1-line block ×4, first 2 shown]
	s_and_saveexec_b64 s[8:9], s[0:1]
	s_cbranch_execz .LBB51_8
; %bb.7:
	s_waitcnt lgkmcnt(0)
	v_add_f64 v[3:4], v[3:4], v[7:8]
	v_add_f64 v[1:2], v[1:2], v[5:6]
	v_lshrrev_b32_e32 v5, 2, v0
	v_and_b32_e32 v5, 0x70, v5
	ds_write_b128 v5, v[1:4]
.LBB51_8:
	s_or_b64 exec, exec, s[8:9]
	v_mov_b32_e32 v3, 0
	v_mov_b32_e32 v1, 0
	;; [unrolled: 1-line block ×4, first 2 shown]
	v_cmp_gt_u32_e64 s[0:1], 8, v0
	s_waitcnt lgkmcnt(0)
	s_barrier
	s_and_saveexec_b64 s[8:9], s[0:1]
	s_cbranch_execnz .LBB51_12
; %bb.9:
	s_or_b64 exec, exec, s[8:9]
	s_and_saveexec_b64 s[0:1], vcc
	s_cbranch_execnz .LBB51_13
.LBB51_10:
	s_or_b64 exec, exec, s[0:1]
	v_cmp_eq_u32_e32 vcc, 0, v0
	s_and_saveexec_b64 s[0:1], vcc
	s_cbranch_execnz .LBB51_14
.LBB51_11:
	s_endpgm
.LBB51_12:
	ds_read_b128 v[1:4], v9
	s_or_b64 exec, exec, s[8:9]
	s_and_saveexec_b64 s[0:1], vcc
	s_cbranch_execz .LBB51_10
.LBB51_13:
	s_waitcnt lgkmcnt(0)
	ds_bpermute_b32 v5, v11, v1
	ds_bpermute_b32 v6, v11, v2
	ds_bpermute_b32 v7, v11, v3
	ds_bpermute_b32 v8, v11, v4
	s_waitcnt lgkmcnt(2)
	v_add_f64 v[1:2], v[1:2], v[5:6]
	s_waitcnt lgkmcnt(0)
	v_add_f64 v[3:4], v[3:4], v[7:8]
	ds_bpermute_b32 v5, v12, v1
	ds_bpermute_b32 v6, v12, v2
	ds_bpermute_b32 v7, v12, v3
	ds_bpermute_b32 v8, v12, v4
	s_waitcnt lgkmcnt(2)
	v_add_f64 v[1:2], v[1:2], v[5:6]
	s_waitcnt lgkmcnt(0)
	v_add_f64 v[3:4], v[3:4], v[7:8]
	;; [unrolled: 8-line block ×3, first 2 shown]
	s_or_b64 exec, exec, s[0:1]
	v_cmp_eq_u32_e32 vcc, 0, v0
	s_and_saveexec_b64 s[0:1], vcc
	s_cbranch_execz .LBB51_11
.LBB51_14:
	s_cmp_lg_u32 s10, 1
	s_cbranch_scc0 .LBB51_16
; %bb.15:
	s_load_dwordx2 s[0:1], s[4:5], 0x50
	s_mul_hi_u32 s9, s10, s2
	s_mul_i32 s8, s10, s2
	s_lshl_b64 s[8:9], s[8:9], 4
	s_mov_b32 s7, 0
	s_waitcnt lgkmcnt(0)
	s_add_u32 s8, s0, s8
	s_addc_u32 s9, s1, s9
	s_lshl_b64 s[0:1], s[6:7], 4
	s_add_u32 s0, s8, s0
	s_addc_u32 s1, s9, s1
	v_mov_b32_e32 v0, 0
	global_store_dwordx2 v0, v[1:2], s[0:1]
	s_cbranch_execz .LBB51_17
	s_branch .LBB51_18
.LBB51_16:
                                        ; implicit-def: $sgpr0_sgpr1
.LBB51_17:
	s_load_dwordx2 s[0:1], s[4:5], 0x58
	s_lshl_b64 s[2:3], s[2:3], 4
	v_mov_b32_e32 v0, 0
	s_waitcnt lgkmcnt(0)
	s_add_u32 s0, s0, s2
	s_addc_u32 s1, s1, s3
	global_store_dwordx2 v0, v[1:2], s[0:1]
.LBB51_18:
	v_mov_b32_e32 v0, 0
	s_waitcnt lgkmcnt(0)
	global_store_dwordx2 v0, v[3:4], s[0:1] offset:8
	s_endpgm
	.section	.rodata,"a",@progbits
	.p2align	6, 0x0
	.amdhsa_kernel _ZL18rocblas_dot_kernelIiLb0ELi512ELi2ELb0E19rocblas_complex_numIdEPKS1_S1_EviT5_lT_lS4_lS5_liPT6_PT4_
		.amdhsa_group_segment_fixed_size 1024
		.amdhsa_private_segment_fixed_size 0
		.amdhsa_kernarg_size 352
		.amdhsa_user_sgpr_count 6
		.amdhsa_user_sgpr_private_segment_buffer 1
		.amdhsa_user_sgpr_dispatch_ptr 0
		.amdhsa_user_sgpr_queue_ptr 0
		.amdhsa_user_sgpr_kernarg_segment_ptr 1
		.amdhsa_user_sgpr_dispatch_id 0
		.amdhsa_user_sgpr_flat_scratch_init 0
		.amdhsa_user_sgpr_private_segment_size 0
		.amdhsa_uses_dynamic_stack 0
		.amdhsa_system_sgpr_private_segment_wavefront_offset 0
		.amdhsa_system_sgpr_workgroup_id_x 1
		.amdhsa_system_sgpr_workgroup_id_y 0
		.amdhsa_system_sgpr_workgroup_id_z 1
		.amdhsa_system_sgpr_workgroup_info 0
		.amdhsa_system_vgpr_workitem_id 0
		.amdhsa_next_free_vgpr 15
		.amdhsa_next_free_sgpr 26
		.amdhsa_reserve_vcc 1
		.amdhsa_reserve_flat_scratch 0
		.amdhsa_float_round_mode_32 0
		.amdhsa_float_round_mode_16_64 0
		.amdhsa_float_denorm_mode_32 3
		.amdhsa_float_denorm_mode_16_64 3
		.amdhsa_dx10_clamp 1
		.amdhsa_ieee_mode 1
		.amdhsa_fp16_overflow 0
		.amdhsa_exception_fp_ieee_invalid_op 0
		.amdhsa_exception_fp_denorm_src 0
		.amdhsa_exception_fp_ieee_div_zero 0
		.amdhsa_exception_fp_ieee_overflow 0
		.amdhsa_exception_fp_ieee_underflow 0
		.amdhsa_exception_fp_ieee_inexact 0
		.amdhsa_exception_int_div_zero 0
	.end_amdhsa_kernel
	.section	.text._ZL18rocblas_dot_kernelIiLb0ELi512ELi2ELb0E19rocblas_complex_numIdEPKS1_S1_EviT5_lT_lS4_lS5_liPT6_PT4_,"axG",@progbits,_ZL18rocblas_dot_kernelIiLb0ELi512ELi2ELb0E19rocblas_complex_numIdEPKS1_S1_EviT5_lT_lS4_lS5_liPT6_PT4_,comdat
.Lfunc_end51:
	.size	_ZL18rocblas_dot_kernelIiLb0ELi512ELi2ELb0E19rocblas_complex_numIdEPKS1_S1_EviT5_lT_lS4_lS5_liPT6_PT4_, .Lfunc_end51-_ZL18rocblas_dot_kernelIiLb0ELi512ELi2ELb0E19rocblas_complex_numIdEPKS1_S1_EviT5_lT_lS4_lS5_liPT6_PT4_
                                        ; -- End function
	.set _ZL18rocblas_dot_kernelIiLb0ELi512ELi2ELb0E19rocblas_complex_numIdEPKS1_S1_EviT5_lT_lS4_lS5_liPT6_PT4_.num_vgpr, 15
	.set _ZL18rocblas_dot_kernelIiLb0ELi512ELi2ELb0E19rocblas_complex_numIdEPKS1_S1_EviT5_lT_lS4_lS5_liPT6_PT4_.num_agpr, 0
	.set _ZL18rocblas_dot_kernelIiLb0ELi512ELi2ELb0E19rocblas_complex_numIdEPKS1_S1_EviT5_lT_lS4_lS5_liPT6_PT4_.numbered_sgpr, 26
	.set _ZL18rocblas_dot_kernelIiLb0ELi512ELi2ELb0E19rocblas_complex_numIdEPKS1_S1_EviT5_lT_lS4_lS5_liPT6_PT4_.num_named_barrier, 0
	.set _ZL18rocblas_dot_kernelIiLb0ELi512ELi2ELb0E19rocblas_complex_numIdEPKS1_S1_EviT5_lT_lS4_lS5_liPT6_PT4_.private_seg_size, 0
	.set _ZL18rocblas_dot_kernelIiLb0ELi512ELi2ELb0E19rocblas_complex_numIdEPKS1_S1_EviT5_lT_lS4_lS5_liPT6_PT4_.uses_vcc, 1
	.set _ZL18rocblas_dot_kernelIiLb0ELi512ELi2ELb0E19rocblas_complex_numIdEPKS1_S1_EviT5_lT_lS4_lS5_liPT6_PT4_.uses_flat_scratch, 0
	.set _ZL18rocblas_dot_kernelIiLb0ELi512ELi2ELb0E19rocblas_complex_numIdEPKS1_S1_EviT5_lT_lS4_lS5_liPT6_PT4_.has_dyn_sized_stack, 0
	.set _ZL18rocblas_dot_kernelIiLb0ELi512ELi2ELb0E19rocblas_complex_numIdEPKS1_S1_EviT5_lT_lS4_lS5_liPT6_PT4_.has_recursion, 0
	.set _ZL18rocblas_dot_kernelIiLb0ELi512ELi2ELb0E19rocblas_complex_numIdEPKS1_S1_EviT5_lT_lS4_lS5_liPT6_PT4_.has_indirect_call, 0
	.section	.AMDGPU.csdata,"",@progbits
; Kernel info:
; codeLenInByte = 1464
; TotalNumSgprs: 30
; NumVgprs: 15
; ScratchSize: 0
; MemoryBound: 0
; FloatMode: 240
; IeeeMode: 1
; LDSByteSize: 1024 bytes/workgroup (compile time only)
; SGPRBlocks: 3
; VGPRBlocks: 3
; NumSGPRsForWavesPerEU: 30
; NumVGPRsForWavesPerEU: 15
; Occupancy: 10
; WaveLimiterHint : 0
; COMPUTE_PGM_RSRC2:SCRATCH_EN: 0
; COMPUTE_PGM_RSRC2:USER_SGPR: 6
; COMPUTE_PGM_RSRC2:TRAP_HANDLER: 0
; COMPUTE_PGM_RSRC2:TGID_X_EN: 1
; COMPUTE_PGM_RSRC2:TGID_Y_EN: 0
; COMPUTE_PGM_RSRC2:TGID_Z_EN: 1
; COMPUTE_PGM_RSRC2:TIDIG_COMP_CNT: 0
	.section	.text._ZL24rocblas_dot_kernel_magsqIiLb0ELi512ELi2ELb0E19rocblas_complex_numIdEPKS1_S1_EviT5_lT_liPT6_PT4_,"axG",@progbits,_ZL24rocblas_dot_kernel_magsqIiLb0ELi512ELi2ELb0E19rocblas_complex_numIdEPKS1_S1_EviT5_lT_liPT6_PT4_,comdat
	.globl	_ZL24rocblas_dot_kernel_magsqIiLb0ELi512ELi2ELb0E19rocblas_complex_numIdEPKS1_S1_EviT5_lT_liPT6_PT4_ ; -- Begin function _ZL24rocblas_dot_kernel_magsqIiLb0ELi512ELi2ELb0E19rocblas_complex_numIdEPKS1_S1_EviT5_lT_liPT6_PT4_
	.p2align	8
	.type	_ZL24rocblas_dot_kernel_magsqIiLb0ELi512ELi2ELb0E19rocblas_complex_numIdEPKS1_S1_EviT5_lT_liPT6_PT4_,@function
_ZL24rocblas_dot_kernel_magsqIiLb0ELi512ELi2ELb0E19rocblas_complex_numIdEPKS1_S1_EviT5_lT_liPT6_PT4_: ; @_ZL24rocblas_dot_kernel_magsqIiLb0ELi512ELi2ELb0E19rocblas_complex_numIdEPKS1_S1_EviT5_lT_liPT6_PT4_
; %bb.0:
	s_mov_b32 s2, s7
	s_load_dword s7, s[4:5], 0x0
	s_load_dword s10, s[4:5], 0x40
	v_lshl_or_b32 v5, s6, 9, v0
	v_mov_b32_e32 v1, 0
	v_mov_b32_e32 v3, 0
	s_mov_b32 s3, 0
	v_mov_b32_e32 v2, 0
	v_mov_b32_e32 v4, 0
	s_waitcnt lgkmcnt(0)
	v_cmp_gt_i32_e32 vcc, s7, v5
	s_and_saveexec_b64 s[0:1], vcc
	s_cbranch_execz .LBB52_4
; %bb.1:
	s_load_dwordx2 s[8:9], s[4:5], 0x20
	s_load_dwordx4 s[12:15], s[4:5], 0x8
	s_load_dword s11, s[4:5], 0x18
	s_waitcnt lgkmcnt(0)
	s_mul_i32 s9, s9, s2
	s_mul_hi_u32 s16, s8, s2
	s_mul_i32 s8, s8, s2
	s_add_i32 s9, s16, s9
	s_lshl_b64 s[8:9], s[8:9], 4
	s_add_u32 s12, s12, s8
	s_addc_u32 s13, s13, s9
	v_mad_i64_i32 v[1:2], s[8:9], v5, s11, 0
	s_lshl_b64 s[8:9], s[14:15], 4
	s_add_u32 s12, s12, s8
	v_lshlrev_b64 v[1:2], 4, v[1:2]
	s_addc_u32 s13, s13, s9
	v_mov_b32_e32 v3, s13
	v_add_co_u32_e32 v1, vcc, s12, v1
	v_addc_co_u32_e32 v2, vcc, v3, v2, vcc
	global_load_dwordx4 v[1:4], v[1:2], off
	s_add_i32 s8, s6, s10
	s_waitcnt vmcnt(0)
	v_mul_f64 v[5:6], v[3:4], v[3:4]
	v_mul_f64 v[3:4], v[1:2], v[3:4]
	v_fma_f64 v[1:2], v[1:2], v[1:2], -v[5:6]
	v_fma_f64 v[3:4], v[3:4], 2.0, 0
	v_lshl_or_b32 v5, s8, 9, v0
	v_cmp_gt_i32_e32 vcc, s7, v5
	s_and_saveexec_b64 s[8:9], vcc
	s_cbranch_execz .LBB52_3
; %bb.2:
	v_mad_i64_i32 v[5:6], s[14:15], v5, s11, 0
	v_mov_b32_e32 v7, s13
	v_lshlrev_b64 v[5:6], 4, v[5:6]
	v_add_co_u32_e32 v5, vcc, s12, v5
	v_addc_co_u32_e32 v6, vcc, v7, v6, vcc
	global_load_dwordx4 v[5:8], v[5:6], off
	s_waitcnt vmcnt(0)
	v_mul_f64 v[9:10], v[7:8], v[7:8]
	v_mul_f64 v[7:8], v[5:6], v[7:8]
	v_fma_f64 v[5:6], v[5:6], v[5:6], -v[9:10]
	v_fma_f64 v[3:4], v[7:8], 2.0, v[3:4]
	v_add_f64 v[1:2], v[1:2], v[5:6]
.LBB52_3:
	s_or_b64 exec, exec, s[8:9]
.LBB52_4:
	s_or_b64 exec, exec, s[0:1]
	v_and_b32_e32 v10, 63, v0
	v_cmp_gt_u32_e32 vcc, 64, v0
	v_lshlrev_b32_e32 v9, 4, v10
	s_and_saveexec_b64 s[0:1], vcc
; %bb.5:
	v_mov_b32_e32 v5, 0
	v_mov_b32_e32 v6, v5
	;; [unrolled: 1-line block ×4, first 2 shown]
	ds_write_b128 v9, v[5:8]
; %bb.6:
	s_or_b64 exec, exec, s[0:1]
	v_mbcnt_lo_u32_b32 v5, -1, 0
	v_mbcnt_hi_u32_b32 v13, -1, v5
	v_mov_b32_e32 v5, 0x80
	v_lshl_or_b32 v8, v13, 2, v5
	ds_bpermute_b32 v5, v8, v1
	ds_bpermute_b32 v6, v8, v2
	;; [unrolled: 1-line block ×4, first 2 shown]
	v_and_b32_e32 v14, 63, v13
	v_cmp_gt_u32_e64 s[0:1], 48, v14
	s_waitcnt lgkmcnt(2)
	v_add_f64 v[1:2], v[1:2], v[5:6]
	v_cndmask_b32_e64 v5, 0, 16, s[0:1]
	s_waitcnt lgkmcnt(0)
	v_add_f64 v[3:4], v[3:4], v[7:8]
	v_add_lshl_u32 v8, v5, v13, 2
	v_cmp_gt_u32_e64 s[0:1], 56, v14
	s_barrier
	ds_bpermute_b32 v5, v8, v1
	ds_bpermute_b32 v6, v8, v2
	;; [unrolled: 1-line block ×4, first 2 shown]
	s_waitcnt lgkmcnt(2)
	v_add_f64 v[1:2], v[1:2], v[5:6]
	v_cndmask_b32_e64 v5, 0, 8, s[0:1]
	s_waitcnt lgkmcnt(0)
	v_add_f64 v[3:4], v[3:4], v[7:8]
	v_add_lshl_u32 v8, v5, v13, 2
	v_cmp_gt_u32_e64 s[0:1], 60, v14
	ds_bpermute_b32 v5, v8, v1
	ds_bpermute_b32 v6, v8, v2
	;; [unrolled: 1-line block ×4, first 2 shown]
	s_waitcnt lgkmcnt(2)
	v_add_f64 v[1:2], v[1:2], v[5:6]
	v_cndmask_b32_e64 v5, 0, 4, s[0:1]
	s_waitcnt lgkmcnt(0)
	v_add_f64 v[3:4], v[3:4], v[7:8]
	v_add_lshl_u32 v11, v5, v13, 2
	v_cmp_gt_u32_e64 s[0:1], 62, v14
	ds_bpermute_b32 v5, v11, v1
	ds_bpermute_b32 v6, v11, v2
	;; [unrolled: 1-line block ×4, first 2 shown]
	s_waitcnt lgkmcnt(2)
	v_add_f64 v[1:2], v[1:2], v[5:6]
	v_cndmask_b32_e64 v5, 0, 2, s[0:1]
	s_waitcnt lgkmcnt(0)
	v_add_f64 v[3:4], v[3:4], v[7:8]
	v_add_lshl_u32 v12, v5, v13, 2
	v_cmp_ne_u32_e64 s[0:1], 63, v14
	ds_bpermute_b32 v5, v12, v1
	ds_bpermute_b32 v6, v12, v2
	;; [unrolled: 1-line block ×4, first 2 shown]
	s_waitcnt lgkmcnt(2)
	v_add_f64 v[1:2], v[1:2], v[5:6]
	v_addc_co_u32_e64 v5, s[0:1], 0, v13, s[0:1]
	s_waitcnt lgkmcnt(0)
	v_add_f64 v[3:4], v[3:4], v[7:8]
	v_lshlrev_b32_e32 v13, 2, v5
	v_cmp_eq_u32_e64 s[0:1], 0, v10
	ds_bpermute_b32 v5, v13, v1
	ds_bpermute_b32 v6, v13, v2
	;; [unrolled: 1-line block ×4, first 2 shown]
	s_and_saveexec_b64 s[8:9], s[0:1]
	s_cbranch_execz .LBB52_8
; %bb.7:
	s_waitcnt lgkmcnt(0)
	v_add_f64 v[3:4], v[3:4], v[7:8]
	v_add_f64 v[1:2], v[1:2], v[5:6]
	v_lshrrev_b32_e32 v5, 2, v0
	v_and_b32_e32 v5, 0x70, v5
	ds_write_b128 v5, v[1:4]
.LBB52_8:
	s_or_b64 exec, exec, s[8:9]
	v_mov_b32_e32 v3, 0
	v_mov_b32_e32 v1, 0
	;; [unrolled: 1-line block ×4, first 2 shown]
	v_cmp_gt_u32_e64 s[0:1], 8, v0
	s_waitcnt lgkmcnt(0)
	s_barrier
	s_and_saveexec_b64 s[8:9], s[0:1]
	s_cbranch_execnz .LBB52_12
; %bb.9:
	s_or_b64 exec, exec, s[8:9]
	s_and_saveexec_b64 s[0:1], vcc
	s_cbranch_execnz .LBB52_13
.LBB52_10:
	s_or_b64 exec, exec, s[0:1]
	v_cmp_eq_u32_e32 vcc, 0, v0
	s_and_saveexec_b64 s[0:1], vcc
	s_cbranch_execnz .LBB52_14
.LBB52_11:
	s_endpgm
.LBB52_12:
	ds_read_b128 v[1:4], v9
	s_or_b64 exec, exec, s[8:9]
	s_and_saveexec_b64 s[0:1], vcc
	s_cbranch_execz .LBB52_10
.LBB52_13:
	s_waitcnt lgkmcnt(0)
	ds_bpermute_b32 v5, v11, v1
	ds_bpermute_b32 v6, v11, v2
	ds_bpermute_b32 v7, v11, v3
	ds_bpermute_b32 v8, v11, v4
	s_waitcnt lgkmcnt(2)
	v_add_f64 v[1:2], v[1:2], v[5:6]
	s_waitcnt lgkmcnt(0)
	v_add_f64 v[3:4], v[3:4], v[7:8]
	ds_bpermute_b32 v5, v12, v1
	ds_bpermute_b32 v6, v12, v2
	ds_bpermute_b32 v7, v12, v3
	ds_bpermute_b32 v8, v12, v4
	s_waitcnt lgkmcnt(2)
	v_add_f64 v[1:2], v[1:2], v[5:6]
	s_waitcnt lgkmcnt(0)
	v_add_f64 v[3:4], v[3:4], v[7:8]
	;; [unrolled: 8-line block ×3, first 2 shown]
	s_or_b64 exec, exec, s[0:1]
	v_cmp_eq_u32_e32 vcc, 0, v0
	s_and_saveexec_b64 s[0:1], vcc
	s_cbranch_execz .LBB52_11
.LBB52_14:
	s_cmp_lg_u32 s10, 1
	s_cbranch_scc0 .LBB52_16
; %bb.15:
	s_load_dwordx2 s[0:1], s[4:5], 0x30
	s_mul_hi_u32 s9, s10, s2
	s_mul_i32 s8, s10, s2
	s_lshl_b64 s[8:9], s[8:9], 4
	s_mov_b32 s7, 0
	s_waitcnt lgkmcnt(0)
	s_add_u32 s8, s0, s8
	s_addc_u32 s9, s1, s9
	s_lshl_b64 s[0:1], s[6:7], 4
	s_add_u32 s0, s8, s0
	s_addc_u32 s1, s9, s1
	v_mov_b32_e32 v0, 0
	global_store_dwordx2 v0, v[1:2], s[0:1]
	s_cbranch_execz .LBB52_17
	s_branch .LBB52_18
.LBB52_16:
                                        ; implicit-def: $sgpr0_sgpr1
.LBB52_17:
	s_load_dwordx2 s[0:1], s[4:5], 0x38
	s_lshl_b64 s[2:3], s[2:3], 4
	v_mov_b32_e32 v0, 0
	s_waitcnt lgkmcnt(0)
	s_add_u32 s0, s0, s2
	s_addc_u32 s1, s1, s3
	global_store_dwordx2 v0, v[1:2], s[0:1]
.LBB52_18:
	v_mov_b32_e32 v0, 0
	s_waitcnt lgkmcnt(0)
	global_store_dwordx2 v0, v[3:4], s[0:1] offset:8
	s_endpgm
	.section	.rodata,"a",@progbits
	.p2align	6, 0x0
	.amdhsa_kernel _ZL24rocblas_dot_kernel_magsqIiLb0ELi512ELi2ELb0E19rocblas_complex_numIdEPKS1_S1_EviT5_lT_liPT6_PT4_
		.amdhsa_group_segment_fixed_size 1024
		.amdhsa_private_segment_fixed_size 0
		.amdhsa_kernarg_size 320
		.amdhsa_user_sgpr_count 6
		.amdhsa_user_sgpr_private_segment_buffer 1
		.amdhsa_user_sgpr_dispatch_ptr 0
		.amdhsa_user_sgpr_queue_ptr 0
		.amdhsa_user_sgpr_kernarg_segment_ptr 1
		.amdhsa_user_sgpr_dispatch_id 0
		.amdhsa_user_sgpr_flat_scratch_init 0
		.amdhsa_user_sgpr_private_segment_size 0
		.amdhsa_uses_dynamic_stack 0
		.amdhsa_system_sgpr_private_segment_wavefront_offset 0
		.amdhsa_system_sgpr_workgroup_id_x 1
		.amdhsa_system_sgpr_workgroup_id_y 0
		.amdhsa_system_sgpr_workgroup_id_z 1
		.amdhsa_system_sgpr_workgroup_info 0
		.amdhsa_system_vgpr_workitem_id 0
		.amdhsa_next_free_vgpr 15
		.amdhsa_next_free_sgpr 17
		.amdhsa_reserve_vcc 1
		.amdhsa_reserve_flat_scratch 0
		.amdhsa_float_round_mode_32 0
		.amdhsa_float_round_mode_16_64 0
		.amdhsa_float_denorm_mode_32 3
		.amdhsa_float_denorm_mode_16_64 3
		.amdhsa_dx10_clamp 1
		.amdhsa_ieee_mode 1
		.amdhsa_fp16_overflow 0
		.amdhsa_exception_fp_ieee_invalid_op 0
		.amdhsa_exception_fp_denorm_src 0
		.amdhsa_exception_fp_ieee_div_zero 0
		.amdhsa_exception_fp_ieee_overflow 0
		.amdhsa_exception_fp_ieee_underflow 0
		.amdhsa_exception_fp_ieee_inexact 0
		.amdhsa_exception_int_div_zero 0
	.end_amdhsa_kernel
	.section	.text._ZL24rocblas_dot_kernel_magsqIiLb0ELi512ELi2ELb0E19rocblas_complex_numIdEPKS1_S1_EviT5_lT_liPT6_PT4_,"axG",@progbits,_ZL24rocblas_dot_kernel_magsqIiLb0ELi512ELi2ELb0E19rocblas_complex_numIdEPKS1_S1_EviT5_lT_liPT6_PT4_,comdat
.Lfunc_end52:
	.size	_ZL24rocblas_dot_kernel_magsqIiLb0ELi512ELi2ELb0E19rocblas_complex_numIdEPKS1_S1_EviT5_lT_liPT6_PT4_, .Lfunc_end52-_ZL24rocblas_dot_kernel_magsqIiLb0ELi512ELi2ELb0E19rocblas_complex_numIdEPKS1_S1_EviT5_lT_liPT6_PT4_
                                        ; -- End function
	.set _ZL24rocblas_dot_kernel_magsqIiLb0ELi512ELi2ELb0E19rocblas_complex_numIdEPKS1_S1_EviT5_lT_liPT6_PT4_.num_vgpr, 15
	.set _ZL24rocblas_dot_kernel_magsqIiLb0ELi512ELi2ELb0E19rocblas_complex_numIdEPKS1_S1_EviT5_lT_liPT6_PT4_.num_agpr, 0
	.set _ZL24rocblas_dot_kernel_magsqIiLb0ELi512ELi2ELb0E19rocblas_complex_numIdEPKS1_S1_EviT5_lT_liPT6_PT4_.numbered_sgpr, 17
	.set _ZL24rocblas_dot_kernel_magsqIiLb0ELi512ELi2ELb0E19rocblas_complex_numIdEPKS1_S1_EviT5_lT_liPT6_PT4_.num_named_barrier, 0
	.set _ZL24rocblas_dot_kernel_magsqIiLb0ELi512ELi2ELb0E19rocblas_complex_numIdEPKS1_S1_EviT5_lT_liPT6_PT4_.private_seg_size, 0
	.set _ZL24rocblas_dot_kernel_magsqIiLb0ELi512ELi2ELb0E19rocblas_complex_numIdEPKS1_S1_EviT5_lT_liPT6_PT4_.uses_vcc, 1
	.set _ZL24rocblas_dot_kernel_magsqIiLb0ELi512ELi2ELb0E19rocblas_complex_numIdEPKS1_S1_EviT5_lT_liPT6_PT4_.uses_flat_scratch, 0
	.set _ZL24rocblas_dot_kernel_magsqIiLb0ELi512ELi2ELb0E19rocblas_complex_numIdEPKS1_S1_EviT5_lT_liPT6_PT4_.has_dyn_sized_stack, 0
	.set _ZL24rocblas_dot_kernel_magsqIiLb0ELi512ELi2ELb0E19rocblas_complex_numIdEPKS1_S1_EviT5_lT_liPT6_PT4_.has_recursion, 0
	.set _ZL24rocblas_dot_kernel_magsqIiLb0ELi512ELi2ELb0E19rocblas_complex_numIdEPKS1_S1_EviT5_lT_liPT6_PT4_.has_indirect_call, 0
	.section	.AMDGPU.csdata,"",@progbits
; Kernel info:
; codeLenInByte = 1300
; TotalNumSgprs: 21
; NumVgprs: 15
; ScratchSize: 0
; MemoryBound: 0
; FloatMode: 240
; IeeeMode: 1
; LDSByteSize: 1024 bytes/workgroup (compile time only)
; SGPRBlocks: 2
; VGPRBlocks: 3
; NumSGPRsForWavesPerEU: 21
; NumVGPRsForWavesPerEU: 15
; Occupancy: 10
; WaveLimiterHint : 0
; COMPUTE_PGM_RSRC2:SCRATCH_EN: 0
; COMPUTE_PGM_RSRC2:USER_SGPR: 6
; COMPUTE_PGM_RSRC2:TRAP_HANDLER: 0
; COMPUTE_PGM_RSRC2:TGID_X_EN: 1
; COMPUTE_PGM_RSRC2:TGID_Y_EN: 0
; COMPUTE_PGM_RSRC2:TGID_Z_EN: 1
; COMPUTE_PGM_RSRC2:TIDIG_COMP_CNT: 0
	.section	.text._ZL30rocblas_reduction_kernel_part2ILi512ELi2E25rocblas_finalize_identity19rocblas_complex_numIdES2_EviPT2_PT3_,"axG",@progbits,_ZL30rocblas_reduction_kernel_part2ILi512ELi2E25rocblas_finalize_identity19rocblas_complex_numIdES2_EviPT2_PT3_,comdat
	.globl	_ZL30rocblas_reduction_kernel_part2ILi512ELi2E25rocblas_finalize_identity19rocblas_complex_numIdES2_EviPT2_PT3_ ; -- Begin function _ZL30rocblas_reduction_kernel_part2ILi512ELi2E25rocblas_finalize_identity19rocblas_complex_numIdES2_EviPT2_PT3_
	.p2align	8
	.type	_ZL30rocblas_reduction_kernel_part2ILi512ELi2E25rocblas_finalize_identity19rocblas_complex_numIdES2_EviPT2_PT3_,@function
_ZL30rocblas_reduction_kernel_part2ILi512ELi2E25rocblas_finalize_identity19rocblas_complex_numIdES2_EviPT2_PT3_: ; @_ZL30rocblas_reduction_kernel_part2ILi512ELi2E25rocblas_finalize_identity19rocblas_complex_numIdES2_EviPT2_PT3_
; %bb.0:
	s_load_dword s14, s[4:5], 0x0
	s_load_dwordx4 s[8:11], s[4:5], 0x8
	v_lshlrev_b32_e32 v7, 1, v0
	v_mov_b32_e32 v1, 0
	v_mov_b32_e32 v3, 0
	s_waitcnt lgkmcnt(0)
	s_ashr_i32 s0, s14, 31
	s_mul_hi_u32 s1, s14, s6
	s_mul_i32 s0, s0, s6
	s_add_i32 s3, s1, s0
	s_lshr_b32 s0, s14, 31
	s_add_i32 s0, s14, s0
	s_and_b32 s15, s0, -2
	s_mov_b32 s7, 0
	s_mul_i32 s2, s14, s6
	v_mov_b32_e32 v2, 0
	v_mov_b32_e32 v4, 0
	v_cmp_gt_i32_e32 vcc, s15, v7
	s_and_saveexec_b64 s[4:5], vcc
	s_cbranch_execz .LBB53_4
; %bb.1:
	s_lshl_b64 s[0:1], s[2:3], 4
	s_add_u32 s0, s8, s0
	v_lshlrev_b32_e32 v1, 5, v0
	s_addc_u32 s1, s9, s1
	v_mov_b32_e32 v2, s1
	v_add_co_u32_e32 v1, vcc, s0, v1
	v_addc_co_u32_e32 v2, vcc, 0, v2, vcc
	v_add_co_u32_e32 v5, vcc, 16, v1
	v_addc_co_u32_e32 v6, vcc, 0, v2, vcc
	v_mov_b32_e32 v1, 0
	v_mov_b32_e32 v3, 0
	;; [unrolled: 1-line block ×4, first 2 shown]
	s_mov_b64 s[12:13], 0
.LBB53_2:                               ; =>This Inner Loop Header: Depth=1
	global_load_dwordx4 v[8:11], v[5:6], off offset:-16
	global_load_dwordx4 v[12:15], v[5:6], off
	v_add_u32_e32 v7, 0x400, v7
	v_add_co_u32_e32 v5, vcc, 0x4000, v5
	v_cmp_le_i32_e64 s[0:1], s15, v7
	s_or_b64 s[12:13], s[0:1], s[12:13]
	v_addc_co_u32_e32 v6, vcc, 0, v6, vcc
	s_waitcnt vmcnt(1)
	v_add_f64 v[3:4], v[3:4], v[8:9]
	v_add_f64 v[1:2], v[1:2], v[10:11]
	s_waitcnt vmcnt(0)
	v_add_f64 v[3:4], v[3:4], v[12:13]
	v_add_f64 v[1:2], v[1:2], v[14:15]
	s_andn2_b64 exec, exec, s[12:13]
	s_cbranch_execnz .LBB53_2
; %bb.3:
	s_or_b64 exec, exec, s[12:13]
.LBB53_4:
	s_or_b64 exec, exec, s[4:5]
	s_sub_i32 s0, s14, s15
	v_cmp_gt_u32_e32 vcc, s0, v0
	s_and_saveexec_b64 s[0:1], vcc
	s_cbranch_execz .LBB53_6
; %bb.5:
	s_lshl_b64 s[2:3], s[2:3], 4
	v_xad_u32 v5, v0, -1, s14
	v_mov_b32_e32 v6, 0
	s_add_u32 s2, s8, s2
	v_lshlrev_b64 v[5:6], 4, v[5:6]
	s_addc_u32 s3, s9, s3
	v_mov_b32_e32 v7, s3
	v_add_co_u32_e32 v5, vcc, s2, v5
	v_addc_co_u32_e32 v6, vcc, v7, v6, vcc
	global_load_dwordx4 v[5:8], v[5:6], off
	s_waitcnt vmcnt(0)
	v_add_f64 v[3:4], v[3:4], v[5:6]
	v_add_f64 v[1:2], v[1:2], v[7:8]
.LBB53_6:
	s_or_b64 exec, exec, s[0:1]
	v_and_b32_e32 v10, 63, v0
	v_cmp_gt_u32_e32 vcc, 64, v0
	v_lshlrev_b32_e32 v9, 4, v10
	s_and_saveexec_b64 s[0:1], vcc
; %bb.7:
	v_mov_b32_e32 v5, 0
	v_mov_b32_e32 v6, v5
	;; [unrolled: 1-line block ×4, first 2 shown]
	ds_write_b128 v9, v[5:8]
; %bb.8:
	s_or_b64 exec, exec, s[0:1]
	v_mbcnt_lo_u32_b32 v5, -1, 0
	v_mbcnt_hi_u32_b32 v13, -1, v5
	v_mov_b32_e32 v5, 0x80
	v_lshl_or_b32 v8, v13, 2, v5
	ds_bpermute_b32 v5, v8, v3
	ds_bpermute_b32 v6, v8, v4
	;; [unrolled: 1-line block ×4, first 2 shown]
	v_and_b32_e32 v14, 63, v13
	v_cmp_gt_u32_e64 s[0:1], 48, v14
	s_waitcnt lgkmcnt(2)
	v_add_f64 v[3:4], v[3:4], v[5:6]
	v_cndmask_b32_e64 v5, 0, 16, s[0:1]
	s_waitcnt lgkmcnt(0)
	v_add_f64 v[1:2], v[1:2], v[7:8]
	v_add_lshl_u32 v8, v5, v13, 2
	v_cmp_gt_u32_e64 s[0:1], 56, v14
	s_barrier
	ds_bpermute_b32 v5, v8, v3
	ds_bpermute_b32 v6, v8, v4
	ds_bpermute_b32 v7, v8, v1
	ds_bpermute_b32 v8, v8, v2
	s_waitcnt lgkmcnt(2)
	v_add_f64 v[3:4], v[3:4], v[5:6]
	v_cndmask_b32_e64 v5, 0, 8, s[0:1]
	s_waitcnt lgkmcnt(0)
	v_add_f64 v[1:2], v[1:2], v[7:8]
	v_add_lshl_u32 v8, v5, v13, 2
	v_cmp_gt_u32_e64 s[0:1], 60, v14
	ds_bpermute_b32 v5, v8, v3
	ds_bpermute_b32 v6, v8, v4
	;; [unrolled: 1-line block ×4, first 2 shown]
	s_waitcnt lgkmcnt(2)
	v_add_f64 v[3:4], v[3:4], v[5:6]
	v_cndmask_b32_e64 v5, 0, 4, s[0:1]
	s_waitcnt lgkmcnt(0)
	v_add_f64 v[1:2], v[1:2], v[7:8]
	v_add_lshl_u32 v11, v5, v13, 2
	v_cmp_gt_u32_e64 s[0:1], 62, v14
	ds_bpermute_b32 v5, v11, v3
	ds_bpermute_b32 v6, v11, v4
	;; [unrolled: 1-line block ×4, first 2 shown]
	s_waitcnt lgkmcnt(2)
	v_add_f64 v[3:4], v[3:4], v[5:6]
	s_waitcnt lgkmcnt(0)
	v_add_f64 v[5:6], v[1:2], v[7:8]
	v_cndmask_b32_e64 v1, 0, 2, s[0:1]
	v_add_lshl_u32 v12, v1, v13, 2
	v_cmp_ne_u32_e64 s[0:1], 63, v14
	ds_bpermute_b32 v1, v12, v3
	ds_bpermute_b32 v2, v12, v4
	;; [unrolled: 1-line block ×4, first 2 shown]
	s_waitcnt lgkmcnt(2)
	v_add_f64 v[1:2], v[3:4], v[1:2]
	s_waitcnt lgkmcnt(0)
	v_add_f64 v[3:4], v[5:6], v[7:8]
	v_addc_co_u32_e64 v5, s[0:1], 0, v13, s[0:1]
	v_lshlrev_b32_e32 v13, 2, v5
	v_cmp_eq_u32_e64 s[0:1], 0, v10
	ds_bpermute_b32 v5, v13, v1
	ds_bpermute_b32 v6, v13, v2
	;; [unrolled: 1-line block ×4, first 2 shown]
	s_and_saveexec_b64 s[2:3], s[0:1]
	s_cbranch_execz .LBB53_10
; %bb.9:
	s_waitcnt lgkmcnt(0)
	v_add_f64 v[3:4], v[3:4], v[7:8]
	v_add_f64 v[1:2], v[1:2], v[5:6]
	v_lshrrev_b32_e32 v5, 2, v0
	v_and_b32_e32 v5, 0x70, v5
	ds_write_b128 v5, v[1:4]
.LBB53_10:
	s_or_b64 exec, exec, s[2:3]
	v_mov_b32_e32 v3, 0
	v_mov_b32_e32 v1, 0
	;; [unrolled: 1-line block ×4, first 2 shown]
	v_cmp_gt_u32_e64 s[0:1], 8, v0
	s_waitcnt lgkmcnt(0)
	s_barrier
	s_and_saveexec_b64 s[2:3], s[0:1]
	s_cbranch_execnz .LBB53_14
; %bb.11:
	s_or_b64 exec, exec, s[2:3]
	s_and_saveexec_b64 s[0:1], vcc
	s_cbranch_execnz .LBB53_15
.LBB53_12:
	s_or_b64 exec, exec, s[0:1]
	v_cmp_eq_u32_e32 vcc, 0, v0
	s_and_saveexec_b64 s[0:1], vcc
	s_cbranch_execnz .LBB53_16
.LBB53_13:
	s_endpgm
.LBB53_14:
	ds_read_b128 v[1:4], v9
	s_or_b64 exec, exec, s[2:3]
	s_and_saveexec_b64 s[0:1], vcc
	s_cbranch_execz .LBB53_12
.LBB53_15:
	s_waitcnt lgkmcnt(0)
	ds_bpermute_b32 v5, v11, v1
	ds_bpermute_b32 v6, v11, v2
	ds_bpermute_b32 v7, v11, v3
	ds_bpermute_b32 v8, v11, v4
	s_waitcnt lgkmcnt(2)
	v_add_f64 v[1:2], v[1:2], v[5:6]
	s_waitcnt lgkmcnt(0)
	v_add_f64 v[3:4], v[3:4], v[7:8]
	ds_bpermute_b32 v5, v12, v1
	ds_bpermute_b32 v6, v12, v2
	ds_bpermute_b32 v7, v12, v3
	ds_bpermute_b32 v8, v12, v4
	s_waitcnt lgkmcnt(2)
	v_add_f64 v[1:2], v[1:2], v[5:6]
	s_waitcnt lgkmcnt(0)
	v_add_f64 v[3:4], v[3:4], v[7:8]
	;; [unrolled: 8-line block ×3, first 2 shown]
	s_or_b64 exec, exec, s[0:1]
	v_cmp_eq_u32_e32 vcc, 0, v0
	s_and_saveexec_b64 s[0:1], vcc
	s_cbranch_execz .LBB53_13
.LBB53_16:
	s_lshl_b64 s[0:1], s[6:7], 4
	s_add_u32 s0, s10, s0
	s_addc_u32 s1, s11, s1
	v_mov_b32_e32 v0, 0
	s_waitcnt lgkmcnt(0)
	global_store_dwordx4 v0, v[1:4], s[0:1]
	s_endpgm
	.section	.rodata,"a",@progbits
	.p2align	6, 0x0
	.amdhsa_kernel _ZL30rocblas_reduction_kernel_part2ILi512ELi2E25rocblas_finalize_identity19rocblas_complex_numIdES2_EviPT2_PT3_
		.amdhsa_group_segment_fixed_size 1024
		.amdhsa_private_segment_fixed_size 0
		.amdhsa_kernarg_size 24
		.amdhsa_user_sgpr_count 6
		.amdhsa_user_sgpr_private_segment_buffer 1
		.amdhsa_user_sgpr_dispatch_ptr 0
		.amdhsa_user_sgpr_queue_ptr 0
		.amdhsa_user_sgpr_kernarg_segment_ptr 1
		.amdhsa_user_sgpr_dispatch_id 0
		.amdhsa_user_sgpr_flat_scratch_init 0
		.amdhsa_user_sgpr_private_segment_size 0
		.amdhsa_uses_dynamic_stack 0
		.amdhsa_system_sgpr_private_segment_wavefront_offset 0
		.amdhsa_system_sgpr_workgroup_id_x 1
		.amdhsa_system_sgpr_workgroup_id_y 0
		.amdhsa_system_sgpr_workgroup_id_z 0
		.amdhsa_system_sgpr_workgroup_info 0
		.amdhsa_system_vgpr_workitem_id 0
		.amdhsa_next_free_vgpr 16
		.amdhsa_next_free_sgpr 16
		.amdhsa_reserve_vcc 1
		.amdhsa_reserve_flat_scratch 0
		.amdhsa_float_round_mode_32 0
		.amdhsa_float_round_mode_16_64 0
		.amdhsa_float_denorm_mode_32 3
		.amdhsa_float_denorm_mode_16_64 3
		.amdhsa_dx10_clamp 1
		.amdhsa_ieee_mode 1
		.amdhsa_fp16_overflow 0
		.amdhsa_exception_fp_ieee_invalid_op 0
		.amdhsa_exception_fp_denorm_src 0
		.amdhsa_exception_fp_ieee_div_zero 0
		.amdhsa_exception_fp_ieee_overflow 0
		.amdhsa_exception_fp_ieee_underflow 0
		.amdhsa_exception_fp_ieee_inexact 0
		.amdhsa_exception_int_div_zero 0
	.end_amdhsa_kernel
	.section	.text._ZL30rocblas_reduction_kernel_part2ILi512ELi2E25rocblas_finalize_identity19rocblas_complex_numIdES2_EviPT2_PT3_,"axG",@progbits,_ZL30rocblas_reduction_kernel_part2ILi512ELi2E25rocblas_finalize_identity19rocblas_complex_numIdES2_EviPT2_PT3_,comdat
.Lfunc_end53:
	.size	_ZL30rocblas_reduction_kernel_part2ILi512ELi2E25rocblas_finalize_identity19rocblas_complex_numIdES2_EviPT2_PT3_, .Lfunc_end53-_ZL30rocblas_reduction_kernel_part2ILi512ELi2E25rocblas_finalize_identity19rocblas_complex_numIdES2_EviPT2_PT3_
                                        ; -- End function
	.set _ZL30rocblas_reduction_kernel_part2ILi512ELi2E25rocblas_finalize_identity19rocblas_complex_numIdES2_EviPT2_PT3_.num_vgpr, 16
	.set _ZL30rocblas_reduction_kernel_part2ILi512ELi2E25rocblas_finalize_identity19rocblas_complex_numIdES2_EviPT2_PT3_.num_agpr, 0
	.set _ZL30rocblas_reduction_kernel_part2ILi512ELi2E25rocblas_finalize_identity19rocblas_complex_numIdES2_EviPT2_PT3_.numbered_sgpr, 16
	.set _ZL30rocblas_reduction_kernel_part2ILi512ELi2E25rocblas_finalize_identity19rocblas_complex_numIdES2_EviPT2_PT3_.num_named_barrier, 0
	.set _ZL30rocblas_reduction_kernel_part2ILi512ELi2E25rocblas_finalize_identity19rocblas_complex_numIdES2_EviPT2_PT3_.private_seg_size, 0
	.set _ZL30rocblas_reduction_kernel_part2ILi512ELi2E25rocblas_finalize_identity19rocblas_complex_numIdES2_EviPT2_PT3_.uses_vcc, 1
	.set _ZL30rocblas_reduction_kernel_part2ILi512ELi2E25rocblas_finalize_identity19rocblas_complex_numIdES2_EviPT2_PT3_.uses_flat_scratch, 0
	.set _ZL30rocblas_reduction_kernel_part2ILi512ELi2E25rocblas_finalize_identity19rocblas_complex_numIdES2_EviPT2_PT3_.has_dyn_sized_stack, 0
	.set _ZL30rocblas_reduction_kernel_part2ILi512ELi2E25rocblas_finalize_identity19rocblas_complex_numIdES2_EviPT2_PT3_.has_recursion, 0
	.set _ZL30rocblas_reduction_kernel_part2ILi512ELi2E25rocblas_finalize_identity19rocblas_complex_numIdES2_EviPT2_PT3_.has_indirect_call, 0
	.section	.AMDGPU.csdata,"",@progbits
; Kernel info:
; codeLenInByte = 1224
; TotalNumSgprs: 20
; NumVgprs: 16
; ScratchSize: 0
; MemoryBound: 0
; FloatMode: 240
; IeeeMode: 1
; LDSByteSize: 1024 bytes/workgroup (compile time only)
; SGPRBlocks: 2
; VGPRBlocks: 3
; NumSGPRsForWavesPerEU: 20
; NumVGPRsForWavesPerEU: 16
; Occupancy: 10
; WaveLimiterHint : 0
; COMPUTE_PGM_RSRC2:SCRATCH_EN: 0
; COMPUTE_PGM_RSRC2:USER_SGPR: 6
; COMPUTE_PGM_RSRC2:TRAP_HANDLER: 0
; COMPUTE_PGM_RSRC2:TGID_X_EN: 1
; COMPUTE_PGM_RSRC2:TGID_Y_EN: 0
; COMPUTE_PGM_RSRC2:TGID_Z_EN: 0
; COMPUTE_PGM_RSRC2:TIDIG_COMP_CNT: 0
	.section	.text._ZL28rocblas_dot_batched_4_kernelIiLi32ELi4ELb1E19rocblas_complex_numIfES1_PKS1_EviT5_lT_lS4_lS5_liPT4_,"axG",@progbits,_ZL28rocblas_dot_batched_4_kernelIiLi32ELi4ELb1E19rocblas_complex_numIfES1_PKS1_EviT5_lT_lS4_lS5_liPT4_,comdat
	.globl	_ZL28rocblas_dot_batched_4_kernelIiLi32ELi4ELb1E19rocblas_complex_numIfES1_PKS1_EviT5_lT_lS4_lS5_liPT4_ ; -- Begin function _ZL28rocblas_dot_batched_4_kernelIiLi32ELi4ELb1E19rocblas_complex_numIfES1_PKS1_EviT5_lT_lS4_lS5_liPT4_
	.p2align	8
	.type	_ZL28rocblas_dot_batched_4_kernelIiLi32ELi4ELb1E19rocblas_complex_numIfES1_PKS1_EviT5_lT_lS4_lS5_liPT4_,@function
_ZL28rocblas_dot_batched_4_kernelIiLi32ELi4ELb1E19rocblas_complex_numIfES1_PKS1_EviT5_lT_lS4_lS5_liPT4_: ; @_ZL28rocblas_dot_batched_4_kernelIiLi32ELi4ELb1E19rocblas_complex_numIfES1_PKS1_EviT5_lT_lS4_lS5_liPT4_
; %bb.0:
	s_load_dword s0, s[4:5], 0x48
	v_lshl_add_u32 v1, s6, 2, v1
	s_waitcnt lgkmcnt(0)
	v_cmp_gt_u32_e32 vcc, s0, v1
	s_and_saveexec_b64 s[0:1], vcc
	s_cbranch_execz .LBB54_7
; %bb.1:
	s_load_dword s12, s[4:5], 0x0
	s_load_dwordx2 s[6:7], s[4:5], 0x50
	v_mov_b32_e32 v2, 0
	v_mov_b32_e32 v7, v2
	;; [unrolled: 1-line block ×3, first 2 shown]
	s_waitcnt lgkmcnt(0)
	v_cmp_gt_i32_e32 vcc, s12, v0
	s_and_saveexec_b64 s[8:9], vcc
	s_cbranch_execz .LBB54_5
; %bb.2:
	s_load_dwordx2 s[10:11], s[4:5], 0x40
	s_load_dword s14, s[4:5], 0x38
	s_load_dwordx4 s[0:3], s[4:5], 0x8
	s_load_dword s20, s[4:5], 0x18
	s_waitcnt lgkmcnt(0)
	v_mad_u64_u32 v[3:4], s[16:17], s10, v1, 0
	s_load_dwordx4 s[16:19], s[4:5], 0x20
	s_load_dwordx2 s[22:23], s[4:5], 0x30
	v_mad_i64_i32 v[5:6], s[4:5], s14, v0, 0
	s_ashr_i32 s21, s20, 31
	s_ashr_i32 s15, s14, 31
	v_mad_u64_u32 v[7:8], s[4:5], s11, v1, v[4:5]
	v_lshlrev_b64 v[5:6], 3, v[5:6]
	s_waitcnt lgkmcnt(0)
	s_lshl_b64 s[4:5], s[22:23], 3
	v_mov_b32_e32 v4, v7
	v_lshlrev_b64 v[3:4], 3, v[3:4]
	s_add_u32 s10, s18, s4
	v_add_co_u32_e32 v3, vcc, v5, v3
	s_addc_u32 s4, s19, s5
	v_addc_co_u32_e32 v4, vcc, v6, v4, vcc
	v_mov_b32_e32 v7, s4
	v_mad_u64_u32 v[5:6], s[4:5], s16, v1, 0
	v_add_co_u32_e32 v11, vcc, s10, v3
	v_addc_co_u32_e32 v4, vcc, v7, v4, vcc
	v_mov_b32_e32 v3, v6
	v_mad_u64_u32 v[9:10], s[4:5], s17, v1, v[3:4]
	v_mad_i64_i32 v[7:8], s[4:5], s20, v0, 0
	v_mov_b32_e32 v6, v9
	v_add_co_u32_e32 v3, vcc, 4, v11
	v_lshlrev_b64 v[7:8], 3, v[7:8]
	v_lshlrev_b64 v[5:6], 3, v[5:6]
	v_addc_co_u32_e32 v4, vcc, 0, v4, vcc
	s_lshl_b64 s[4:5], s[14:15], 8
	s_lshl_b64 s[2:3], s[2:3], 3
	v_add_co_u32_e32 v5, vcc, v7, v5
	s_add_u32 s0, s0, s2
	v_addc_co_u32_e32 v6, vcc, v8, v6, vcc
	s_addc_u32 s1, s1, s3
	v_mov_b32_e32 v7, s1
	v_add_co_u32_e32 v5, vcc, s0, v5
	v_addc_co_u32_e32 v6, vcc, v7, v6, vcc
	v_add_co_u32_e32 v5, vcc, 4, v5
	v_addc_co_u32_e32 v6, vcc, 0, v6, vcc
	s_lshl_b64 s[2:3], s[20:21], 8
	v_mov_b32_e32 v7, 0
	s_mov_b64 s[10:11], 0
	v_mov_b32_e32 v9, v0
	v_mov_b32_e32 v8, 0
.LBB54_3:                               ; =>This Inner Loop Header: Depth=1
	global_load_dwordx2 v[10:11], v[5:6], off offset:-4
	global_load_dwordx2 v[12:13], v[3:4], off offset:-4
	v_mov_b32_e32 v14, s5
	v_mov_b32_e32 v15, s3
	v_add_co_u32_e32 v5, vcc, s2, v5
	v_add_co_u32_e64 v3, s[0:1], s4, v3
	v_add_u32_e32 v9, 32, v9
	v_addc_co_u32_e64 v4, s[0:1], v4, v14, s[0:1]
	v_addc_co_u32_e32 v6, vcc, v6, v15, vcc
	v_cmp_le_i32_e32 vcc, s12, v9
	s_or_b64 s[10:11], vcc, s[10:11]
	s_waitcnt vmcnt(0)
	v_mul_f32_e32 v14, v11, v13
	v_mul_f32_e32 v11, v11, v12
	v_fmac_f32_e32 v14, v10, v12
	v_fma_f32 v10, v10, v13, -v11
	v_add_f32_e32 v7, v7, v14
	v_add_f32_e32 v8, v8, v10
	s_andn2_b64 exec, exec, s[10:11]
	s_cbranch_execnz .LBB54_3
; %bb.4:
	s_or_b64 exec, exec, s[10:11]
.LBB54_5:
	s_or_b64 exec, exec, s[8:9]
	v_mbcnt_lo_u32_b32 v3, -1, 0
	v_mbcnt_hi_u32_b32 v5, -1, v3
	v_and_b32_e32 v6, 63, v5
	v_cmp_gt_u32_e32 vcc, 48, v6
	v_cndmask_b32_e64 v3, 0, 16, vcc
	v_add_lshl_u32 v3, v3, v5, 2
	ds_bpermute_b32 v4, v3, v7
	ds_bpermute_b32 v3, v3, v8
	v_cmp_gt_u32_e32 vcc, 56, v6
	s_waitcnt lgkmcnt(0)
	s_barrier
	v_add_f32_e32 v4, v7, v4
	v_cndmask_b32_e64 v7, 0, 8, vcc
	v_add_f32_e32 v3, v8, v3
	v_add_lshl_u32 v7, v7, v5, 2
	ds_bpermute_b32 v8, v7, v4
	ds_bpermute_b32 v7, v7, v3
	v_cmp_gt_u32_e32 vcc, 60, v6
	s_waitcnt lgkmcnt(0)
	v_add_f32_e32 v4, v4, v8
	v_add_f32_e32 v3, v3, v7
	v_cndmask_b32_e64 v7, 0, 4, vcc
	v_add_lshl_u32 v7, v7, v5, 2
	ds_bpermute_b32 v8, v7, v4
	ds_bpermute_b32 v7, v7, v3
	v_cmp_gt_u32_e32 vcc, 62, v6
	s_waitcnt lgkmcnt(1)
	v_add_f32_e32 v4, v4, v8
	s_waitcnt lgkmcnt(0)
	v_add_f32_e32 v7, v3, v7
	v_cndmask_b32_e64 v3, 0, 2, vcc
	v_add_lshl_u32 v3, v3, v5, 2
	ds_bpermute_b32 v8, v3, v4
	ds_bpermute_b32 v9, v3, v7
	v_cmp_ne_u32_e32 vcc, 63, v6
	v_addc_co_u32_e32 v5, vcc, 0, v5, vcc
	s_waitcnt lgkmcnt(1)
	v_add_f32_e32 v3, v4, v8
	s_waitcnt lgkmcnt(0)
	v_add_f32_e32 v4, v7, v9
	v_lshlrev_b32_e32 v6, 2, v5
	ds_bpermute_b32 v5, v6, v3
	ds_bpermute_b32 v6, v6, v4
	v_cmp_eq_u32_e32 vcc, 0, v0
	s_and_b64 exec, exec, vcc
	s_cbranch_execz .LBB54_7
; %bb.6:
	v_lshlrev_b64 v[0:1], 3, v[1:2]
	v_mov_b32_e32 v2, s7
	v_add_co_u32_e32 v0, vcc, s6, v0
	v_addc_co_u32_e32 v1, vcc, v2, v1, vcc
	s_waitcnt lgkmcnt(0)
	v_add_f32_e32 v4, v4, v6
	v_add_f32_e32 v3, v3, v5
	global_store_dwordx2 v[0:1], v[3:4], off
.LBB54_7:
	s_endpgm
	.section	.rodata,"a",@progbits
	.p2align	6, 0x0
	.amdhsa_kernel _ZL28rocblas_dot_batched_4_kernelIiLi32ELi4ELb1E19rocblas_complex_numIfES1_PKS1_EviT5_lT_lS4_lS5_liPT4_
		.amdhsa_group_segment_fixed_size 0
		.amdhsa_private_segment_fixed_size 0
		.amdhsa_kernarg_size 88
		.amdhsa_user_sgpr_count 6
		.amdhsa_user_sgpr_private_segment_buffer 1
		.amdhsa_user_sgpr_dispatch_ptr 0
		.amdhsa_user_sgpr_queue_ptr 0
		.amdhsa_user_sgpr_kernarg_segment_ptr 1
		.amdhsa_user_sgpr_dispatch_id 0
		.amdhsa_user_sgpr_flat_scratch_init 0
		.amdhsa_user_sgpr_private_segment_size 0
		.amdhsa_uses_dynamic_stack 0
		.amdhsa_system_sgpr_private_segment_wavefront_offset 0
		.amdhsa_system_sgpr_workgroup_id_x 1
		.amdhsa_system_sgpr_workgroup_id_y 0
		.amdhsa_system_sgpr_workgroup_id_z 0
		.amdhsa_system_sgpr_workgroup_info 0
		.amdhsa_system_vgpr_workitem_id 1
		.amdhsa_next_free_vgpr 16
		.amdhsa_next_free_sgpr 24
		.amdhsa_reserve_vcc 1
		.amdhsa_reserve_flat_scratch 0
		.amdhsa_float_round_mode_32 0
		.amdhsa_float_round_mode_16_64 0
		.amdhsa_float_denorm_mode_32 3
		.amdhsa_float_denorm_mode_16_64 3
		.amdhsa_dx10_clamp 1
		.amdhsa_ieee_mode 1
		.amdhsa_fp16_overflow 0
		.amdhsa_exception_fp_ieee_invalid_op 0
		.amdhsa_exception_fp_denorm_src 0
		.amdhsa_exception_fp_ieee_div_zero 0
		.amdhsa_exception_fp_ieee_overflow 0
		.amdhsa_exception_fp_ieee_underflow 0
		.amdhsa_exception_fp_ieee_inexact 0
		.amdhsa_exception_int_div_zero 0
	.end_amdhsa_kernel
	.section	.text._ZL28rocblas_dot_batched_4_kernelIiLi32ELi4ELb1E19rocblas_complex_numIfES1_PKS1_EviT5_lT_lS4_lS5_liPT4_,"axG",@progbits,_ZL28rocblas_dot_batched_4_kernelIiLi32ELi4ELb1E19rocblas_complex_numIfES1_PKS1_EviT5_lT_lS4_lS5_liPT4_,comdat
.Lfunc_end54:
	.size	_ZL28rocblas_dot_batched_4_kernelIiLi32ELi4ELb1E19rocblas_complex_numIfES1_PKS1_EviT5_lT_lS4_lS5_liPT4_, .Lfunc_end54-_ZL28rocblas_dot_batched_4_kernelIiLi32ELi4ELb1E19rocblas_complex_numIfES1_PKS1_EviT5_lT_lS4_lS5_liPT4_
                                        ; -- End function
	.set _ZL28rocblas_dot_batched_4_kernelIiLi32ELi4ELb1E19rocblas_complex_numIfES1_PKS1_EviT5_lT_lS4_lS5_liPT4_.num_vgpr, 16
	.set _ZL28rocblas_dot_batched_4_kernelIiLi32ELi4ELb1E19rocblas_complex_numIfES1_PKS1_EviT5_lT_lS4_lS5_liPT4_.num_agpr, 0
	.set _ZL28rocblas_dot_batched_4_kernelIiLi32ELi4ELb1E19rocblas_complex_numIfES1_PKS1_EviT5_lT_lS4_lS5_liPT4_.numbered_sgpr, 24
	.set _ZL28rocblas_dot_batched_4_kernelIiLi32ELi4ELb1E19rocblas_complex_numIfES1_PKS1_EviT5_lT_lS4_lS5_liPT4_.num_named_barrier, 0
	.set _ZL28rocblas_dot_batched_4_kernelIiLi32ELi4ELb1E19rocblas_complex_numIfES1_PKS1_EviT5_lT_lS4_lS5_liPT4_.private_seg_size, 0
	.set _ZL28rocblas_dot_batched_4_kernelIiLi32ELi4ELb1E19rocblas_complex_numIfES1_PKS1_EviT5_lT_lS4_lS5_liPT4_.uses_vcc, 1
	.set _ZL28rocblas_dot_batched_4_kernelIiLi32ELi4ELb1E19rocblas_complex_numIfES1_PKS1_EviT5_lT_lS4_lS5_liPT4_.uses_flat_scratch, 0
	.set _ZL28rocblas_dot_batched_4_kernelIiLi32ELi4ELb1E19rocblas_complex_numIfES1_PKS1_EviT5_lT_lS4_lS5_liPT4_.has_dyn_sized_stack, 0
	.set _ZL28rocblas_dot_batched_4_kernelIiLi32ELi4ELb1E19rocblas_complex_numIfES1_PKS1_EviT5_lT_lS4_lS5_liPT4_.has_recursion, 0
	.set _ZL28rocblas_dot_batched_4_kernelIiLi32ELi4ELb1E19rocblas_complex_numIfES1_PKS1_EviT5_lT_lS4_lS5_liPT4_.has_indirect_call, 0
	.section	.AMDGPU.csdata,"",@progbits
; Kernel info:
; codeLenInByte = 752
; TotalNumSgprs: 28
; NumVgprs: 16
; ScratchSize: 0
; MemoryBound: 0
; FloatMode: 240
; IeeeMode: 1
; LDSByteSize: 0 bytes/workgroup (compile time only)
; SGPRBlocks: 3
; VGPRBlocks: 3
; NumSGPRsForWavesPerEU: 28
; NumVGPRsForWavesPerEU: 16
; Occupancy: 10
; WaveLimiterHint : 0
; COMPUTE_PGM_RSRC2:SCRATCH_EN: 0
; COMPUTE_PGM_RSRC2:USER_SGPR: 6
; COMPUTE_PGM_RSRC2:TRAP_HANDLER: 0
; COMPUTE_PGM_RSRC2:TGID_X_EN: 1
; COMPUTE_PGM_RSRC2:TGID_Y_EN: 0
; COMPUTE_PGM_RSRC2:TGID_Z_EN: 0
; COMPUTE_PGM_RSRC2:TIDIG_COMP_CNT: 1
	.section	.text._ZL28rocblas_dot_batched_4_kernelIiLi64ELi4ELb1E19rocblas_complex_numIfES1_PKS1_EviT5_lT_lS4_lS5_liPT4_,"axG",@progbits,_ZL28rocblas_dot_batched_4_kernelIiLi64ELi4ELb1E19rocblas_complex_numIfES1_PKS1_EviT5_lT_lS4_lS5_liPT4_,comdat
	.globl	_ZL28rocblas_dot_batched_4_kernelIiLi64ELi4ELb1E19rocblas_complex_numIfES1_PKS1_EviT5_lT_lS4_lS5_liPT4_ ; -- Begin function _ZL28rocblas_dot_batched_4_kernelIiLi64ELi4ELb1E19rocblas_complex_numIfES1_PKS1_EviT5_lT_lS4_lS5_liPT4_
	.p2align	8
	.type	_ZL28rocblas_dot_batched_4_kernelIiLi64ELi4ELb1E19rocblas_complex_numIfES1_PKS1_EviT5_lT_lS4_lS5_liPT4_,@function
_ZL28rocblas_dot_batched_4_kernelIiLi64ELi4ELb1E19rocblas_complex_numIfES1_PKS1_EviT5_lT_lS4_lS5_liPT4_: ; @_ZL28rocblas_dot_batched_4_kernelIiLi64ELi4ELb1E19rocblas_complex_numIfES1_PKS1_EviT5_lT_lS4_lS5_liPT4_
; %bb.0:
	s_load_dword s0, s[4:5], 0x48
	v_lshl_add_u32 v1, s6, 2, v1
	s_waitcnt lgkmcnt(0)
	v_cmp_gt_u32_e32 vcc, s0, v1
	s_and_saveexec_b64 s[0:1], vcc
	s_cbranch_execz .LBB55_7
; %bb.1:
	s_load_dword s12, s[4:5], 0x0
	s_load_dwordx2 s[6:7], s[4:5], 0x50
	v_mov_b32_e32 v2, 0
	v_mov_b32_e32 v7, v2
	;; [unrolled: 1-line block ×3, first 2 shown]
	s_waitcnt lgkmcnt(0)
	v_cmp_gt_i32_e32 vcc, s12, v0
	s_and_saveexec_b64 s[8:9], vcc
	s_cbranch_execz .LBB55_5
; %bb.2:
	s_load_dwordx2 s[10:11], s[4:5], 0x40
	s_load_dword s14, s[4:5], 0x38
	s_load_dwordx4 s[0:3], s[4:5], 0x8
	s_load_dword s20, s[4:5], 0x18
	s_waitcnt lgkmcnt(0)
	v_mad_u64_u32 v[3:4], s[16:17], s10, v1, 0
	s_load_dwordx4 s[16:19], s[4:5], 0x20
	s_load_dwordx2 s[22:23], s[4:5], 0x30
	v_mad_i64_i32 v[5:6], s[4:5], s14, v0, 0
	s_ashr_i32 s21, s20, 31
	s_ashr_i32 s15, s14, 31
	v_mad_u64_u32 v[7:8], s[4:5], s11, v1, v[4:5]
	v_lshlrev_b64 v[5:6], 3, v[5:6]
	s_waitcnt lgkmcnt(0)
	s_lshl_b64 s[4:5], s[22:23], 3
	v_mov_b32_e32 v4, v7
	v_lshlrev_b64 v[3:4], 3, v[3:4]
	s_add_u32 s10, s18, s4
	v_add_co_u32_e32 v3, vcc, v5, v3
	s_addc_u32 s4, s19, s5
	v_addc_co_u32_e32 v4, vcc, v6, v4, vcc
	v_mov_b32_e32 v7, s4
	v_mad_u64_u32 v[5:6], s[4:5], s16, v1, 0
	v_add_co_u32_e32 v11, vcc, s10, v3
	v_addc_co_u32_e32 v4, vcc, v7, v4, vcc
	v_mov_b32_e32 v3, v6
	v_mad_u64_u32 v[9:10], s[4:5], s17, v1, v[3:4]
	v_mad_i64_i32 v[7:8], s[4:5], s20, v0, 0
	v_mov_b32_e32 v6, v9
	v_add_co_u32_e32 v3, vcc, 4, v11
	v_lshlrev_b64 v[7:8], 3, v[7:8]
	v_lshlrev_b64 v[5:6], 3, v[5:6]
	v_addc_co_u32_e32 v4, vcc, 0, v4, vcc
	s_lshl_b64 s[4:5], s[14:15], 9
	s_lshl_b64 s[2:3], s[2:3], 3
	v_add_co_u32_e32 v5, vcc, v7, v5
	s_add_u32 s0, s0, s2
	v_addc_co_u32_e32 v6, vcc, v8, v6, vcc
	s_addc_u32 s1, s1, s3
	v_mov_b32_e32 v7, s1
	v_add_co_u32_e32 v5, vcc, s0, v5
	v_addc_co_u32_e32 v6, vcc, v7, v6, vcc
	v_add_co_u32_e32 v5, vcc, 4, v5
	v_addc_co_u32_e32 v6, vcc, 0, v6, vcc
	s_lshl_b64 s[2:3], s[20:21], 9
	v_mov_b32_e32 v7, 0
	s_mov_b64 s[10:11], 0
	v_mov_b32_e32 v9, v0
	v_mov_b32_e32 v8, 0
.LBB55_3:                               ; =>This Inner Loop Header: Depth=1
	global_load_dwordx2 v[10:11], v[5:6], off offset:-4
	global_load_dwordx2 v[12:13], v[3:4], off offset:-4
	v_mov_b32_e32 v14, s5
	v_mov_b32_e32 v15, s3
	v_add_co_u32_e32 v5, vcc, s2, v5
	v_add_co_u32_e64 v3, s[0:1], s4, v3
	v_add_u32_e32 v9, 64, v9
	v_addc_co_u32_e64 v4, s[0:1], v4, v14, s[0:1]
	v_addc_co_u32_e32 v6, vcc, v6, v15, vcc
	v_cmp_le_i32_e32 vcc, s12, v9
	s_or_b64 s[10:11], vcc, s[10:11]
	s_waitcnt vmcnt(0)
	v_mul_f32_e32 v14, v11, v13
	v_mul_f32_e32 v11, v11, v12
	v_fmac_f32_e32 v14, v10, v12
	v_fma_f32 v10, v10, v13, -v11
	v_add_f32_e32 v7, v7, v14
	v_add_f32_e32 v8, v8, v10
	s_andn2_b64 exec, exec, s[10:11]
	s_cbranch_execnz .LBB55_3
; %bb.4:
	s_or_b64 exec, exec, s[10:11]
.LBB55_5:
	s_or_b64 exec, exec, s[8:9]
	v_mbcnt_lo_u32_b32 v3, -1, 0
	v_mbcnt_hi_u32_b32 v5, -1, v3
	v_mov_b32_e32 v3, 0x80
	v_lshl_or_b32 v3, v5, 2, v3
	ds_bpermute_b32 v4, v3, v7
	ds_bpermute_b32 v3, v3, v8
	v_and_b32_e32 v6, 63, v5
	v_cmp_gt_u32_e32 vcc, 48, v6
	s_waitcnt lgkmcnt(0)
	v_add_f32_e32 v4, v7, v4
	v_cndmask_b32_e64 v7, 0, 16, vcc
	v_add_f32_e32 v3, v8, v3
	v_add_lshl_u32 v7, v7, v5, 2
	ds_bpermute_b32 v8, v7, v4
	ds_bpermute_b32 v7, v7, v3
	v_cmp_gt_u32_e32 vcc, 56, v6
	s_waitcnt lgkmcnt(0)
	s_barrier
	v_add_f32_e32 v4, v4, v8
	v_add_f32_e32 v3, v3, v7
	v_cndmask_b32_e64 v7, 0, 8, vcc
	v_add_lshl_u32 v7, v7, v5, 2
	ds_bpermute_b32 v8, v7, v4
	ds_bpermute_b32 v7, v7, v3
	v_cmp_gt_u32_e32 vcc, 60, v6
	s_waitcnt lgkmcnt(1)
	v_add_f32_e32 v4, v4, v8
	s_waitcnt lgkmcnt(0)
	v_add_f32_e32 v3, v3, v7
	v_cndmask_b32_e64 v7, 0, 4, vcc
	v_add_lshl_u32 v7, v7, v5, 2
	ds_bpermute_b32 v8, v7, v4
	ds_bpermute_b32 v7, v7, v3
	v_cmp_gt_u32_e32 vcc, 62, v6
	s_waitcnt lgkmcnt(1)
	v_add_f32_e32 v4, v4, v8
	s_waitcnt lgkmcnt(0)
	v_add_f32_e32 v7, v3, v7
	v_cndmask_b32_e64 v3, 0, 2, vcc
	v_add_lshl_u32 v3, v3, v5, 2
	ds_bpermute_b32 v8, v3, v4
	ds_bpermute_b32 v9, v3, v7
	v_cmp_ne_u32_e32 vcc, 63, v6
	v_addc_co_u32_e32 v5, vcc, 0, v5, vcc
	s_waitcnt lgkmcnt(1)
	v_add_f32_e32 v3, v4, v8
	s_waitcnt lgkmcnt(0)
	v_add_f32_e32 v4, v7, v9
	v_lshlrev_b32_e32 v6, 2, v5
	ds_bpermute_b32 v5, v6, v3
	ds_bpermute_b32 v6, v6, v4
	v_cmp_eq_u32_e32 vcc, 0, v0
	s_and_b64 exec, exec, vcc
	s_cbranch_execz .LBB55_7
; %bb.6:
	v_lshlrev_b64 v[0:1], 3, v[1:2]
	v_mov_b32_e32 v2, s7
	v_add_co_u32_e32 v0, vcc, s6, v0
	v_addc_co_u32_e32 v1, vcc, v2, v1, vcc
	s_waitcnt lgkmcnt(0)
	v_add_f32_e32 v4, v4, v6
	v_add_f32_e32 v3, v3, v5
	global_store_dwordx2 v[0:1], v[3:4], off
.LBB55_7:
	s_endpgm
	.section	.rodata,"a",@progbits
	.p2align	6, 0x0
	.amdhsa_kernel _ZL28rocblas_dot_batched_4_kernelIiLi64ELi4ELb1E19rocblas_complex_numIfES1_PKS1_EviT5_lT_lS4_lS5_liPT4_
		.amdhsa_group_segment_fixed_size 0
		.amdhsa_private_segment_fixed_size 0
		.amdhsa_kernarg_size 88
		.amdhsa_user_sgpr_count 6
		.amdhsa_user_sgpr_private_segment_buffer 1
		.amdhsa_user_sgpr_dispatch_ptr 0
		.amdhsa_user_sgpr_queue_ptr 0
		.amdhsa_user_sgpr_kernarg_segment_ptr 1
		.amdhsa_user_sgpr_dispatch_id 0
		.amdhsa_user_sgpr_flat_scratch_init 0
		.amdhsa_user_sgpr_private_segment_size 0
		.amdhsa_uses_dynamic_stack 0
		.amdhsa_system_sgpr_private_segment_wavefront_offset 0
		.amdhsa_system_sgpr_workgroup_id_x 1
		.amdhsa_system_sgpr_workgroup_id_y 0
		.amdhsa_system_sgpr_workgroup_id_z 0
		.amdhsa_system_sgpr_workgroup_info 0
		.amdhsa_system_vgpr_workitem_id 1
		.amdhsa_next_free_vgpr 16
		.amdhsa_next_free_sgpr 24
		.amdhsa_reserve_vcc 1
		.amdhsa_reserve_flat_scratch 0
		.amdhsa_float_round_mode_32 0
		.amdhsa_float_round_mode_16_64 0
		.amdhsa_float_denorm_mode_32 3
		.amdhsa_float_denorm_mode_16_64 3
		.amdhsa_dx10_clamp 1
		.amdhsa_ieee_mode 1
		.amdhsa_fp16_overflow 0
		.amdhsa_exception_fp_ieee_invalid_op 0
		.amdhsa_exception_fp_denorm_src 0
		.amdhsa_exception_fp_ieee_div_zero 0
		.amdhsa_exception_fp_ieee_overflow 0
		.amdhsa_exception_fp_ieee_underflow 0
		.amdhsa_exception_fp_ieee_inexact 0
		.amdhsa_exception_int_div_zero 0
	.end_amdhsa_kernel
	.section	.text._ZL28rocblas_dot_batched_4_kernelIiLi64ELi4ELb1E19rocblas_complex_numIfES1_PKS1_EviT5_lT_lS4_lS5_liPT4_,"axG",@progbits,_ZL28rocblas_dot_batched_4_kernelIiLi64ELi4ELb1E19rocblas_complex_numIfES1_PKS1_EviT5_lT_lS4_lS5_liPT4_,comdat
.Lfunc_end55:
	.size	_ZL28rocblas_dot_batched_4_kernelIiLi64ELi4ELb1E19rocblas_complex_numIfES1_PKS1_EviT5_lT_lS4_lS5_liPT4_, .Lfunc_end55-_ZL28rocblas_dot_batched_4_kernelIiLi64ELi4ELb1E19rocblas_complex_numIfES1_PKS1_EviT5_lT_lS4_lS5_liPT4_
                                        ; -- End function
	.set _ZL28rocblas_dot_batched_4_kernelIiLi64ELi4ELb1E19rocblas_complex_numIfES1_PKS1_EviT5_lT_lS4_lS5_liPT4_.num_vgpr, 16
	.set _ZL28rocblas_dot_batched_4_kernelIiLi64ELi4ELb1E19rocblas_complex_numIfES1_PKS1_EviT5_lT_lS4_lS5_liPT4_.num_agpr, 0
	.set _ZL28rocblas_dot_batched_4_kernelIiLi64ELi4ELb1E19rocblas_complex_numIfES1_PKS1_EviT5_lT_lS4_lS5_liPT4_.numbered_sgpr, 24
	.set _ZL28rocblas_dot_batched_4_kernelIiLi64ELi4ELb1E19rocblas_complex_numIfES1_PKS1_EviT5_lT_lS4_lS5_liPT4_.num_named_barrier, 0
	.set _ZL28rocblas_dot_batched_4_kernelIiLi64ELi4ELb1E19rocblas_complex_numIfES1_PKS1_EviT5_lT_lS4_lS5_liPT4_.private_seg_size, 0
	.set _ZL28rocblas_dot_batched_4_kernelIiLi64ELi4ELb1E19rocblas_complex_numIfES1_PKS1_EviT5_lT_lS4_lS5_liPT4_.uses_vcc, 1
	.set _ZL28rocblas_dot_batched_4_kernelIiLi64ELi4ELb1E19rocblas_complex_numIfES1_PKS1_EviT5_lT_lS4_lS5_liPT4_.uses_flat_scratch, 0
	.set _ZL28rocblas_dot_batched_4_kernelIiLi64ELi4ELb1E19rocblas_complex_numIfES1_PKS1_EviT5_lT_lS4_lS5_liPT4_.has_dyn_sized_stack, 0
	.set _ZL28rocblas_dot_batched_4_kernelIiLi64ELi4ELb1E19rocblas_complex_numIfES1_PKS1_EviT5_lT_lS4_lS5_liPT4_.has_recursion, 0
	.set _ZL28rocblas_dot_batched_4_kernelIiLi64ELi4ELb1E19rocblas_complex_numIfES1_PKS1_EviT5_lT_lS4_lS5_liPT4_.has_indirect_call, 0
	.section	.AMDGPU.csdata,"",@progbits
; Kernel info:
; codeLenInByte = 800
; TotalNumSgprs: 28
; NumVgprs: 16
; ScratchSize: 0
; MemoryBound: 0
; FloatMode: 240
; IeeeMode: 1
; LDSByteSize: 0 bytes/workgroup (compile time only)
; SGPRBlocks: 3
; VGPRBlocks: 3
; NumSGPRsForWavesPerEU: 28
; NumVGPRsForWavesPerEU: 16
; Occupancy: 10
; WaveLimiterHint : 0
; COMPUTE_PGM_RSRC2:SCRATCH_EN: 0
; COMPUTE_PGM_RSRC2:USER_SGPR: 6
; COMPUTE_PGM_RSRC2:TRAP_HANDLER: 0
; COMPUTE_PGM_RSRC2:TGID_X_EN: 1
; COMPUTE_PGM_RSRC2:TGID_Y_EN: 0
; COMPUTE_PGM_RSRC2:TGID_Z_EN: 0
; COMPUTE_PGM_RSRC2:TIDIG_COMP_CNT: 1
	.section	.text._ZL26rocblas_dot_kernel_inc1by2ILb1ELi1024ELi32ELb1E19rocblas_complex_numIfEPKS1_S1_EviT4_llS4_lliPT5_PT3_,"axG",@progbits,_ZL26rocblas_dot_kernel_inc1by2ILb1ELi1024ELi32ELb1E19rocblas_complex_numIfEPKS1_S1_EviT4_llS4_lliPT5_PT3_,comdat
	.globl	_ZL26rocblas_dot_kernel_inc1by2ILb1ELi1024ELi32ELb1E19rocblas_complex_numIfEPKS1_S1_EviT4_llS4_lliPT5_PT3_ ; -- Begin function _ZL26rocblas_dot_kernel_inc1by2ILb1ELi1024ELi32ELb1E19rocblas_complex_numIfEPKS1_S1_EviT4_llS4_lliPT5_PT3_
	.p2align	8
	.type	_ZL26rocblas_dot_kernel_inc1by2ILb1ELi1024ELi32ELb1E19rocblas_complex_numIfEPKS1_S1_EviT4_llS4_lliPT5_PT3_,@function
_ZL26rocblas_dot_kernel_inc1by2ILb1ELi1024ELi32ELb1E19rocblas_complex_numIfEPKS1_S1_EviT4_llS4_lliPT5_PT3_: ; @_ZL26rocblas_dot_kernel_inc1by2ILb1ELi1024ELi32ELb1E19rocblas_complex_numIfEPKS1_S1_EviT4_llS4_lliPT5_PT3_
; %bb.0:
	s_mov_b32 s2, s7
	s_load_dword s10, s[4:5], 0x0
	s_load_dwordx2 s[6:7], s[4:5], 0x48
	s_mov_b32 s3, 0
	v_mov_b32_e32 v5, 0
	v_mov_b32_e32 v7, 0
	s_waitcnt lgkmcnt(0)
	v_cmp_gt_i32_e32 vcc, s10, v0
	s_and_saveexec_b64 s[8:9], vcc
	s_cbranch_execz .LBB56_4
; %bb.1:
	s_load_dwordx4 s[12:15], s[4:5], 0x28
	s_load_dwordx2 s[0:1], s[4:5], 0x20
	s_load_dwordx2 s[20:21], s[4:5], 0x8
	s_load_dwordx4 s[16:19], s[4:5], 0x10
	v_lshlrev_b32_e32 v3, 3, v0
	s_waitcnt lgkmcnt(0)
	s_mul_i32 s4, s15, s2
	s_mul_hi_u32 s5, s14, s2
	s_add_i32 s5, s5, s4
	s_mul_i32 s4, s14, s2
	s_lshl_b64 s[4:5], s[4:5], 3
	s_lshl_b64 s[12:13], s[12:13], 3
	s_add_u32 s4, s4, s12
	s_addc_u32 s5, s5, s13
	s_add_u32 s0, s0, s4
	s_addc_u32 s1, s1, s5
	v_mov_b32_e32 v2, s1
	v_add_co_u32_e32 v1, vcc, s0, v3
	s_mul_i32 s0, s19, s2
	s_mul_hi_u32 s1, s18, s2
	s_add_i32 s1, s1, s0
	s_mul_i32 s0, s18, s2
	s_lshl_b64 s[0:1], s[0:1], 3
	s_lshl_b64 s[4:5], s[16:17], 3
	s_add_u32 s0, s0, s4
	s_addc_u32 s1, s1, s5
	s_add_u32 s0, s20, s0
	v_addc_co_u32_e32 v2, vcc, 0, v2, vcc
	s_addc_u32 s1, s21, s1
	v_mov_b32_e32 v4, s1
	v_add_co_u32_e32 v3, vcc, s0, v3
	v_addc_co_u32_e32 v4, vcc, 0, v4, vcc
	v_add_co_u32_e32 v3, vcc, 4, v3
	v_or_b32_e32 v6, 0x400, v0
	v_mov_b32_e32 v5, 0
	v_addc_co_u32_e32 v4, vcc, 0, v4, vcc
	s_mov_b64 s[4:5], 0
	s_mov_b32 s11, s3
	v_mov_b32_e32 v7, 0
.LBB56_2:                               ; =>This Inner Loop Header: Depth=1
	global_load_dwordx2 v[8:9], v[1:2], off
	global_load_dwordx2 v[10:11], v[3:4], off offset:-4
	s_add_i32 s12, s11, 1
	s_cmp_gt_u32 s11, 30
	v_cmp_le_i32_e64 s[0:1], s10, v6
	v_add_co_u32_e32 v1, vcc, 0x2000, v1
	s_mov_b32 s11, s12
	s_cselect_b64 s[12:13], -1, 0
	v_addc_co_u32_e32 v2, vcc, 0, v2, vcc
	s_or_b64 s[0:1], s[12:13], s[0:1]
	v_add_co_u32_e32 v3, vcc, 0x2000, v3
	s_and_b64 s[0:1], exec, s[0:1]
	v_add_u32_e32 v6, 0x400, v6
	v_addc_co_u32_e32 v4, vcc, 0, v4, vcc
	s_or_b64 s[4:5], s[0:1], s[4:5]
	s_waitcnt vmcnt(0)
	v_mul_f32_e32 v12, v11, v9
	v_mul_f32_e32 v11, v11, v8
	v_fmac_f32_e32 v12, v10, v8
	v_fma_f32 v8, v10, v9, -v11
	v_add_f32_e32 v7, v7, v12
	v_add_f32_e32 v5, v5, v8
	s_andn2_b64 exec, exec, s[4:5]
	s_cbranch_execnz .LBB56_2
; %bb.3:
	s_or_b64 exec, exec, s[4:5]
.LBB56_4:
	s_or_b64 exec, exec, s[8:9]
	v_and_b32_e32 v1, 63, v0
	v_cmp_gt_u32_e32 vcc, 64, v0
	v_lshlrev_b32_e32 v3, 3, v1
	s_and_saveexec_b64 s[0:1], vcc
; %bb.5:
	v_mov_b32_e32 v8, 0
	v_mov_b32_e32 v9, v8
	ds_write_b64 v3, v[8:9]
; %bb.6:
	s_or_b64 exec, exec, s[0:1]
	v_mbcnt_lo_u32_b32 v2, -1, 0
	v_mbcnt_hi_u32_b32 v9, -1, v2
	v_mov_b32_e32 v2, 0x80
	v_lshl_or_b32 v2, v9, 2, v2
	ds_bpermute_b32 v4, v2, v7
	ds_bpermute_b32 v2, v2, v5
	v_and_b32_e32 v10, 63, v9
	v_cmp_gt_u32_e64 s[0:1], 48, v10
	s_waitcnt lgkmcnt(0)
	v_add_f32_e32 v4, v7, v4
	v_add_f32_e32 v2, v5, v2
	v_cndmask_b32_e64 v5, 0, 16, s[0:1]
	v_add_lshl_u32 v5, v5, v9, 2
	ds_bpermute_b32 v6, v5, v4
	ds_bpermute_b32 v5, v5, v2
	v_cmp_gt_u32_e64 s[0:1], 56, v10
	s_waitcnt lgkmcnt(0)
	s_barrier
	v_add_f32_e32 v6, v4, v6
	v_cndmask_b32_e64 v4, 0, 8, s[0:1]
	v_add_lshl_u32 v4, v4, v9, 2
	v_add_f32_e32 v2, v2, v5
	ds_bpermute_b32 v5, v4, v6
	ds_bpermute_b32 v7, v4, v2
	v_cmp_gt_u32_e64 s[0:1], 60, v10
	s_waitcnt lgkmcnt(1)
	v_add_f32_e32 v6, v6, v5
	v_cndmask_b32_e64 v5, 0, 4, s[0:1]
	s_waitcnt lgkmcnt(0)
	v_add_f32_e32 v2, v2, v7
	v_add_lshl_u32 v5, v5, v9, 2
	ds_bpermute_b32 v8, v5, v2
	ds_bpermute_b32 v7, v5, v6
	v_cmp_gt_u32_e64 s[0:1], 62, v10
	s_waitcnt lgkmcnt(1)
	v_add_f32_e32 v8, v2, v8
	v_cndmask_b32_e64 v2, 0, 2, s[0:1]
	s_waitcnt lgkmcnt(0)
	v_add_f32_e32 v7, v6, v7
	v_add_lshl_u32 v6, v2, v9, 2
	ds_bpermute_b32 v2, v6, v7
	ds_bpermute_b32 v11, v6, v8
	v_cmp_ne_u32_e64 s[0:1], 63, v10
	s_waitcnt lgkmcnt(1)
	v_add_f32_e32 v2, v7, v2
	v_addc_co_u32_e64 v7, s[0:1], 0, v9, s[0:1]
	s_waitcnt lgkmcnt(0)
	v_add_f32_e32 v8, v8, v11
	v_lshlrev_b32_e32 v7, 2, v7
	ds_bpermute_b32 v9, v7, v2
	ds_bpermute_b32 v10, v7, v8
	v_cmp_eq_u32_e64 s[0:1], 0, v1
	s_and_saveexec_b64 s[4:5], s[0:1]
	s_cbranch_execz .LBB56_8
; %bb.7:
	s_waitcnt lgkmcnt(1)
	v_add_f32_e32 v1, v2, v9
	s_waitcnt lgkmcnt(0)
	v_add_f32_e32 v2, v8, v10
	v_lshrrev_b32_e32 v8, 3, v0
	v_and_b32_e32 v8, 0x78, v8
	ds_write_b64 v8, v[1:2]
.LBB56_8:
	s_or_b64 exec, exec, s[4:5]
	v_cmp_gt_u32_e64 s[0:1], 16, v0
	v_mov_b32_e32 v2, 0
	v_mov_b32_e32 v1, 0
	s_waitcnt lgkmcnt(0)
	s_barrier
	s_and_saveexec_b64 s[4:5], s[0:1]
	s_cbranch_execnz .LBB56_12
; %bb.9:
	s_or_b64 exec, exec, s[4:5]
	s_and_saveexec_b64 s[0:1], vcc
	s_cbranch_execnz .LBB56_13
.LBB56_10:
	s_or_b64 exec, exec, s[0:1]
	v_cmp_eq_u32_e32 vcc, 0, v0
	s_and_saveexec_b64 s[0:1], vcc
	s_cbranch_execnz .LBB56_14
.LBB56_11:
	s_endpgm
.LBB56_12:
	ds_read_b64 v[1:2], v3
	s_or_b64 exec, exec, s[4:5]
	s_and_saveexec_b64 s[0:1], vcc
	s_cbranch_execz .LBB56_10
.LBB56_13:
	s_waitcnt lgkmcnt(0)
	ds_bpermute_b32 v3, v4, v1
	ds_bpermute_b32 v4, v4, v2
	s_waitcnt lgkmcnt(1)
	v_add_f32_e32 v1, v1, v3
	s_waitcnt lgkmcnt(0)
	v_add_f32_e32 v2, v2, v4
	ds_bpermute_b32 v3, v5, v1
	ds_bpermute_b32 v4, v5, v2
	s_waitcnt lgkmcnt(1)
	v_add_f32_e32 v1, v1, v3
	s_waitcnt lgkmcnt(0)
	v_add_f32_e32 v2, v2, v4
	;; [unrolled: 6-line block ×4, first 2 shown]
	s_or_b64 exec, exec, s[0:1]
	v_cmp_eq_u32_e32 vcc, 0, v0
	s_and_saveexec_b64 s[0:1], vcc
	s_cbranch_execz .LBB56_11
.LBB56_14:
	s_lshl_b64 s[0:1], s[2:3], 3
	s_add_u32 s0, s6, s0
	s_addc_u32 s1, s7, s1
	v_mov_b32_e32 v0, 0
	s_waitcnt lgkmcnt(0)
	global_store_dwordx2 v0, v[1:2], s[0:1]
	s_endpgm
	.section	.rodata,"a",@progbits
	.p2align	6, 0x0
	.amdhsa_kernel _ZL26rocblas_dot_kernel_inc1by2ILb1ELi1024ELi32ELb1E19rocblas_complex_numIfEPKS1_S1_EviT4_llS4_lliPT5_PT3_
		.amdhsa_group_segment_fixed_size 512
		.amdhsa_private_segment_fixed_size 0
		.amdhsa_kernarg_size 80
		.amdhsa_user_sgpr_count 6
		.amdhsa_user_sgpr_private_segment_buffer 1
		.amdhsa_user_sgpr_dispatch_ptr 0
		.amdhsa_user_sgpr_queue_ptr 0
		.amdhsa_user_sgpr_kernarg_segment_ptr 1
		.amdhsa_user_sgpr_dispatch_id 0
		.amdhsa_user_sgpr_flat_scratch_init 0
		.amdhsa_user_sgpr_private_segment_size 0
		.amdhsa_uses_dynamic_stack 0
		.amdhsa_system_sgpr_private_segment_wavefront_offset 0
		.amdhsa_system_sgpr_workgroup_id_x 1
		.amdhsa_system_sgpr_workgroup_id_y 0
		.amdhsa_system_sgpr_workgroup_id_z 1
		.amdhsa_system_sgpr_workgroup_info 0
		.amdhsa_system_vgpr_workitem_id 0
		.amdhsa_next_free_vgpr 13
		.amdhsa_next_free_sgpr 22
		.amdhsa_reserve_vcc 1
		.amdhsa_reserve_flat_scratch 0
		.amdhsa_float_round_mode_32 0
		.amdhsa_float_round_mode_16_64 0
		.amdhsa_float_denorm_mode_32 3
		.amdhsa_float_denorm_mode_16_64 3
		.amdhsa_dx10_clamp 1
		.amdhsa_ieee_mode 1
		.amdhsa_fp16_overflow 0
		.amdhsa_exception_fp_ieee_invalid_op 0
		.amdhsa_exception_fp_denorm_src 0
		.amdhsa_exception_fp_ieee_div_zero 0
		.amdhsa_exception_fp_ieee_overflow 0
		.amdhsa_exception_fp_ieee_underflow 0
		.amdhsa_exception_fp_ieee_inexact 0
		.amdhsa_exception_int_div_zero 0
	.end_amdhsa_kernel
	.section	.text._ZL26rocblas_dot_kernel_inc1by2ILb1ELi1024ELi32ELb1E19rocblas_complex_numIfEPKS1_S1_EviT4_llS4_lliPT5_PT3_,"axG",@progbits,_ZL26rocblas_dot_kernel_inc1by2ILb1ELi1024ELi32ELb1E19rocblas_complex_numIfEPKS1_S1_EviT4_llS4_lliPT5_PT3_,comdat
.Lfunc_end56:
	.size	_ZL26rocblas_dot_kernel_inc1by2ILb1ELi1024ELi32ELb1E19rocblas_complex_numIfEPKS1_S1_EviT4_llS4_lliPT5_PT3_, .Lfunc_end56-_ZL26rocblas_dot_kernel_inc1by2ILb1ELi1024ELi32ELb1E19rocblas_complex_numIfEPKS1_S1_EviT4_llS4_lliPT5_PT3_
                                        ; -- End function
	.set _ZL26rocblas_dot_kernel_inc1by2ILb1ELi1024ELi32ELb1E19rocblas_complex_numIfEPKS1_S1_EviT4_llS4_lliPT5_PT3_.num_vgpr, 13
	.set _ZL26rocblas_dot_kernel_inc1by2ILb1ELi1024ELi32ELb1E19rocblas_complex_numIfEPKS1_S1_EviT4_llS4_lliPT5_PT3_.num_agpr, 0
	.set _ZL26rocblas_dot_kernel_inc1by2ILb1ELi1024ELi32ELb1E19rocblas_complex_numIfEPKS1_S1_EviT4_llS4_lliPT5_PT3_.numbered_sgpr, 22
	.set _ZL26rocblas_dot_kernel_inc1by2ILb1ELi1024ELi32ELb1E19rocblas_complex_numIfEPKS1_S1_EviT4_llS4_lliPT5_PT3_.num_named_barrier, 0
	.set _ZL26rocblas_dot_kernel_inc1by2ILb1ELi1024ELi32ELb1E19rocblas_complex_numIfEPKS1_S1_EviT4_llS4_lliPT5_PT3_.private_seg_size, 0
	.set _ZL26rocblas_dot_kernel_inc1by2ILb1ELi1024ELi32ELb1E19rocblas_complex_numIfEPKS1_S1_EviT4_llS4_lliPT5_PT3_.uses_vcc, 1
	.set _ZL26rocblas_dot_kernel_inc1by2ILb1ELi1024ELi32ELb1E19rocblas_complex_numIfEPKS1_S1_EviT4_llS4_lliPT5_PT3_.uses_flat_scratch, 0
	.set _ZL26rocblas_dot_kernel_inc1by2ILb1ELi1024ELi32ELb1E19rocblas_complex_numIfEPKS1_S1_EviT4_llS4_lliPT5_PT3_.has_dyn_sized_stack, 0
	.set _ZL26rocblas_dot_kernel_inc1by2ILb1ELi1024ELi32ELb1E19rocblas_complex_numIfEPKS1_S1_EviT4_llS4_lliPT5_PT3_.has_recursion, 0
	.set _ZL26rocblas_dot_kernel_inc1by2ILb1ELi1024ELi32ELb1E19rocblas_complex_numIfEPKS1_S1_EviT4_llS4_lliPT5_PT3_.has_indirect_call, 0
	.section	.AMDGPU.csdata,"",@progbits
; Kernel info:
; codeLenInByte = 1036
; TotalNumSgprs: 26
; NumVgprs: 13
; ScratchSize: 0
; MemoryBound: 0
; FloatMode: 240
; IeeeMode: 1
; LDSByteSize: 512 bytes/workgroup (compile time only)
; SGPRBlocks: 3
; VGPRBlocks: 3
; NumSGPRsForWavesPerEU: 26
; NumVGPRsForWavesPerEU: 13
; Occupancy: 10
; WaveLimiterHint : 0
; COMPUTE_PGM_RSRC2:SCRATCH_EN: 0
; COMPUTE_PGM_RSRC2:USER_SGPR: 6
; COMPUTE_PGM_RSRC2:TRAP_HANDLER: 0
; COMPUTE_PGM_RSRC2:TGID_X_EN: 1
; COMPUTE_PGM_RSRC2:TGID_Y_EN: 0
; COMPUTE_PGM_RSRC2:TGID_Z_EN: 1
; COMPUTE_PGM_RSRC2:TIDIG_COMP_CNT: 0
	.section	.text._ZL18rocblas_dot_kernelIiLb1ELi1024ELi32ELb1E19rocblas_complex_numIfEPKS1_S1_EviT5_lT_lS4_lS5_liPT6_PT4_,"axG",@progbits,_ZL18rocblas_dot_kernelIiLb1ELi1024ELi32ELb1E19rocblas_complex_numIfEPKS1_S1_EviT5_lT_lS4_lS5_liPT6_PT4_,comdat
	.globl	_ZL18rocblas_dot_kernelIiLb1ELi1024ELi32ELb1E19rocblas_complex_numIfEPKS1_S1_EviT5_lT_lS4_lS5_liPT6_PT4_ ; -- Begin function _ZL18rocblas_dot_kernelIiLb1ELi1024ELi32ELb1E19rocblas_complex_numIfEPKS1_S1_EviT5_lT_lS4_lS5_liPT6_PT4_
	.p2align	8
	.type	_ZL18rocblas_dot_kernelIiLb1ELi1024ELi32ELb1E19rocblas_complex_numIfEPKS1_S1_EviT5_lT_lS4_lS5_liPT6_PT4_,@function
_ZL18rocblas_dot_kernelIiLb1ELi1024ELi32ELb1E19rocblas_complex_numIfEPKS1_S1_EviT5_lT_lS4_lS5_liPT6_PT4_: ; @_ZL18rocblas_dot_kernelIiLb1ELi1024ELi32ELb1E19rocblas_complex_numIfEPKS1_S1_EviT5_lT_lS4_lS5_liPT6_PT4_
; %bb.0:
	s_load_dword s14, s[4:5], 0x0
	s_load_dwordx2 s[8:9], s[4:5], 0x58
	s_mov_b32 s6, s7
	s_mov_b32 s7, 0
	v_mov_b32_e32 v6, 0
	s_waitcnt lgkmcnt(0)
	v_cmp_gt_i32_e32 vcc, s14, v0
	v_mov_b32_e32 v7, 0
	s_and_saveexec_b64 s[10:11], vcc
	s_cbranch_execz .LBB57_4
; %bb.1:
	s_load_dword s22, s[4:5], 0x38
	s_load_dwordx2 s[12:13], s[4:5], 0x40
	s_load_dword s15, s[4:5], 0x60
	s_load_dwordx4 s[0:3], s[4:5], 0x20
	s_load_dwordx4 s[16:19], s[4:5], 0x8
	s_load_dword s23, s[4:5], 0x18
	s_load_dwordx2 s[20:21], s[4:5], 0x30
	s_waitcnt lgkmcnt(0)
	s_lshl_b32 s15, s15, 10
	s_mul_i32 s1, s1, s6
	s_mul_hi_u32 s24, s0, s6
	v_mad_i64_i32 v[1:2], s[4:5], s23, v0, 0
	s_add_i32 s1, s24, s1
	s_mul_i32 s0, s0, s6
	s_lshl_b64 s[0:1], s[0:1], 3
	s_lshl_b64 s[4:5], s[18:19], 3
	s_add_u32 s4, s16, s4
	s_addc_u32 s5, s17, s5
	v_lshlrev_b64 v[1:2], 3, v[1:2]
	s_add_u32 s0, s4, s0
	s_addc_u32 s1, s5, s1
	v_mov_b32_e32 v3, s1
	v_add_co_u32_e32 v1, vcc, s0, v1
	s_mul_hi_i32 s1, s23, s15
	s_mul_i32 s0, s23, s15
	v_addc_co_u32_e32 v2, vcc, v3, v2, vcc
	s_lshl_b64 s[4:5], s[0:1], 3
	s_mul_i32 s13, s13, s6
	s_mul_hi_u32 s16, s12, s6
	v_mad_i64_i32 v[3:4], s[0:1], s22, v0, 0
	s_add_i32 s1, s16, s13
	s_mul_i32 s0, s12, s6
	s_lshl_b64 s[0:1], s[0:1], 3
	s_lshl_b64 s[12:13], s[20:21], 3
	s_add_u32 s2, s2, s12
	s_addc_u32 s3, s3, s13
	v_add_co_u32_e32 v1, vcc, 4, v1
	v_lshlrev_b64 v[3:4], 3, v[3:4]
	s_add_u32 s0, s2, s0
	v_addc_co_u32_e32 v2, vcc, 0, v2, vcc
	s_addc_u32 s1, s3, s1
	v_mov_b32_e32 v6, s1
	v_add_co_u32_e32 v3, vcc, s0, v3
	s_mul_hi_i32 s1, s22, s15
	s_mul_i32 s0, s22, s15
	s_lshl_b64 s[2:3], s[0:1], 3
	v_or_b32_e32 v5, s15, v0
	v_addc_co_u32_e32 v4, vcc, v6, v4, vcc
	v_mov_b32_e32 v6, 0
	s_mov_b64 s[12:13], 0
	v_mov_b32_e32 v8, s5
	v_mov_b32_e32 v9, s3
	s_mov_b32 s3, s7
	v_mov_b32_e32 v7, 0
.LBB57_2:                               ; =>This Inner Loop Header: Depth=1
	global_load_dwordx2 v[10:11], v[3:4], off
	global_load_dwordx2 v[12:13], v[1:2], off offset:-4
	v_add_co_u32_e64 v1, s[0:1], s4, v1
	v_addc_co_u32_e64 v2, s[0:1], v2, v8, s[0:1]
	s_add_i32 s5, s3, 1
	v_add_co_u32_e64 v3, s[0:1], s2, v3
	v_addc_co_u32_e64 v4, s[0:1], v4, v9, s[0:1]
	s_cmp_gt_u32 s3, 30
	v_cmp_le_i32_e32 vcc, s14, v5
	s_cselect_b64 s[0:1], -1, 0
	s_or_b64 s[0:1], s[0:1], vcc
	s_and_b64 s[0:1], exec, s[0:1]
	v_add_u32_e32 v5, s15, v5
	s_mov_b32 s3, s5
	s_or_b64 s[12:13], s[0:1], s[12:13]
	s_waitcnt vmcnt(0)
	v_mul_f32_e32 v14, v13, v11
	v_mul_f32_e32 v13, v13, v10
	v_fmac_f32_e32 v14, v12, v10
	v_fma_f32 v10, v12, v11, -v13
	v_add_f32_e32 v7, v7, v14
	v_add_f32_e32 v6, v6, v10
	s_andn2_b64 exec, exec, s[12:13]
	s_cbranch_execnz .LBB57_2
; %bb.3:
	s_or_b64 exec, exec, s[12:13]
.LBB57_4:
	s_or_b64 exec, exec, s[10:11]
	v_and_b32_e32 v1, 63, v0
	v_cmp_gt_u32_e32 vcc, 64, v0
	v_lshlrev_b32_e32 v3, 3, v1
	s_and_saveexec_b64 s[0:1], vcc
; %bb.5:
	v_mov_b32_e32 v4, 0
	v_mov_b32_e32 v5, v4
	ds_write_b64 v3, v[4:5]
; %bb.6:
	s_or_b64 exec, exec, s[0:1]
	v_mbcnt_lo_u32_b32 v2, -1, 0
	v_mbcnt_hi_u32_b32 v9, -1, v2
	v_mov_b32_e32 v2, 0x80
	v_lshl_or_b32 v2, v9, 2, v2
	ds_bpermute_b32 v4, v2, v7
	ds_bpermute_b32 v2, v2, v6
	v_and_b32_e32 v10, 63, v9
	v_cmp_gt_u32_e64 s[0:1], 48, v10
	v_cndmask_b32_e64 v5, 0, 16, s[0:1]
	s_waitcnt lgkmcnt(1)
	v_add_f32_e32 v4, v7, v4
	v_add_lshl_u32 v5, v5, v9, 2
	s_waitcnt lgkmcnt(0)
	v_add_f32_e32 v2, v6, v2
	ds_bpermute_b32 v6, v5, v4
	ds_bpermute_b32 v5, v5, v2
	v_cmp_gt_u32_e64 s[0:1], 56, v10
	s_waitcnt lgkmcnt(0)
	s_barrier
	v_add_f32_e32 v6, v4, v6
	v_cndmask_b32_e64 v4, 0, 8, s[0:1]
	v_add_lshl_u32 v4, v4, v9, 2
	v_add_f32_e32 v2, v2, v5
	ds_bpermute_b32 v5, v4, v6
	ds_bpermute_b32 v7, v4, v2
	v_cmp_gt_u32_e64 s[0:1], 60, v10
	s_waitcnt lgkmcnt(0)
	v_add_f32_e32 v6, v6, v5
	v_cndmask_b32_e64 v5, 0, 4, s[0:1]
	v_add_f32_e32 v2, v2, v7
	v_add_lshl_u32 v5, v5, v9, 2
	ds_bpermute_b32 v8, v5, v2
	ds_bpermute_b32 v7, v5, v6
	v_cmp_gt_u32_e64 s[0:1], 62, v10
	s_waitcnt lgkmcnt(1)
	v_add_f32_e32 v8, v2, v8
	v_cndmask_b32_e64 v2, 0, 2, s[0:1]
	s_waitcnt lgkmcnt(0)
	v_add_f32_e32 v7, v6, v7
	v_add_lshl_u32 v6, v2, v9, 2
	ds_bpermute_b32 v2, v6, v7
	ds_bpermute_b32 v11, v6, v8
	v_cmp_ne_u32_e64 s[0:1], 63, v10
	s_waitcnt lgkmcnt(1)
	v_add_f32_e32 v2, v7, v2
	v_addc_co_u32_e64 v7, s[0:1], 0, v9, s[0:1]
	s_waitcnt lgkmcnt(0)
	v_add_f32_e32 v8, v8, v11
	v_lshlrev_b32_e32 v7, 2, v7
	ds_bpermute_b32 v9, v7, v2
	ds_bpermute_b32 v10, v7, v8
	v_cmp_eq_u32_e64 s[0:1], 0, v1
	s_and_saveexec_b64 s[2:3], s[0:1]
	s_cbranch_execz .LBB57_8
; %bb.7:
	s_waitcnt lgkmcnt(1)
	v_add_f32_e32 v1, v2, v9
	s_waitcnt lgkmcnt(0)
	v_add_f32_e32 v2, v8, v10
	v_lshrrev_b32_e32 v8, 3, v0
	v_and_b32_e32 v8, 0x78, v8
	ds_write_b64 v8, v[1:2]
.LBB57_8:
	s_or_b64 exec, exec, s[2:3]
	v_cmp_gt_u32_e64 s[0:1], 16, v0
	v_mov_b32_e32 v2, 0
	v_mov_b32_e32 v1, 0
	s_waitcnt lgkmcnt(0)
	s_barrier
	s_and_saveexec_b64 s[2:3], s[0:1]
	s_cbranch_execnz .LBB57_12
; %bb.9:
	s_or_b64 exec, exec, s[2:3]
	s_and_saveexec_b64 s[0:1], vcc
	s_cbranch_execnz .LBB57_13
.LBB57_10:
	s_or_b64 exec, exec, s[0:1]
	v_cmp_eq_u32_e32 vcc, 0, v0
	s_and_saveexec_b64 s[0:1], vcc
	s_cbranch_execnz .LBB57_14
.LBB57_11:
	s_endpgm
.LBB57_12:
	ds_read_b64 v[1:2], v3
	s_or_b64 exec, exec, s[2:3]
	s_and_saveexec_b64 s[0:1], vcc
	s_cbranch_execz .LBB57_10
.LBB57_13:
	s_waitcnt lgkmcnt(0)
	ds_bpermute_b32 v3, v4, v1
	ds_bpermute_b32 v4, v4, v2
	s_waitcnt lgkmcnt(1)
	v_add_f32_e32 v1, v1, v3
	s_waitcnt lgkmcnt(0)
	v_add_f32_e32 v2, v2, v4
	ds_bpermute_b32 v3, v5, v1
	ds_bpermute_b32 v4, v5, v2
	s_waitcnt lgkmcnt(1)
	v_add_f32_e32 v1, v1, v3
	s_waitcnt lgkmcnt(0)
	v_add_f32_e32 v2, v2, v4
	;; [unrolled: 6-line block ×4, first 2 shown]
	s_or_b64 exec, exec, s[0:1]
	v_cmp_eq_u32_e32 vcc, 0, v0
	s_and_saveexec_b64 s[0:1], vcc
	s_cbranch_execz .LBB57_11
.LBB57_14:
	s_lshl_b64 s[0:1], s[6:7], 3
	s_add_u32 s0, s8, s0
	s_addc_u32 s1, s9, s1
	v_mov_b32_e32 v0, 0
	s_waitcnt lgkmcnt(0)
	global_store_dwordx2 v0, v[1:2], s[0:1]
	s_endpgm
	.section	.rodata,"a",@progbits
	.p2align	6, 0x0
	.amdhsa_kernel _ZL18rocblas_dot_kernelIiLb1ELi1024ELi32ELb1E19rocblas_complex_numIfEPKS1_S1_EviT5_lT_lS4_lS5_liPT6_PT4_
		.amdhsa_group_segment_fixed_size 512
		.amdhsa_private_segment_fixed_size 0
		.amdhsa_kernarg_size 352
		.amdhsa_user_sgpr_count 6
		.amdhsa_user_sgpr_private_segment_buffer 1
		.amdhsa_user_sgpr_dispatch_ptr 0
		.amdhsa_user_sgpr_queue_ptr 0
		.amdhsa_user_sgpr_kernarg_segment_ptr 1
		.amdhsa_user_sgpr_dispatch_id 0
		.amdhsa_user_sgpr_flat_scratch_init 0
		.amdhsa_user_sgpr_private_segment_size 0
		.amdhsa_uses_dynamic_stack 0
		.amdhsa_system_sgpr_private_segment_wavefront_offset 0
		.amdhsa_system_sgpr_workgroup_id_x 1
		.amdhsa_system_sgpr_workgroup_id_y 0
		.amdhsa_system_sgpr_workgroup_id_z 1
		.amdhsa_system_sgpr_workgroup_info 0
		.amdhsa_system_vgpr_workitem_id 0
		.amdhsa_next_free_vgpr 15
		.amdhsa_next_free_sgpr 25
		.amdhsa_reserve_vcc 1
		.amdhsa_reserve_flat_scratch 0
		.amdhsa_float_round_mode_32 0
		.amdhsa_float_round_mode_16_64 0
		.amdhsa_float_denorm_mode_32 3
		.amdhsa_float_denorm_mode_16_64 3
		.amdhsa_dx10_clamp 1
		.amdhsa_ieee_mode 1
		.amdhsa_fp16_overflow 0
		.amdhsa_exception_fp_ieee_invalid_op 0
		.amdhsa_exception_fp_denorm_src 0
		.amdhsa_exception_fp_ieee_div_zero 0
		.amdhsa_exception_fp_ieee_overflow 0
		.amdhsa_exception_fp_ieee_underflow 0
		.amdhsa_exception_fp_ieee_inexact 0
		.amdhsa_exception_int_div_zero 0
	.end_amdhsa_kernel
	.section	.text._ZL18rocblas_dot_kernelIiLb1ELi1024ELi32ELb1E19rocblas_complex_numIfEPKS1_S1_EviT5_lT_lS4_lS5_liPT6_PT4_,"axG",@progbits,_ZL18rocblas_dot_kernelIiLb1ELi1024ELi32ELb1E19rocblas_complex_numIfEPKS1_S1_EviT5_lT_lS4_lS5_liPT6_PT4_,comdat
.Lfunc_end57:
	.size	_ZL18rocblas_dot_kernelIiLb1ELi1024ELi32ELb1E19rocblas_complex_numIfEPKS1_S1_EviT5_lT_lS4_lS5_liPT6_PT4_, .Lfunc_end57-_ZL18rocblas_dot_kernelIiLb1ELi1024ELi32ELb1E19rocblas_complex_numIfEPKS1_S1_EviT5_lT_lS4_lS5_liPT6_PT4_
                                        ; -- End function
	.set _ZL18rocblas_dot_kernelIiLb1ELi1024ELi32ELb1E19rocblas_complex_numIfEPKS1_S1_EviT5_lT_lS4_lS5_liPT6_PT4_.num_vgpr, 15
	.set _ZL18rocblas_dot_kernelIiLb1ELi1024ELi32ELb1E19rocblas_complex_numIfEPKS1_S1_EviT5_lT_lS4_lS5_liPT6_PT4_.num_agpr, 0
	.set _ZL18rocblas_dot_kernelIiLb1ELi1024ELi32ELb1E19rocblas_complex_numIfEPKS1_S1_EviT5_lT_lS4_lS5_liPT6_PT4_.numbered_sgpr, 25
	.set _ZL18rocblas_dot_kernelIiLb1ELi1024ELi32ELb1E19rocblas_complex_numIfEPKS1_S1_EviT5_lT_lS4_lS5_liPT6_PT4_.num_named_barrier, 0
	.set _ZL18rocblas_dot_kernelIiLb1ELi1024ELi32ELb1E19rocblas_complex_numIfEPKS1_S1_EviT5_lT_lS4_lS5_liPT6_PT4_.private_seg_size, 0
	.set _ZL18rocblas_dot_kernelIiLb1ELi1024ELi32ELb1E19rocblas_complex_numIfEPKS1_S1_EviT5_lT_lS4_lS5_liPT6_PT4_.uses_vcc, 1
	.set _ZL18rocblas_dot_kernelIiLb1ELi1024ELi32ELb1E19rocblas_complex_numIfEPKS1_S1_EviT5_lT_lS4_lS5_liPT6_PT4_.uses_flat_scratch, 0
	.set _ZL18rocblas_dot_kernelIiLb1ELi1024ELi32ELb1E19rocblas_complex_numIfEPKS1_S1_EviT5_lT_lS4_lS5_liPT6_PT4_.has_dyn_sized_stack, 0
	.set _ZL18rocblas_dot_kernelIiLb1ELi1024ELi32ELb1E19rocblas_complex_numIfEPKS1_S1_EviT5_lT_lS4_lS5_liPT6_PT4_.has_recursion, 0
	.set _ZL18rocblas_dot_kernelIiLb1ELi1024ELi32ELb1E19rocblas_complex_numIfEPKS1_S1_EviT5_lT_lS4_lS5_liPT6_PT4_.has_indirect_call, 0
	.section	.AMDGPU.csdata,"",@progbits
; Kernel info:
; codeLenInByte = 1120
; TotalNumSgprs: 29
; NumVgprs: 15
; ScratchSize: 0
; MemoryBound: 0
; FloatMode: 240
; IeeeMode: 1
; LDSByteSize: 512 bytes/workgroup (compile time only)
; SGPRBlocks: 3
; VGPRBlocks: 3
; NumSGPRsForWavesPerEU: 29
; NumVGPRsForWavesPerEU: 15
; Occupancy: 10
; WaveLimiterHint : 0
; COMPUTE_PGM_RSRC2:SCRATCH_EN: 0
; COMPUTE_PGM_RSRC2:USER_SGPR: 6
; COMPUTE_PGM_RSRC2:TRAP_HANDLER: 0
; COMPUTE_PGM_RSRC2:TGID_X_EN: 1
; COMPUTE_PGM_RSRC2:TGID_Y_EN: 0
; COMPUTE_PGM_RSRC2:TGID_Z_EN: 1
; COMPUTE_PGM_RSRC2:TIDIG_COMP_CNT: 0
	.section	.text._ZL24rocblas_dot_kernel_magsqIiLb1ELi1024ELi32ELb1E19rocblas_complex_numIfEPKS1_S1_EviT5_lT_liPT6_PT4_,"axG",@progbits,_ZL24rocblas_dot_kernel_magsqIiLb1ELi1024ELi32ELb1E19rocblas_complex_numIfEPKS1_S1_EviT5_lT_liPT6_PT4_,comdat
	.globl	_ZL24rocblas_dot_kernel_magsqIiLb1ELi1024ELi32ELb1E19rocblas_complex_numIfEPKS1_S1_EviT5_lT_liPT6_PT4_ ; -- Begin function _ZL24rocblas_dot_kernel_magsqIiLb1ELi1024ELi32ELb1E19rocblas_complex_numIfEPKS1_S1_EviT5_lT_liPT6_PT4_
	.p2align	8
	.type	_ZL24rocblas_dot_kernel_magsqIiLb1ELi1024ELi32ELb1E19rocblas_complex_numIfEPKS1_S1_EviT5_lT_liPT6_PT4_,@function
_ZL24rocblas_dot_kernel_magsqIiLb1ELi1024ELi32ELb1E19rocblas_complex_numIfEPKS1_S1_EviT5_lT_liPT6_PT4_: ; @_ZL24rocblas_dot_kernel_magsqIiLb1ELi1024ELi32ELb1E19rocblas_complex_numIfEPKS1_S1_EviT5_lT_liPT6_PT4_
; %bb.0:
	s_mov_b32 s2, s7
	s_load_dword s12, s[4:5], 0x0
	s_load_dwordx2 s[6:7], s[4:5], 0x38
	s_mov_b32 s3, 0
	v_mov_b32_e32 v3, 0
	v_mov_b32_e32 v5, 0
	s_waitcnt lgkmcnt(0)
	v_cmp_gt_i32_e32 vcc, s12, v0
	s_and_saveexec_b64 s[8:9], vcc
	s_cbranch_execz .LBB58_4
; %bb.1:
	s_load_dword s10, s[4:5], 0x40
	s_load_dwordx2 s[0:1], s[4:5], 0x20
	s_load_dwordx4 s[16:19], s[4:5], 0x8
	s_load_dword s11, s[4:5], 0x18
	v_mov_b32_e32 v5, 0
	s_waitcnt lgkmcnt(0)
	s_lshl_b32 s13, s10, 10
	s_mul_i32 s1, s1, s2
	s_mul_hi_u32 s10, s0, s2
	v_mad_i64_i32 v[1:2], s[4:5], s11, v0, 0
	s_add_i32 s1, s10, s1
	s_mul_i32 s0, s0, s2
	s_lshl_b64 s[0:1], s[0:1], 3
	s_lshl_b64 s[4:5], s[18:19], 3
	s_add_u32 s4, s16, s4
	s_addc_u32 s5, s17, s5
	v_lshlrev_b64 v[1:2], 3, v[1:2]
	s_add_u32 s0, s4, s0
	s_addc_u32 s1, s5, s1
	v_mov_b32_e32 v3, s1
	v_add_co_u32_e32 v1, vcc, s0, v1
	s_mul_hi_i32 s1, s11, s13
	s_mul_i32 s0, s11, s13
	s_lshl_b64 s[4:5], s[0:1], 3
	v_or_b32_e32 v4, s13, v0
	v_addc_co_u32_e32 v2, vcc, v3, v2, vcc
	v_mov_b32_e32 v3, 0
	s_mov_b64 s[10:11], 0
	v_mov_b32_e32 v6, s5
	s_mov_b32 s5, s3
.LBB58_2:                               ; =>This Inner Loop Header: Depth=1
	global_load_dwordx2 v[7:8], v[1:2], off
	s_add_i32 s14, s5, 1
	v_add_co_u32_e64 v1, s[0:1], s4, v1
	v_addc_co_u32_e64 v2, s[0:1], v2, v6, s[0:1]
	s_cmp_gt_u32 s5, 30
	v_cmp_le_i32_e32 vcc, s12, v4
	s_cselect_b64 s[0:1], -1, 0
	s_or_b64 s[0:1], s[0:1], vcc
	s_and_b64 s[0:1], exec, s[0:1]
	v_add_u32_e32 v4, s13, v4
	s_mov_b32 s5, s14
	s_or_b64 s[10:11], s[0:1], s[10:11]
	s_waitcnt vmcnt(0)
	v_mul_f32_e32 v9, v8, v8
	v_mul_f32_e32 v10, v7, v8
	v_fmac_f32_e32 v9, v7, v7
	v_fma_f32 v7, v7, v8, -v10
	v_add_f32_e32 v5, v5, v9
	v_add_f32_e32 v3, v3, v7
	s_andn2_b64 exec, exec, s[10:11]
	s_cbranch_execnz .LBB58_2
; %bb.3:
	s_or_b64 exec, exec, s[10:11]
.LBB58_4:
	s_or_b64 exec, exec, s[8:9]
	v_and_b32_e32 v1, 63, v0
	v_cmp_gt_u32_e32 vcc, 64, v0
	v_lshlrev_b32_e32 v4, 3, v1
	s_and_saveexec_b64 s[0:1], vcc
; %bb.5:
	v_mov_b32_e32 v6, 0
	v_mov_b32_e32 v7, v6
	ds_write_b64 v4, v[6:7]
; %bb.6:
	s_or_b64 exec, exec, s[0:1]
	v_mbcnt_lo_u32_b32 v2, -1, 0
	v_mbcnt_hi_u32_b32 v7, -1, v2
	v_mov_b32_e32 v2, 0x80
	v_lshl_or_b32 v2, v7, 2, v2
	ds_bpermute_b32 v6, v2, v5
	ds_bpermute_b32 v2, v2, v3
	v_and_b32_e32 v9, 63, v7
	v_cmp_gt_u32_e64 s[0:1], 48, v9
	s_waitcnt lgkmcnt(0)
	v_add_f32_e32 v5, v5, v6
	v_add_f32_e32 v2, v3, v2
	v_cndmask_b32_e64 v3, 0, 16, s[0:1]
	v_add_lshl_u32 v3, v3, v7, 2
	ds_bpermute_b32 v6, v3, v5
	ds_bpermute_b32 v3, v3, v2
	v_cmp_gt_u32_e64 s[0:1], 56, v9
	s_waitcnt lgkmcnt(0)
	s_barrier
	v_add_f32_e32 v5, v5, v6
	v_add_f32_e32 v2, v2, v3
	v_cndmask_b32_e64 v3, 0, 8, s[0:1]
	v_add_lshl_u32 v3, v3, v7, 2
	ds_bpermute_b32 v6, v3, v5
	ds_bpermute_b32 v8, v3, v2
	v_cmp_gt_u32_e64 s[0:1], 60, v9
	s_waitcnt lgkmcnt(1)
	v_add_f32_e32 v6, v5, v6
	v_cndmask_b32_e64 v5, 0, 4, s[0:1]
	s_waitcnt lgkmcnt(0)
	v_add_f32_e32 v2, v2, v8
	v_add_lshl_u32 v5, v5, v7, 2
	ds_bpermute_b32 v10, v5, v2
	ds_bpermute_b32 v8, v5, v6
	v_cmp_gt_u32_e64 s[0:1], 62, v9
	s_waitcnt lgkmcnt(1)
	v_add_f32_e32 v10, v2, v10
	v_cndmask_b32_e64 v2, 0, 2, s[0:1]
	s_waitcnt lgkmcnt(0)
	v_add_f32_e32 v8, v6, v8
	v_add_lshl_u32 v6, v2, v7, 2
	ds_bpermute_b32 v2, v6, v8
	ds_bpermute_b32 v11, v6, v10
	v_cmp_ne_u32_e64 s[0:1], 63, v9
	v_addc_co_u32_e64 v7, s[0:1], 0, v7, s[0:1]
	s_waitcnt lgkmcnt(1)
	v_add_f32_e32 v2, v8, v2
	s_waitcnt lgkmcnt(0)
	v_add_f32_e32 v8, v10, v11
	v_lshlrev_b32_e32 v7, 2, v7
	ds_bpermute_b32 v9, v7, v2
	ds_bpermute_b32 v10, v7, v8
	v_cmp_eq_u32_e64 s[0:1], 0, v1
	s_and_saveexec_b64 s[4:5], s[0:1]
	s_cbranch_execz .LBB58_8
; %bb.7:
	s_waitcnt lgkmcnt(1)
	v_add_f32_e32 v1, v2, v9
	s_waitcnt lgkmcnt(0)
	v_add_f32_e32 v2, v8, v10
	v_lshrrev_b32_e32 v8, 3, v0
	v_and_b32_e32 v8, 0x78, v8
	ds_write_b64 v8, v[1:2]
.LBB58_8:
	s_or_b64 exec, exec, s[4:5]
	v_cmp_gt_u32_e64 s[0:1], 16, v0
	v_mov_b32_e32 v2, 0
	v_mov_b32_e32 v1, 0
	s_waitcnt lgkmcnt(0)
	s_barrier
	s_and_saveexec_b64 s[4:5], s[0:1]
	s_cbranch_execnz .LBB58_12
; %bb.9:
	s_or_b64 exec, exec, s[4:5]
	s_and_saveexec_b64 s[0:1], vcc
	s_cbranch_execnz .LBB58_13
.LBB58_10:
	s_or_b64 exec, exec, s[0:1]
	v_cmp_eq_u32_e32 vcc, 0, v0
	s_and_saveexec_b64 s[0:1], vcc
	s_cbranch_execnz .LBB58_14
.LBB58_11:
	s_endpgm
.LBB58_12:
	ds_read_b64 v[1:2], v4
	s_or_b64 exec, exec, s[4:5]
	s_and_saveexec_b64 s[0:1], vcc
	s_cbranch_execz .LBB58_10
.LBB58_13:
	s_waitcnt lgkmcnt(0)
	ds_bpermute_b32 v4, v3, v1
	ds_bpermute_b32 v3, v3, v2
	s_waitcnt lgkmcnt(1)
	v_add_f32_e32 v1, v1, v4
	s_waitcnt lgkmcnt(0)
	v_add_f32_e32 v2, v2, v3
	ds_bpermute_b32 v3, v5, v1
	ds_bpermute_b32 v4, v5, v2
	s_waitcnt lgkmcnt(1)
	v_add_f32_e32 v1, v1, v3
	s_waitcnt lgkmcnt(0)
	v_add_f32_e32 v2, v2, v4
	;; [unrolled: 6-line block ×4, first 2 shown]
	s_or_b64 exec, exec, s[0:1]
	v_cmp_eq_u32_e32 vcc, 0, v0
	s_and_saveexec_b64 s[0:1], vcc
	s_cbranch_execz .LBB58_11
.LBB58_14:
	s_lshl_b64 s[0:1], s[2:3], 3
	s_add_u32 s0, s6, s0
	s_addc_u32 s1, s7, s1
	v_mov_b32_e32 v0, 0
	s_waitcnt lgkmcnt(0)
	global_store_dwordx2 v0, v[1:2], s[0:1]
	s_endpgm
	.section	.rodata,"a",@progbits
	.p2align	6, 0x0
	.amdhsa_kernel _ZL24rocblas_dot_kernel_magsqIiLb1ELi1024ELi32ELb1E19rocblas_complex_numIfEPKS1_S1_EviT5_lT_liPT6_PT4_
		.amdhsa_group_segment_fixed_size 512
		.amdhsa_private_segment_fixed_size 0
		.amdhsa_kernarg_size 320
		.amdhsa_user_sgpr_count 6
		.amdhsa_user_sgpr_private_segment_buffer 1
		.amdhsa_user_sgpr_dispatch_ptr 0
		.amdhsa_user_sgpr_queue_ptr 0
		.amdhsa_user_sgpr_kernarg_segment_ptr 1
		.amdhsa_user_sgpr_dispatch_id 0
		.amdhsa_user_sgpr_flat_scratch_init 0
		.amdhsa_user_sgpr_private_segment_size 0
		.amdhsa_uses_dynamic_stack 0
		.amdhsa_system_sgpr_private_segment_wavefront_offset 0
		.amdhsa_system_sgpr_workgroup_id_x 1
		.amdhsa_system_sgpr_workgroup_id_y 0
		.amdhsa_system_sgpr_workgroup_id_z 1
		.amdhsa_system_sgpr_workgroup_info 0
		.amdhsa_system_vgpr_workitem_id 0
		.amdhsa_next_free_vgpr 12
		.amdhsa_next_free_sgpr 20
		.amdhsa_reserve_vcc 1
		.amdhsa_reserve_flat_scratch 0
		.amdhsa_float_round_mode_32 0
		.amdhsa_float_round_mode_16_64 0
		.amdhsa_float_denorm_mode_32 3
		.amdhsa_float_denorm_mode_16_64 3
		.amdhsa_dx10_clamp 1
		.amdhsa_ieee_mode 1
		.amdhsa_fp16_overflow 0
		.amdhsa_exception_fp_ieee_invalid_op 0
		.amdhsa_exception_fp_denorm_src 0
		.amdhsa_exception_fp_ieee_div_zero 0
		.amdhsa_exception_fp_ieee_overflow 0
		.amdhsa_exception_fp_ieee_underflow 0
		.amdhsa_exception_fp_ieee_inexact 0
		.amdhsa_exception_int_div_zero 0
	.end_amdhsa_kernel
	.section	.text._ZL24rocblas_dot_kernel_magsqIiLb1ELi1024ELi32ELb1E19rocblas_complex_numIfEPKS1_S1_EviT5_lT_liPT6_PT4_,"axG",@progbits,_ZL24rocblas_dot_kernel_magsqIiLb1ELi1024ELi32ELb1E19rocblas_complex_numIfEPKS1_S1_EviT5_lT_liPT6_PT4_,comdat
.Lfunc_end58:
	.size	_ZL24rocblas_dot_kernel_magsqIiLb1ELi1024ELi32ELb1E19rocblas_complex_numIfEPKS1_S1_EviT5_lT_liPT6_PT4_, .Lfunc_end58-_ZL24rocblas_dot_kernel_magsqIiLb1ELi1024ELi32ELb1E19rocblas_complex_numIfEPKS1_S1_EviT5_lT_liPT6_PT4_
                                        ; -- End function
	.set _ZL24rocblas_dot_kernel_magsqIiLb1ELi1024ELi32ELb1E19rocblas_complex_numIfEPKS1_S1_EviT5_lT_liPT6_PT4_.num_vgpr, 12
	.set _ZL24rocblas_dot_kernel_magsqIiLb1ELi1024ELi32ELb1E19rocblas_complex_numIfEPKS1_S1_EviT5_lT_liPT6_PT4_.num_agpr, 0
	.set _ZL24rocblas_dot_kernel_magsqIiLb1ELi1024ELi32ELb1E19rocblas_complex_numIfEPKS1_S1_EviT5_lT_liPT6_PT4_.numbered_sgpr, 20
	.set _ZL24rocblas_dot_kernel_magsqIiLb1ELi1024ELi32ELb1E19rocblas_complex_numIfEPKS1_S1_EviT5_lT_liPT6_PT4_.num_named_barrier, 0
	.set _ZL24rocblas_dot_kernel_magsqIiLb1ELi1024ELi32ELb1E19rocblas_complex_numIfEPKS1_S1_EviT5_lT_liPT6_PT4_.private_seg_size, 0
	.set _ZL24rocblas_dot_kernel_magsqIiLb1ELi1024ELi32ELb1E19rocblas_complex_numIfEPKS1_S1_EviT5_lT_liPT6_PT4_.uses_vcc, 1
	.set _ZL24rocblas_dot_kernel_magsqIiLb1ELi1024ELi32ELb1E19rocblas_complex_numIfEPKS1_S1_EviT5_lT_liPT6_PT4_.uses_flat_scratch, 0
	.set _ZL24rocblas_dot_kernel_magsqIiLb1ELi1024ELi32ELb1E19rocblas_complex_numIfEPKS1_S1_EviT5_lT_liPT6_PT4_.has_dyn_sized_stack, 0
	.set _ZL24rocblas_dot_kernel_magsqIiLb1ELi1024ELi32ELb1E19rocblas_complex_numIfEPKS1_S1_EviT5_lT_liPT6_PT4_.has_recursion, 0
	.set _ZL24rocblas_dot_kernel_magsqIiLb1ELi1024ELi32ELb1E19rocblas_complex_numIfEPKS1_S1_EviT5_lT_liPT6_PT4_.has_indirect_call, 0
	.section	.AMDGPU.csdata,"",@progbits
; Kernel info:
; codeLenInByte = 980
; TotalNumSgprs: 24
; NumVgprs: 12
; ScratchSize: 0
; MemoryBound: 0
; FloatMode: 240
; IeeeMode: 1
; LDSByteSize: 512 bytes/workgroup (compile time only)
; SGPRBlocks: 2
; VGPRBlocks: 2
; NumSGPRsForWavesPerEU: 24
; NumVGPRsForWavesPerEU: 12
; Occupancy: 10
; WaveLimiterHint : 0
; COMPUTE_PGM_RSRC2:SCRATCH_EN: 0
; COMPUTE_PGM_RSRC2:USER_SGPR: 6
; COMPUTE_PGM_RSRC2:TRAP_HANDLER: 0
; COMPUTE_PGM_RSRC2:TGID_X_EN: 1
; COMPUTE_PGM_RSRC2:TGID_Y_EN: 0
; COMPUTE_PGM_RSRC2:TGID_Z_EN: 1
; COMPUTE_PGM_RSRC2:TIDIG_COMP_CNT: 0
	.section	.text._ZL23rocblas_dot_kernel_inc1ILb0ELi512ELi2ELb1E19rocblas_complex_numIfEPKS1_S1_EviT4_llS4_lliPT5_PT3_,"axG",@progbits,_ZL23rocblas_dot_kernel_inc1ILb0ELi512ELi2ELb1E19rocblas_complex_numIfEPKS1_S1_EviT4_llS4_lliPT5_PT3_,comdat
	.globl	_ZL23rocblas_dot_kernel_inc1ILb0ELi512ELi2ELb1E19rocblas_complex_numIfEPKS1_S1_EviT4_llS4_lliPT5_PT3_ ; -- Begin function _ZL23rocblas_dot_kernel_inc1ILb0ELi512ELi2ELb1E19rocblas_complex_numIfEPKS1_S1_EviT4_llS4_lliPT5_PT3_
	.p2align	8
	.type	_ZL23rocblas_dot_kernel_inc1ILb0ELi512ELi2ELb1E19rocblas_complex_numIfEPKS1_S1_EviT4_llS4_lliPT5_PT3_,@function
_ZL23rocblas_dot_kernel_inc1ILb0ELi512ELi2ELb1E19rocblas_complex_numIfEPKS1_S1_EviT4_llS4_lliPT5_PT3_: ; @_ZL23rocblas_dot_kernel_inc1ILb0ELi512ELi2ELb1E19rocblas_complex_numIfEPKS1_S1_EviT4_llS4_lliPT5_PT3_
; %bb.0:
	s_mov_b32 s2, s7
	s_load_dword s7, s[4:5], 0x0
	s_load_dword s10, s[4:5], 0x50
	v_lshl_or_b32 v1, s6, 9, v0
	s_mov_b32 s3, 0
	v_mov_b32_e32 v4, 0
	s_waitcnt lgkmcnt(0)
	v_cmp_gt_i32_e32 vcc, s7, v1
	v_mov_b32_e32 v5, 0
	s_and_saveexec_b64 s[0:1], vcc
	s_cbranch_execz .LBB59_4
; %bb.1:
	s_load_dwordx4 s[12:15], s[4:5], 0x10
	s_load_dwordx2 s[8:9], s[4:5], 0x8
	s_load_dwordx2 s[20:21], s[4:5], 0x20
	s_load_dwordx4 s[16:19], s[4:5], 0x28
	v_ashrrev_i32_e32 v2, 31, v1
	s_waitcnt lgkmcnt(0)
	s_mul_i32 s11, s15, s2
	s_mul_hi_u32 s15, s14, s2
	s_add_i32 s15, s15, s11
	s_mul_i32 s14, s14, s2
	s_lshl_b64 s[14:15], s[14:15], 3
	s_add_u32 s11, s8, s14
	s_addc_u32 s14, s9, s15
	s_lshl_b64 s[8:9], s[12:13], 3
	s_add_u32 s11, s11, s8
	s_addc_u32 s12, s14, s9
	s_mul_i32 s8, s19, s2
	s_mul_hi_u32 s9, s18, s2
	s_add_i32 s9, s9, s8
	s_mul_i32 s8, s18, s2
	s_lshl_b64 s[8:9], s[8:9], 3
	s_add_u32 s13, s20, s8
	s_addc_u32 s14, s21, s9
	s_lshl_b64 s[8:9], s[16:17], 3
	s_add_u32 s13, s13, s8
	v_lshlrev_b64 v[1:2], 3, v[1:2]
	s_addc_u32 s14, s14, s9
	v_mov_b32_e32 v4, s14
	v_add_co_u32_e32 v3, vcc, s13, v1
	v_addc_co_u32_e32 v4, vcc, v4, v2, vcc
	v_mov_b32_e32 v5, s12
	v_add_co_u32_e32 v1, vcc, s11, v1
	v_addc_co_u32_e32 v2, vcc, v5, v2, vcc
	global_load_dwordx2 v[5:6], v[1:2], off
	global_load_dwordx2 v[7:8], v[3:4], off
	s_add_i32 s8, s6, s10
	v_lshl_or_b32 v1, s8, 9, v0
	v_cmp_gt_i32_e32 vcc, s7, v1
	s_waitcnt vmcnt(0)
	v_mul_f32_e32 v2, v6, v8
	v_mul_f32_e32 v3, v6, v7
	v_fmac_f32_e32 v2, v5, v7
	v_fma_f32 v3, v5, v8, -v3
	v_add_f32_e32 v4, 0, v2
	v_add_f32_e32 v5, 0, v3
	s_and_saveexec_b64 s[8:9], vcc
	s_cbranch_execz .LBB59_3
; %bb.2:
	v_ashrrev_i32_e32 v2, 31, v1
	v_lshlrev_b64 v[1:2], 3, v[1:2]
	v_mov_b32_e32 v3, s12
	v_add_co_u32_e32 v6, vcc, s11, v1
	v_addc_co_u32_e32 v7, vcc, v3, v2, vcc
	v_mov_b32_e32 v3, s14
	v_add_co_u32_e32 v1, vcc, s13, v1
	v_addc_co_u32_e32 v2, vcc, v3, v2, vcc
	global_load_dwordx2 v[6:7], v[6:7], off
	s_nop 0
	global_load_dwordx2 v[1:2], v[1:2], off
	s_waitcnt vmcnt(0)
	v_mul_f32_e32 v3, v7, v1
	v_mul_f32_e32 v7, v7, v2
	v_fma_f32 v2, v6, v2, -v3
	v_fmac_f32_e32 v7, v6, v1
	v_add_f32_e32 v5, v5, v2
	v_add_f32_e32 v4, v4, v7
.LBB59_3:
	s_or_b64 exec, exec, s[8:9]
.LBB59_4:
	s_or_b64 exec, exec, s[0:1]
	v_and_b32_e32 v1, 63, v0
	v_cmp_gt_u32_e32 vcc, 64, v0
	v_lshlrev_b32_e32 v3, 3, v1
	s_and_saveexec_b64 s[0:1], vcc
; %bb.5:
	v_mov_b32_e32 v6, 0
	v_mov_b32_e32 v7, v6
	ds_write_b64 v3, v[6:7]
; %bb.6:
	s_or_b64 exec, exec, s[0:1]
	v_mbcnt_lo_u32_b32 v2, -1, 0
	v_mbcnt_hi_u32_b32 v6, -1, v2
	v_mov_b32_e32 v2, 0x80
	v_lshl_or_b32 v2, v6, 2, v2
	ds_bpermute_b32 v7, v2, v4
	ds_bpermute_b32 v2, v2, v5
	v_and_b32_e32 v8, 63, v6
	v_cmp_gt_u32_e64 s[0:1], 48, v8
	s_waitcnt lgkmcnt(0)
	v_add_f32_e32 v4, v4, v7
	v_add_f32_e32 v2, v5, v2
	v_cndmask_b32_e64 v5, 0, 16, s[0:1]
	v_add_lshl_u32 v5, v5, v6, 2
	ds_bpermute_b32 v7, v5, v4
	ds_bpermute_b32 v5, v5, v2
	v_cmp_gt_u32_e64 s[0:1], 56, v8
	s_waitcnt lgkmcnt(0)
	s_barrier
	v_add_f32_e32 v4, v4, v7
	v_add_f32_e32 v2, v2, v5
	v_cndmask_b32_e64 v5, 0, 8, s[0:1]
	v_add_lshl_u32 v5, v5, v6, 2
	ds_bpermute_b32 v7, v5, v4
	ds_bpermute_b32 v5, v5, v2
	v_cmp_gt_u32_e64 s[0:1], 60, v8
	s_waitcnt lgkmcnt(1)
	v_add_f32_e32 v7, v4, v7
	v_cndmask_b32_e64 v4, 0, 4, s[0:1]
	s_waitcnt lgkmcnt(0)
	v_add_f32_e32 v2, v2, v5
	v_add_lshl_u32 v4, v4, v6, 2
	ds_bpermute_b32 v9, v4, v2
	ds_bpermute_b32 v5, v4, v7
	v_cmp_gt_u32_e64 s[0:1], 62, v8
	s_waitcnt lgkmcnt(1)
	v_add_f32_e32 v9, v2, v9
	v_cndmask_b32_e64 v2, 0, 2, s[0:1]
	s_waitcnt lgkmcnt(0)
	v_add_f32_e32 v7, v7, v5
	v_add_lshl_u32 v5, v2, v6, 2
	ds_bpermute_b32 v2, v5, v7
	ds_bpermute_b32 v10, v5, v9
	v_cmp_ne_u32_e64 s[0:1], 63, v8
	v_addc_co_u32_e64 v6, s[0:1], 0, v6, s[0:1]
	s_waitcnt lgkmcnt(1)
	v_add_f32_e32 v2, v7, v2
	s_waitcnt lgkmcnt(0)
	v_add_f32_e32 v7, v9, v10
	v_lshlrev_b32_e32 v6, 2, v6
	ds_bpermute_b32 v8, v6, v2
	ds_bpermute_b32 v9, v6, v7
	v_cmp_eq_u32_e64 s[0:1], 0, v1
	s_and_saveexec_b64 s[8:9], s[0:1]
	s_cbranch_execz .LBB59_8
; %bb.7:
	s_waitcnt lgkmcnt(1)
	v_add_f32_e32 v1, v2, v8
	s_waitcnt lgkmcnt(0)
	v_add_f32_e32 v2, v7, v9
	v_lshrrev_b32_e32 v7, 3, v0
	v_and_b32_e32 v7, 56, v7
	ds_write_b64 v7, v[1:2]
.LBB59_8:
	s_or_b64 exec, exec, s[8:9]
	v_cmp_gt_u32_e64 s[0:1], 8, v0
	v_mov_b32_e32 v2, 0
	v_mov_b32_e32 v1, 0
	s_waitcnt lgkmcnt(0)
	s_barrier
	s_and_saveexec_b64 s[8:9], s[0:1]
	s_cbranch_execnz .LBB59_12
; %bb.9:
	s_or_b64 exec, exec, s[8:9]
	s_and_saveexec_b64 s[0:1], vcc
	s_cbranch_execnz .LBB59_13
.LBB59_10:
	s_or_b64 exec, exec, s[0:1]
	v_cmp_eq_u32_e32 vcc, 0, v0
	s_and_saveexec_b64 s[0:1], vcc
	s_cbranch_execnz .LBB59_14
.LBB59_11:
	s_endpgm
.LBB59_12:
	ds_read_b64 v[1:2], v3
	s_or_b64 exec, exec, s[8:9]
	s_and_saveexec_b64 s[0:1], vcc
	s_cbranch_execz .LBB59_10
.LBB59_13:
	s_waitcnt lgkmcnt(0)
	ds_bpermute_b32 v3, v4, v1
	ds_bpermute_b32 v4, v4, v2
	s_waitcnt lgkmcnt(1)
	v_add_f32_e32 v1, v1, v3
	s_waitcnt lgkmcnt(0)
	v_add_f32_e32 v2, v2, v4
	ds_bpermute_b32 v3, v5, v1
	ds_bpermute_b32 v4, v5, v2
	s_waitcnt lgkmcnt(1)
	v_add_f32_e32 v1, v1, v3
	s_waitcnt lgkmcnt(0)
	v_add_f32_e32 v2, v2, v4
	;; [unrolled: 6-line block ×3, first 2 shown]
	s_or_b64 exec, exec, s[0:1]
	v_cmp_eq_u32_e32 vcc, 0, v0
	s_and_saveexec_b64 s[0:1], vcc
	s_cbranch_execz .LBB59_11
.LBB59_14:
	s_cmp_lg_u32 s10, 1
	s_cbranch_scc0 .LBB59_16
; %bb.15:
	s_load_dwordx2 s[0:1], s[4:5], 0x40
	s_mul_hi_u32 s9, s10, s2
	s_mul_i32 s8, s10, s2
	s_lshl_b64 s[8:9], s[8:9], 3
	s_mov_b32 s7, 0
	s_waitcnt lgkmcnt(0)
	s_add_u32 s8, s0, s8
	s_addc_u32 s9, s1, s9
	s_lshl_b64 s[0:1], s[6:7], 3
	s_add_u32 s0, s8, s0
	s_addc_u32 s1, s9, s1
	v_mov_b32_e32 v0, 0
	global_store_dword v0, v1, s[0:1]
	s_cbranch_execz .LBB59_17
	s_branch .LBB59_18
.LBB59_16:
                                        ; implicit-def: $sgpr0_sgpr1
.LBB59_17:
	s_load_dwordx2 s[0:1], s[4:5], 0x48
	s_lshl_b64 s[2:3], s[2:3], 3
	v_mov_b32_e32 v0, 0
	s_waitcnt lgkmcnt(0)
	s_add_u32 s0, s0, s2
	s_addc_u32 s1, s1, s3
	global_store_dword v0, v1, s[0:1]
.LBB59_18:
	v_mov_b32_e32 v0, 0
	s_waitcnt lgkmcnt(0)
	global_store_dword v0, v2, s[0:1] offset:4
	s_endpgm
	.section	.rodata,"a",@progbits
	.p2align	6, 0x0
	.amdhsa_kernel _ZL23rocblas_dot_kernel_inc1ILb0ELi512ELi2ELb1E19rocblas_complex_numIfEPKS1_S1_EviT4_llS4_lliPT5_PT3_
		.amdhsa_group_segment_fixed_size 512
		.amdhsa_private_segment_fixed_size 0
		.amdhsa_kernarg_size 336
		.amdhsa_user_sgpr_count 6
		.amdhsa_user_sgpr_private_segment_buffer 1
		.amdhsa_user_sgpr_dispatch_ptr 0
		.amdhsa_user_sgpr_queue_ptr 0
		.amdhsa_user_sgpr_kernarg_segment_ptr 1
		.amdhsa_user_sgpr_dispatch_id 0
		.amdhsa_user_sgpr_flat_scratch_init 0
		.amdhsa_user_sgpr_private_segment_size 0
		.amdhsa_uses_dynamic_stack 0
		.amdhsa_system_sgpr_private_segment_wavefront_offset 0
		.amdhsa_system_sgpr_workgroup_id_x 1
		.amdhsa_system_sgpr_workgroup_id_y 0
		.amdhsa_system_sgpr_workgroup_id_z 1
		.amdhsa_system_sgpr_workgroup_info 0
		.amdhsa_system_vgpr_workitem_id 0
		.amdhsa_next_free_vgpr 11
		.amdhsa_next_free_sgpr 22
		.amdhsa_reserve_vcc 1
		.amdhsa_reserve_flat_scratch 0
		.amdhsa_float_round_mode_32 0
		.amdhsa_float_round_mode_16_64 0
		.amdhsa_float_denorm_mode_32 3
		.amdhsa_float_denorm_mode_16_64 3
		.amdhsa_dx10_clamp 1
		.amdhsa_ieee_mode 1
		.amdhsa_fp16_overflow 0
		.amdhsa_exception_fp_ieee_invalid_op 0
		.amdhsa_exception_fp_denorm_src 0
		.amdhsa_exception_fp_ieee_div_zero 0
		.amdhsa_exception_fp_ieee_overflow 0
		.amdhsa_exception_fp_ieee_underflow 0
		.amdhsa_exception_fp_ieee_inexact 0
		.amdhsa_exception_int_div_zero 0
	.end_amdhsa_kernel
	.section	.text._ZL23rocblas_dot_kernel_inc1ILb0ELi512ELi2ELb1E19rocblas_complex_numIfEPKS1_S1_EviT4_llS4_lliPT5_PT3_,"axG",@progbits,_ZL23rocblas_dot_kernel_inc1ILb0ELi512ELi2ELb1E19rocblas_complex_numIfEPKS1_S1_EviT4_llS4_lliPT5_PT3_,comdat
.Lfunc_end59:
	.size	_ZL23rocblas_dot_kernel_inc1ILb0ELi512ELi2ELb1E19rocblas_complex_numIfEPKS1_S1_EviT4_llS4_lliPT5_PT3_, .Lfunc_end59-_ZL23rocblas_dot_kernel_inc1ILb0ELi512ELi2ELb1E19rocblas_complex_numIfEPKS1_S1_EviT4_llS4_lliPT5_PT3_
                                        ; -- End function
	.set _ZL23rocblas_dot_kernel_inc1ILb0ELi512ELi2ELb1E19rocblas_complex_numIfEPKS1_S1_EviT4_llS4_lliPT5_PT3_.num_vgpr, 11
	.set _ZL23rocblas_dot_kernel_inc1ILb0ELi512ELi2ELb1E19rocblas_complex_numIfEPKS1_S1_EviT4_llS4_lliPT5_PT3_.num_agpr, 0
	.set _ZL23rocblas_dot_kernel_inc1ILb0ELi512ELi2ELb1E19rocblas_complex_numIfEPKS1_S1_EviT4_llS4_lliPT5_PT3_.numbered_sgpr, 22
	.set _ZL23rocblas_dot_kernel_inc1ILb0ELi512ELi2ELb1E19rocblas_complex_numIfEPKS1_S1_EviT4_llS4_lliPT5_PT3_.num_named_barrier, 0
	.set _ZL23rocblas_dot_kernel_inc1ILb0ELi512ELi2ELb1E19rocblas_complex_numIfEPKS1_S1_EviT4_llS4_lliPT5_PT3_.private_seg_size, 0
	.set _ZL23rocblas_dot_kernel_inc1ILb0ELi512ELi2ELb1E19rocblas_complex_numIfEPKS1_S1_EviT4_llS4_lliPT5_PT3_.uses_vcc, 1
	.set _ZL23rocblas_dot_kernel_inc1ILb0ELi512ELi2ELb1E19rocblas_complex_numIfEPKS1_S1_EviT4_llS4_lliPT5_PT3_.uses_flat_scratch, 0
	.set _ZL23rocblas_dot_kernel_inc1ILb0ELi512ELi2ELb1E19rocblas_complex_numIfEPKS1_S1_EviT4_llS4_lliPT5_PT3_.has_dyn_sized_stack, 0
	.set _ZL23rocblas_dot_kernel_inc1ILb0ELi512ELi2ELb1E19rocblas_complex_numIfEPKS1_S1_EviT4_llS4_lliPT5_PT3_.has_recursion, 0
	.set _ZL23rocblas_dot_kernel_inc1ILb0ELi512ELi2ELb1E19rocblas_complex_numIfEPKS1_S1_EviT4_llS4_lliPT5_PT3_.has_indirect_call, 0
	.section	.AMDGPU.csdata,"",@progbits
; Kernel info:
; codeLenInByte = 1120
; TotalNumSgprs: 26
; NumVgprs: 11
; ScratchSize: 0
; MemoryBound: 0
; FloatMode: 240
; IeeeMode: 1
; LDSByteSize: 512 bytes/workgroup (compile time only)
; SGPRBlocks: 3
; VGPRBlocks: 2
; NumSGPRsForWavesPerEU: 26
; NumVGPRsForWavesPerEU: 11
; Occupancy: 10
; WaveLimiterHint : 0
; COMPUTE_PGM_RSRC2:SCRATCH_EN: 0
; COMPUTE_PGM_RSRC2:USER_SGPR: 6
; COMPUTE_PGM_RSRC2:TRAP_HANDLER: 0
; COMPUTE_PGM_RSRC2:TGID_X_EN: 1
; COMPUTE_PGM_RSRC2:TGID_Y_EN: 0
; COMPUTE_PGM_RSRC2:TGID_Z_EN: 1
; COMPUTE_PGM_RSRC2:TIDIG_COMP_CNT: 0
	.section	.text._ZL18rocblas_dot_kernelIiLb0ELi512ELi2ELb1E19rocblas_complex_numIfEPKS1_S1_EviT5_lT_lS4_lS5_liPT6_PT4_,"axG",@progbits,_ZL18rocblas_dot_kernelIiLb0ELi512ELi2ELb1E19rocblas_complex_numIfEPKS1_S1_EviT5_lT_lS4_lS5_liPT6_PT4_,comdat
	.globl	_ZL18rocblas_dot_kernelIiLb0ELi512ELi2ELb1E19rocblas_complex_numIfEPKS1_S1_EviT5_lT_lS4_lS5_liPT6_PT4_ ; -- Begin function _ZL18rocblas_dot_kernelIiLb0ELi512ELi2ELb1E19rocblas_complex_numIfEPKS1_S1_EviT5_lT_lS4_lS5_liPT6_PT4_
	.p2align	8
	.type	_ZL18rocblas_dot_kernelIiLb0ELi512ELi2ELb1E19rocblas_complex_numIfEPKS1_S1_EviT5_lT_lS4_lS5_liPT6_PT4_,@function
_ZL18rocblas_dot_kernelIiLb0ELi512ELi2ELb1E19rocblas_complex_numIfEPKS1_S1_EviT5_lT_lS4_lS5_liPT6_PT4_: ; @_ZL18rocblas_dot_kernelIiLb0ELi512ELi2ELb1E19rocblas_complex_numIfEPKS1_S1_EviT5_lT_lS4_lS5_liPT6_PT4_
; %bb.0:
	s_mov_b32 s2, s7
	s_load_dword s7, s[4:5], 0x0
	s_load_dword s10, s[4:5], 0x60
	v_lshl_or_b32 v3, s6, 9, v0
	s_mov_b32 s3, 0
	v_mov_b32_e32 v1, 0
	s_waitcnt lgkmcnt(0)
	v_cmp_gt_i32_e32 vcc, s7, v3
	v_mov_b32_e32 v2, 0
	s_and_saveexec_b64 s[0:1], vcc
	s_cbranch_execz .LBB60_4
; %bb.1:
	s_load_dwordx4 s[16:19], s[4:5], 0x20
	s_load_dwordx4 s[20:23], s[4:5], 0x8
	s_load_dword s12, s[4:5], 0x18
	s_load_dwordx2 s[8:9], s[4:5], 0x30
	s_load_dword s11, s[4:5], 0x38
	s_load_dwordx2 s[24:25], s[4:5], 0x40
	s_waitcnt lgkmcnt(0)
	s_mul_i32 s13, s17, s2
	s_mul_hi_u32 s14, s16, s2
	s_add_i32 s15, s14, s13
	s_mul_i32 s14, s16, s2
	s_lshl_b64 s[14:15], s[14:15], 3
	s_add_u32 s13, s20, s14
	s_addc_u32 s16, s21, s15
	s_lshl_b64 s[14:15], s[22:23], 3
	s_add_u32 s13, s13, s14
	s_addc_u32 s14, s16, s15
	s_mul_i32 s15, s25, s2
	s_mul_hi_u32 s16, s24, s2
	s_add_i32 s17, s16, s15
	s_mul_i32 s16, s24, s2
	s_lshl_b64 s[16:17], s[16:17], 3
	s_add_u32 s15, s18, s16
	s_addc_u32 s18, s19, s17
	v_mad_i64_i32 v[1:2], s[16:17], v3, s11, 0
	s_lshl_b64 s[8:9], s[8:9], 3
	s_add_u32 s15, s15, s8
	s_addc_u32 s16, s18, s9
	v_mad_i64_i32 v[3:4], s[8:9], v3, s12, 0
	v_lshlrev_b64 v[1:2], 3, v[1:2]
	v_mov_b32_e32 v5, s16
	v_add_co_u32_e32 v1, vcc, s15, v1
	v_lshlrev_b64 v[3:4], 3, v[3:4]
	v_addc_co_u32_e32 v2, vcc, v5, v2, vcc
	v_mov_b32_e32 v5, s14
	v_add_co_u32_e32 v3, vcc, s13, v3
	v_addc_co_u32_e32 v4, vcc, v5, v4, vcc
	global_load_dwordx2 v[5:6], v[3:4], off
	global_load_dwordx2 v[7:8], v[1:2], off
	s_add_i32 s8, s6, s10
	v_lshl_or_b32 v3, s8, 9, v0
	v_cmp_gt_i32_e32 vcc, s7, v3
	s_waitcnt vmcnt(0)
	v_mul_f32_e32 v1, v6, v8
	v_mul_f32_e32 v2, v6, v7
	v_fmac_f32_e32 v1, v5, v7
	v_fma_f32 v2, v5, v8, -v2
	v_add_f32_e32 v1, 0, v1
	v_add_f32_e32 v2, 0, v2
	s_and_saveexec_b64 s[8:9], vcc
	s_cbranch_execz .LBB60_3
; %bb.2:
	v_mad_i64_i32 v[4:5], s[18:19], v3, s12, 0
	v_mad_i64_i32 v[6:7], s[18:19], v3, s11, 0
	v_lshlrev_b64 v[4:5], 3, v[4:5]
	v_mov_b32_e32 v8, s14
	v_add_co_u32_e32 v3, vcc, s13, v4
	v_addc_co_u32_e32 v4, vcc, v8, v5, vcc
	v_lshlrev_b64 v[5:6], 3, v[6:7]
	v_mov_b32_e32 v7, s16
	v_add_co_u32_e32 v5, vcc, s15, v5
	v_addc_co_u32_e32 v6, vcc, v7, v6, vcc
	global_load_dwordx2 v[3:4], v[3:4], off
	s_nop 0
	global_load_dwordx2 v[5:6], v[5:6], off
	s_waitcnt vmcnt(0)
	v_mul_f32_e32 v7, v4, v5
	v_mul_f32_e32 v4, v4, v6
	v_fma_f32 v6, v3, v6, -v7
	v_fmac_f32_e32 v4, v3, v5
	v_add_f32_e32 v2, v2, v6
	v_add_f32_e32 v1, v1, v4
.LBB60_3:
	s_or_b64 exec, exec, s[8:9]
.LBB60_4:
	s_or_b64 exec, exec, s[0:1]
	v_and_b32_e32 v5, 63, v0
	v_cmp_gt_u32_e32 vcc, 64, v0
	v_lshlrev_b32_e32 v3, 3, v5
	s_and_saveexec_b64 s[0:1], vcc
; %bb.5:
	v_mov_b32_e32 v6, 0
	v_mov_b32_e32 v7, v6
	ds_write_b64 v3, v[6:7]
; %bb.6:
	s_or_b64 exec, exec, s[0:1]
	v_mbcnt_lo_u32_b32 v4, -1, 0
	v_mbcnt_hi_u32_b32 v7, -1, v4
	v_mov_b32_e32 v4, 0x80
	v_lshl_or_b32 v4, v7, 2, v4
	ds_bpermute_b32 v6, v4, v1
	ds_bpermute_b32 v4, v4, v2
	v_and_b32_e32 v8, 63, v7
	v_cmp_gt_u32_e64 s[0:1], 48, v8
	s_waitcnt lgkmcnt(0)
	v_add_f32_e32 v1, v1, v6
	v_add_f32_e32 v2, v2, v4
	v_cndmask_b32_e64 v4, 0, 16, s[0:1]
	v_add_lshl_u32 v4, v4, v7, 2
	ds_bpermute_b32 v6, v4, v1
	ds_bpermute_b32 v4, v4, v2
	v_cmp_gt_u32_e64 s[0:1], 56, v8
	s_waitcnt lgkmcnt(0)
	s_barrier
	v_add_f32_e32 v1, v1, v6
	v_add_f32_e32 v2, v2, v4
	v_cndmask_b32_e64 v4, 0, 8, s[0:1]
	v_add_lshl_u32 v4, v4, v7, 2
	ds_bpermute_b32 v6, v4, v1
	ds_bpermute_b32 v4, v4, v2
	v_cmp_gt_u32_e64 s[0:1], 60, v8
	s_waitcnt lgkmcnt(1)
	v_add_f32_e32 v1, v1, v6
	s_waitcnt lgkmcnt(0)
	v_add_f32_e32 v2, v2, v4
	v_cndmask_b32_e64 v4, 0, 4, s[0:1]
	v_add_lshl_u32 v4, v4, v7, 2
	ds_bpermute_b32 v6, v4, v1
	ds_bpermute_b32 v9, v4, v2
	v_cmp_gt_u32_e64 s[0:1], 62, v8
	s_waitcnt lgkmcnt(1)
	v_add_f32_e32 v1, v1, v6
	v_cndmask_b32_e64 v6, 0, 2, s[0:1]
	s_waitcnt lgkmcnt(0)
	v_add_f32_e32 v2, v2, v9
	v_add_lshl_u32 v6, v6, v7, 2
	ds_bpermute_b32 v9, v6, v1
	ds_bpermute_b32 v10, v6, v2
	v_cmp_ne_u32_e64 s[0:1], 63, v8
	v_addc_co_u32_e64 v7, s[0:1], 0, v7, s[0:1]
	s_waitcnt lgkmcnt(1)
	v_add_f32_e32 v1, v1, v9
	s_waitcnt lgkmcnt(0)
	v_add_f32_e32 v2, v2, v10
	v_lshlrev_b32_e32 v7, 2, v7
	ds_bpermute_b32 v8, v7, v1
	ds_bpermute_b32 v9, v7, v2
	v_cmp_eq_u32_e64 s[0:1], 0, v5
	s_and_saveexec_b64 s[8:9], s[0:1]
	s_cbranch_execz .LBB60_8
; %bb.7:
	v_lshrrev_b32_e32 v5, 3, v0
	s_waitcnt lgkmcnt(1)
	v_add_f32_e32 v1, v1, v8
	s_waitcnt lgkmcnt(0)
	v_add_f32_e32 v2, v2, v9
	v_and_b32_e32 v5, 56, v5
	ds_write_b64 v5, v[1:2]
.LBB60_8:
	s_or_b64 exec, exec, s[8:9]
	v_cmp_gt_u32_e64 s[0:1], 8, v0
	v_mov_b32_e32 v2, 0
	v_mov_b32_e32 v1, 0
	s_waitcnt lgkmcnt(0)
	s_barrier
	s_and_saveexec_b64 s[8:9], s[0:1]
	s_cbranch_execnz .LBB60_12
; %bb.9:
	s_or_b64 exec, exec, s[8:9]
	s_and_saveexec_b64 s[0:1], vcc
	s_cbranch_execnz .LBB60_13
.LBB60_10:
	s_or_b64 exec, exec, s[0:1]
	v_cmp_eq_u32_e32 vcc, 0, v0
	s_and_saveexec_b64 s[0:1], vcc
	s_cbranch_execnz .LBB60_14
.LBB60_11:
	s_endpgm
.LBB60_12:
	ds_read_b64 v[1:2], v3
	s_or_b64 exec, exec, s[8:9]
	s_and_saveexec_b64 s[0:1], vcc
	s_cbranch_execz .LBB60_10
.LBB60_13:
	s_waitcnt lgkmcnt(0)
	ds_bpermute_b32 v3, v4, v1
	ds_bpermute_b32 v4, v4, v2
	s_waitcnt lgkmcnt(1)
	v_add_f32_e32 v1, v1, v3
	s_waitcnt lgkmcnt(0)
	v_add_f32_e32 v2, v2, v4
	ds_bpermute_b32 v3, v6, v1
	ds_bpermute_b32 v4, v6, v2
	s_waitcnt lgkmcnt(1)
	v_add_f32_e32 v1, v1, v3
	s_waitcnt lgkmcnt(0)
	v_add_f32_e32 v2, v2, v4
	;; [unrolled: 6-line block ×3, first 2 shown]
	s_or_b64 exec, exec, s[0:1]
	v_cmp_eq_u32_e32 vcc, 0, v0
	s_and_saveexec_b64 s[0:1], vcc
	s_cbranch_execz .LBB60_11
.LBB60_14:
	s_cmp_lg_u32 s10, 1
	s_cbranch_scc0 .LBB60_16
; %bb.15:
	s_load_dwordx2 s[0:1], s[4:5], 0x50
	s_mul_hi_u32 s9, s10, s2
	s_mul_i32 s8, s10, s2
	s_lshl_b64 s[8:9], s[8:9], 3
	s_mov_b32 s7, 0
	s_waitcnt lgkmcnt(0)
	s_add_u32 s8, s0, s8
	s_addc_u32 s9, s1, s9
	s_lshl_b64 s[0:1], s[6:7], 3
	s_add_u32 s0, s8, s0
	s_addc_u32 s1, s9, s1
	v_mov_b32_e32 v0, 0
	global_store_dword v0, v1, s[0:1]
	s_cbranch_execz .LBB60_17
	s_branch .LBB60_18
.LBB60_16:
                                        ; implicit-def: $sgpr0_sgpr1
.LBB60_17:
	s_load_dwordx2 s[0:1], s[4:5], 0x58
	s_lshl_b64 s[2:3], s[2:3], 3
	v_mov_b32_e32 v0, 0
	s_waitcnt lgkmcnt(0)
	s_add_u32 s0, s0, s2
	s_addc_u32 s1, s1, s3
	global_store_dword v0, v1, s[0:1]
.LBB60_18:
	v_mov_b32_e32 v0, 0
	s_waitcnt lgkmcnt(0)
	global_store_dword v0, v2, s[0:1] offset:4
	s_endpgm
	.section	.rodata,"a",@progbits
	.p2align	6, 0x0
	.amdhsa_kernel _ZL18rocblas_dot_kernelIiLb0ELi512ELi2ELb1E19rocblas_complex_numIfEPKS1_S1_EviT5_lT_lS4_lS5_liPT6_PT4_
		.amdhsa_group_segment_fixed_size 512
		.amdhsa_private_segment_fixed_size 0
		.amdhsa_kernarg_size 352
		.amdhsa_user_sgpr_count 6
		.amdhsa_user_sgpr_private_segment_buffer 1
		.amdhsa_user_sgpr_dispatch_ptr 0
		.amdhsa_user_sgpr_queue_ptr 0
		.amdhsa_user_sgpr_kernarg_segment_ptr 1
		.amdhsa_user_sgpr_dispatch_id 0
		.amdhsa_user_sgpr_flat_scratch_init 0
		.amdhsa_user_sgpr_private_segment_size 0
		.amdhsa_uses_dynamic_stack 0
		.amdhsa_system_sgpr_private_segment_wavefront_offset 0
		.amdhsa_system_sgpr_workgroup_id_x 1
		.amdhsa_system_sgpr_workgroup_id_y 0
		.amdhsa_system_sgpr_workgroup_id_z 1
		.amdhsa_system_sgpr_workgroup_info 0
		.amdhsa_system_vgpr_workitem_id 0
		.amdhsa_next_free_vgpr 11
		.amdhsa_next_free_sgpr 26
		.amdhsa_reserve_vcc 1
		.amdhsa_reserve_flat_scratch 0
		.amdhsa_float_round_mode_32 0
		.amdhsa_float_round_mode_16_64 0
		.amdhsa_float_denorm_mode_32 3
		.amdhsa_float_denorm_mode_16_64 3
		.amdhsa_dx10_clamp 1
		.amdhsa_ieee_mode 1
		.amdhsa_fp16_overflow 0
		.amdhsa_exception_fp_ieee_invalid_op 0
		.amdhsa_exception_fp_denorm_src 0
		.amdhsa_exception_fp_ieee_div_zero 0
		.amdhsa_exception_fp_ieee_overflow 0
		.amdhsa_exception_fp_ieee_underflow 0
		.amdhsa_exception_fp_ieee_inexact 0
		.amdhsa_exception_int_div_zero 0
	.end_amdhsa_kernel
	.section	.text._ZL18rocblas_dot_kernelIiLb0ELi512ELi2ELb1E19rocblas_complex_numIfEPKS1_S1_EviT5_lT_lS4_lS5_liPT6_PT4_,"axG",@progbits,_ZL18rocblas_dot_kernelIiLb0ELi512ELi2ELb1E19rocblas_complex_numIfEPKS1_S1_EviT5_lT_lS4_lS5_liPT6_PT4_,comdat
.Lfunc_end60:
	.size	_ZL18rocblas_dot_kernelIiLb0ELi512ELi2ELb1E19rocblas_complex_numIfEPKS1_S1_EviT5_lT_lS4_lS5_liPT6_PT4_, .Lfunc_end60-_ZL18rocblas_dot_kernelIiLb0ELi512ELi2ELb1E19rocblas_complex_numIfEPKS1_S1_EviT5_lT_lS4_lS5_liPT6_PT4_
                                        ; -- End function
	.set _ZL18rocblas_dot_kernelIiLb0ELi512ELi2ELb1E19rocblas_complex_numIfEPKS1_S1_EviT5_lT_lS4_lS5_liPT6_PT4_.num_vgpr, 11
	.set _ZL18rocblas_dot_kernelIiLb0ELi512ELi2ELb1E19rocblas_complex_numIfEPKS1_S1_EviT5_lT_lS4_lS5_liPT6_PT4_.num_agpr, 0
	.set _ZL18rocblas_dot_kernelIiLb0ELi512ELi2ELb1E19rocblas_complex_numIfEPKS1_S1_EviT5_lT_lS4_lS5_liPT6_PT4_.numbered_sgpr, 26
	.set _ZL18rocblas_dot_kernelIiLb0ELi512ELi2ELb1E19rocblas_complex_numIfEPKS1_S1_EviT5_lT_lS4_lS5_liPT6_PT4_.num_named_barrier, 0
	.set _ZL18rocblas_dot_kernelIiLb0ELi512ELi2ELb1E19rocblas_complex_numIfEPKS1_S1_EviT5_lT_lS4_lS5_liPT6_PT4_.private_seg_size, 0
	.set _ZL18rocblas_dot_kernelIiLb0ELi512ELi2ELb1E19rocblas_complex_numIfEPKS1_S1_EviT5_lT_lS4_lS5_liPT6_PT4_.uses_vcc, 1
	.set _ZL18rocblas_dot_kernelIiLb0ELi512ELi2ELb1E19rocblas_complex_numIfEPKS1_S1_EviT5_lT_lS4_lS5_liPT6_PT4_.uses_flat_scratch, 0
	.set _ZL18rocblas_dot_kernelIiLb0ELi512ELi2ELb1E19rocblas_complex_numIfEPKS1_S1_EviT5_lT_lS4_lS5_liPT6_PT4_.has_dyn_sized_stack, 0
	.set _ZL18rocblas_dot_kernelIiLb0ELi512ELi2ELb1E19rocblas_complex_numIfEPKS1_S1_EviT5_lT_lS4_lS5_liPT6_PT4_.has_recursion, 0
	.set _ZL18rocblas_dot_kernelIiLb0ELi512ELi2ELb1E19rocblas_complex_numIfEPKS1_S1_EviT5_lT_lS4_lS5_liPT6_PT4_.has_indirect_call, 0
	.section	.AMDGPU.csdata,"",@progbits
; Kernel info:
; codeLenInByte = 1176
; TotalNumSgprs: 30
; NumVgprs: 11
; ScratchSize: 0
; MemoryBound: 0
; FloatMode: 240
; IeeeMode: 1
; LDSByteSize: 512 bytes/workgroup (compile time only)
; SGPRBlocks: 3
; VGPRBlocks: 2
; NumSGPRsForWavesPerEU: 30
; NumVGPRsForWavesPerEU: 11
; Occupancy: 10
; WaveLimiterHint : 0
; COMPUTE_PGM_RSRC2:SCRATCH_EN: 0
; COMPUTE_PGM_RSRC2:USER_SGPR: 6
; COMPUTE_PGM_RSRC2:TRAP_HANDLER: 0
; COMPUTE_PGM_RSRC2:TGID_X_EN: 1
; COMPUTE_PGM_RSRC2:TGID_Y_EN: 0
; COMPUTE_PGM_RSRC2:TGID_Z_EN: 1
; COMPUTE_PGM_RSRC2:TIDIG_COMP_CNT: 0
	.section	.text._ZL24rocblas_dot_kernel_magsqIiLb0ELi512ELi2ELb1E19rocblas_complex_numIfEPKS1_S1_EviT5_lT_liPT6_PT4_,"axG",@progbits,_ZL24rocblas_dot_kernel_magsqIiLb0ELi512ELi2ELb1E19rocblas_complex_numIfEPKS1_S1_EviT5_lT_liPT6_PT4_,comdat
	.globl	_ZL24rocblas_dot_kernel_magsqIiLb0ELi512ELi2ELb1E19rocblas_complex_numIfEPKS1_S1_EviT5_lT_liPT6_PT4_ ; -- Begin function _ZL24rocblas_dot_kernel_magsqIiLb0ELi512ELi2ELb1E19rocblas_complex_numIfEPKS1_S1_EviT5_lT_liPT6_PT4_
	.p2align	8
	.type	_ZL24rocblas_dot_kernel_magsqIiLb0ELi512ELi2ELb1E19rocblas_complex_numIfEPKS1_S1_EviT5_lT_liPT6_PT4_,@function
_ZL24rocblas_dot_kernel_magsqIiLb0ELi512ELi2ELb1E19rocblas_complex_numIfEPKS1_S1_EviT5_lT_liPT6_PT4_: ; @_ZL24rocblas_dot_kernel_magsqIiLb0ELi512ELi2ELb1E19rocblas_complex_numIfEPKS1_S1_EviT5_lT_liPT6_PT4_
; %bb.0:
	s_mov_b32 s2, s7
	s_load_dword s7, s[4:5], 0x0
	s_load_dword s10, s[4:5], 0x40
	v_lshl_or_b32 v3, s6, 9, v0
	s_mov_b32 s3, 0
	v_mov_b32_e32 v1, 0
	s_waitcnt lgkmcnt(0)
	v_cmp_gt_i32_e32 vcc, s7, v3
	v_mov_b32_e32 v2, 0
	s_and_saveexec_b64 s[0:1], vcc
	s_cbranch_execz .LBB61_4
; %bb.1:
	s_load_dwordx2 s[8:9], s[4:5], 0x20
	s_load_dwordx4 s[12:15], s[4:5], 0x8
	s_load_dword s11, s[4:5], 0x18
	s_waitcnt lgkmcnt(0)
	s_mul_i32 s9, s9, s2
	s_mul_hi_u32 s16, s8, s2
	s_mul_i32 s8, s8, s2
	s_add_i32 s9, s16, s9
	s_lshl_b64 s[8:9], s[8:9], 3
	s_add_u32 s12, s12, s8
	s_addc_u32 s13, s13, s9
	v_mad_i64_i32 v[1:2], s[8:9], v3, s11, 0
	s_lshl_b64 s[8:9], s[14:15], 3
	s_add_u32 s12, s12, s8
	v_lshlrev_b64 v[1:2], 3, v[1:2]
	s_addc_u32 s13, s13, s9
	v_mov_b32_e32 v3, s13
	v_add_co_u32_e32 v1, vcc, s12, v1
	v_addc_co_u32_e32 v2, vcc, v3, v2, vcc
	global_load_dwordx2 v[4:5], v[1:2], off
	s_add_i32 s8, s6, s10
	v_lshl_or_b32 v3, s8, 9, v0
	v_cmp_gt_i32_e32 vcc, s7, v3
	s_waitcnt vmcnt(0)
	v_mul_f32_e32 v2, v4, v5
	v_mul_f32_e32 v1, v5, v5
	v_fma_f32 v2, v4, v5, -v2
	v_fmac_f32_e32 v1, v4, v4
	v_add_f32_e32 v2, 0, v2
	s_and_saveexec_b64 s[8:9], vcc
	s_cbranch_execz .LBB61_3
; %bb.2:
	v_mad_i64_i32 v[3:4], s[14:15], v3, s11, 0
	v_mov_b32_e32 v5, s13
	v_lshlrev_b64 v[3:4], 3, v[3:4]
	v_add_co_u32_e32 v3, vcc, s12, v3
	v_addc_co_u32_e32 v4, vcc, v5, v4, vcc
	global_load_dwordx2 v[3:4], v[3:4], off
	s_waitcnt vmcnt(0)
	v_mul_f32_e32 v5, v3, v4
	v_mul_f32_e32 v6, v4, v4
	v_fma_f32 v4, v3, v4, -v5
	v_fmac_f32_e32 v6, v3, v3
	v_add_f32_e32 v2, v2, v4
	v_add_f32_e32 v1, v1, v6
.LBB61_3:
	s_or_b64 exec, exec, s[8:9]
.LBB61_4:
	s_or_b64 exec, exec, s[0:1]
	v_and_b32_e32 v5, 63, v0
	v_cmp_gt_u32_e32 vcc, 64, v0
	v_lshlrev_b32_e32 v3, 3, v5
	s_and_saveexec_b64 s[0:1], vcc
; %bb.5:
	v_mov_b32_e32 v6, 0
	v_mov_b32_e32 v7, v6
	ds_write_b64 v3, v[6:7]
; %bb.6:
	s_or_b64 exec, exec, s[0:1]
	v_mbcnt_lo_u32_b32 v4, -1, 0
	v_mbcnt_hi_u32_b32 v7, -1, v4
	v_mov_b32_e32 v4, 0x80
	v_lshl_or_b32 v4, v7, 2, v4
	ds_bpermute_b32 v6, v4, v1
	ds_bpermute_b32 v4, v4, v2
	v_and_b32_e32 v8, 63, v7
	v_cmp_gt_u32_e64 s[0:1], 48, v8
	s_waitcnt lgkmcnt(0)
	v_add_f32_e32 v1, v1, v6
	v_add_f32_e32 v2, v2, v4
	v_cndmask_b32_e64 v4, 0, 16, s[0:1]
	v_add_lshl_u32 v4, v4, v7, 2
	ds_bpermute_b32 v6, v4, v1
	ds_bpermute_b32 v4, v4, v2
	v_cmp_gt_u32_e64 s[0:1], 56, v8
	s_waitcnt lgkmcnt(0)
	s_barrier
	v_add_f32_e32 v1, v1, v6
	v_add_f32_e32 v2, v2, v4
	v_cndmask_b32_e64 v4, 0, 8, s[0:1]
	v_add_lshl_u32 v4, v4, v7, 2
	ds_bpermute_b32 v6, v4, v1
	ds_bpermute_b32 v4, v4, v2
	v_cmp_gt_u32_e64 s[0:1], 60, v8
	s_waitcnt lgkmcnt(1)
	v_add_f32_e32 v1, v1, v6
	s_waitcnt lgkmcnt(0)
	v_add_f32_e32 v2, v2, v4
	v_cndmask_b32_e64 v4, 0, 4, s[0:1]
	v_add_lshl_u32 v4, v4, v7, 2
	ds_bpermute_b32 v6, v4, v1
	ds_bpermute_b32 v9, v4, v2
	v_cmp_gt_u32_e64 s[0:1], 62, v8
	s_waitcnt lgkmcnt(1)
	v_add_f32_e32 v1, v1, v6
	v_cndmask_b32_e64 v6, 0, 2, s[0:1]
	s_waitcnt lgkmcnt(0)
	v_add_f32_e32 v2, v2, v9
	v_add_lshl_u32 v6, v6, v7, 2
	ds_bpermute_b32 v9, v6, v1
	ds_bpermute_b32 v10, v6, v2
	v_cmp_ne_u32_e64 s[0:1], 63, v8
	v_addc_co_u32_e64 v7, s[0:1], 0, v7, s[0:1]
	s_waitcnt lgkmcnt(1)
	v_add_f32_e32 v1, v1, v9
	s_waitcnt lgkmcnt(0)
	v_add_f32_e32 v2, v2, v10
	v_lshlrev_b32_e32 v7, 2, v7
	ds_bpermute_b32 v8, v7, v1
	ds_bpermute_b32 v9, v7, v2
	v_cmp_eq_u32_e64 s[0:1], 0, v5
	s_and_saveexec_b64 s[8:9], s[0:1]
	s_cbranch_execz .LBB61_8
; %bb.7:
	v_lshrrev_b32_e32 v5, 3, v0
	s_waitcnt lgkmcnt(1)
	v_add_f32_e32 v1, v1, v8
	s_waitcnt lgkmcnt(0)
	v_add_f32_e32 v2, v2, v9
	v_and_b32_e32 v5, 56, v5
	ds_write_b64 v5, v[1:2]
.LBB61_8:
	s_or_b64 exec, exec, s[8:9]
	v_cmp_gt_u32_e64 s[0:1], 8, v0
	v_mov_b32_e32 v2, 0
	v_mov_b32_e32 v1, 0
	s_waitcnt lgkmcnt(0)
	s_barrier
	s_and_saveexec_b64 s[8:9], s[0:1]
	s_cbranch_execnz .LBB61_12
; %bb.9:
	s_or_b64 exec, exec, s[8:9]
	s_and_saveexec_b64 s[0:1], vcc
	s_cbranch_execnz .LBB61_13
.LBB61_10:
	s_or_b64 exec, exec, s[0:1]
	v_cmp_eq_u32_e32 vcc, 0, v0
	s_and_saveexec_b64 s[0:1], vcc
	s_cbranch_execnz .LBB61_14
.LBB61_11:
	s_endpgm
.LBB61_12:
	ds_read_b64 v[1:2], v3
	s_or_b64 exec, exec, s[8:9]
	s_and_saveexec_b64 s[0:1], vcc
	s_cbranch_execz .LBB61_10
.LBB61_13:
	s_waitcnt lgkmcnt(0)
	ds_bpermute_b32 v3, v4, v1
	ds_bpermute_b32 v4, v4, v2
	s_waitcnt lgkmcnt(1)
	v_add_f32_e32 v1, v1, v3
	s_waitcnt lgkmcnt(0)
	v_add_f32_e32 v2, v2, v4
	ds_bpermute_b32 v3, v6, v1
	ds_bpermute_b32 v4, v6, v2
	s_waitcnt lgkmcnt(1)
	v_add_f32_e32 v1, v1, v3
	s_waitcnt lgkmcnt(0)
	v_add_f32_e32 v2, v2, v4
	;; [unrolled: 6-line block ×3, first 2 shown]
	s_or_b64 exec, exec, s[0:1]
	v_cmp_eq_u32_e32 vcc, 0, v0
	s_and_saveexec_b64 s[0:1], vcc
	s_cbranch_execz .LBB61_11
.LBB61_14:
	s_cmp_lg_u32 s10, 1
	s_cbranch_scc0 .LBB61_16
; %bb.15:
	s_load_dwordx2 s[0:1], s[4:5], 0x30
	s_mul_hi_u32 s9, s10, s2
	s_mul_i32 s8, s10, s2
	s_lshl_b64 s[8:9], s[8:9], 3
	s_mov_b32 s7, 0
	s_waitcnt lgkmcnt(0)
	s_add_u32 s8, s0, s8
	s_addc_u32 s9, s1, s9
	s_lshl_b64 s[0:1], s[6:7], 3
	s_add_u32 s0, s8, s0
	s_addc_u32 s1, s9, s1
	v_mov_b32_e32 v0, 0
	global_store_dword v0, v1, s[0:1]
	s_cbranch_execz .LBB61_17
	s_branch .LBB61_18
.LBB61_16:
                                        ; implicit-def: $sgpr0_sgpr1
.LBB61_17:
	s_load_dwordx2 s[0:1], s[4:5], 0x38
	s_lshl_b64 s[2:3], s[2:3], 3
	v_mov_b32_e32 v0, 0
	s_waitcnt lgkmcnt(0)
	s_add_u32 s0, s0, s2
	s_addc_u32 s1, s1, s3
	global_store_dword v0, v1, s[0:1]
.LBB61_18:
	v_mov_b32_e32 v0, 0
	s_waitcnt lgkmcnt(0)
	global_store_dword v0, v2, s[0:1] offset:4
	s_endpgm
	.section	.rodata,"a",@progbits
	.p2align	6, 0x0
	.amdhsa_kernel _ZL24rocblas_dot_kernel_magsqIiLb0ELi512ELi2ELb1E19rocblas_complex_numIfEPKS1_S1_EviT5_lT_liPT6_PT4_
		.amdhsa_group_segment_fixed_size 512
		.amdhsa_private_segment_fixed_size 0
		.amdhsa_kernarg_size 320
		.amdhsa_user_sgpr_count 6
		.amdhsa_user_sgpr_private_segment_buffer 1
		.amdhsa_user_sgpr_dispatch_ptr 0
		.amdhsa_user_sgpr_queue_ptr 0
		.amdhsa_user_sgpr_kernarg_segment_ptr 1
		.amdhsa_user_sgpr_dispatch_id 0
		.amdhsa_user_sgpr_flat_scratch_init 0
		.amdhsa_user_sgpr_private_segment_size 0
		.amdhsa_uses_dynamic_stack 0
		.amdhsa_system_sgpr_private_segment_wavefront_offset 0
		.amdhsa_system_sgpr_workgroup_id_x 1
		.amdhsa_system_sgpr_workgroup_id_y 0
		.amdhsa_system_sgpr_workgroup_id_z 1
		.amdhsa_system_sgpr_workgroup_info 0
		.amdhsa_system_vgpr_workitem_id 0
		.amdhsa_next_free_vgpr 11
		.amdhsa_next_free_sgpr 17
		.amdhsa_reserve_vcc 1
		.amdhsa_reserve_flat_scratch 0
		.amdhsa_float_round_mode_32 0
		.amdhsa_float_round_mode_16_64 0
		.amdhsa_float_denorm_mode_32 3
		.amdhsa_float_denorm_mode_16_64 3
		.amdhsa_dx10_clamp 1
		.amdhsa_ieee_mode 1
		.amdhsa_fp16_overflow 0
		.amdhsa_exception_fp_ieee_invalid_op 0
		.amdhsa_exception_fp_denorm_src 0
		.amdhsa_exception_fp_ieee_div_zero 0
		.amdhsa_exception_fp_ieee_overflow 0
		.amdhsa_exception_fp_ieee_underflow 0
		.amdhsa_exception_fp_ieee_inexact 0
		.amdhsa_exception_int_div_zero 0
	.end_amdhsa_kernel
	.section	.text._ZL24rocblas_dot_kernel_magsqIiLb0ELi512ELi2ELb1E19rocblas_complex_numIfEPKS1_S1_EviT5_lT_liPT6_PT4_,"axG",@progbits,_ZL24rocblas_dot_kernel_magsqIiLb0ELi512ELi2ELb1E19rocblas_complex_numIfEPKS1_S1_EviT5_lT_liPT6_PT4_,comdat
.Lfunc_end61:
	.size	_ZL24rocblas_dot_kernel_magsqIiLb0ELi512ELi2ELb1E19rocblas_complex_numIfEPKS1_S1_EviT5_lT_liPT6_PT4_, .Lfunc_end61-_ZL24rocblas_dot_kernel_magsqIiLb0ELi512ELi2ELb1E19rocblas_complex_numIfEPKS1_S1_EviT5_lT_liPT6_PT4_
                                        ; -- End function
	.set _ZL24rocblas_dot_kernel_magsqIiLb0ELi512ELi2ELb1E19rocblas_complex_numIfEPKS1_S1_EviT5_lT_liPT6_PT4_.num_vgpr, 11
	.set _ZL24rocblas_dot_kernel_magsqIiLb0ELi512ELi2ELb1E19rocblas_complex_numIfEPKS1_S1_EviT5_lT_liPT6_PT4_.num_agpr, 0
	.set _ZL24rocblas_dot_kernel_magsqIiLb0ELi512ELi2ELb1E19rocblas_complex_numIfEPKS1_S1_EviT5_lT_liPT6_PT4_.numbered_sgpr, 17
	.set _ZL24rocblas_dot_kernel_magsqIiLb0ELi512ELi2ELb1E19rocblas_complex_numIfEPKS1_S1_EviT5_lT_liPT6_PT4_.num_named_barrier, 0
	.set _ZL24rocblas_dot_kernel_magsqIiLb0ELi512ELi2ELb1E19rocblas_complex_numIfEPKS1_S1_EviT5_lT_liPT6_PT4_.private_seg_size, 0
	.set _ZL24rocblas_dot_kernel_magsqIiLb0ELi512ELi2ELb1E19rocblas_complex_numIfEPKS1_S1_EviT5_lT_liPT6_PT4_.uses_vcc, 1
	.set _ZL24rocblas_dot_kernel_magsqIiLb0ELi512ELi2ELb1E19rocblas_complex_numIfEPKS1_S1_EviT5_lT_liPT6_PT4_.uses_flat_scratch, 0
	.set _ZL24rocblas_dot_kernel_magsqIiLb0ELi512ELi2ELb1E19rocblas_complex_numIfEPKS1_S1_EviT5_lT_liPT6_PT4_.has_dyn_sized_stack, 0
	.set _ZL24rocblas_dot_kernel_magsqIiLb0ELi512ELi2ELb1E19rocblas_complex_numIfEPKS1_S1_EviT5_lT_liPT6_PT4_.has_recursion, 0
	.set _ZL24rocblas_dot_kernel_magsqIiLb0ELi512ELi2ELb1E19rocblas_complex_numIfEPKS1_S1_EviT5_lT_liPT6_PT4_.has_indirect_call, 0
	.section	.AMDGPU.csdata,"",@progbits
; Kernel info:
; codeLenInByte = 1032
; TotalNumSgprs: 21
; NumVgprs: 11
; ScratchSize: 0
; MemoryBound: 0
; FloatMode: 240
; IeeeMode: 1
; LDSByteSize: 512 bytes/workgroup (compile time only)
; SGPRBlocks: 2
; VGPRBlocks: 2
; NumSGPRsForWavesPerEU: 21
; NumVGPRsForWavesPerEU: 11
; Occupancy: 10
; WaveLimiterHint : 0
; COMPUTE_PGM_RSRC2:SCRATCH_EN: 0
; COMPUTE_PGM_RSRC2:USER_SGPR: 6
; COMPUTE_PGM_RSRC2:TRAP_HANDLER: 0
; COMPUTE_PGM_RSRC2:TGID_X_EN: 1
; COMPUTE_PGM_RSRC2:TGID_Y_EN: 0
; COMPUTE_PGM_RSRC2:TGID_Z_EN: 1
; COMPUTE_PGM_RSRC2:TIDIG_COMP_CNT: 0
	.section	.text._ZL28rocblas_dot_batched_4_kernelIiLi32ELi4ELb1E19rocblas_complex_numIdES1_PKS1_EviT5_lT_lS4_lS5_liPT4_,"axG",@progbits,_ZL28rocblas_dot_batched_4_kernelIiLi32ELi4ELb1E19rocblas_complex_numIdES1_PKS1_EviT5_lT_lS4_lS5_liPT4_,comdat
	.globl	_ZL28rocblas_dot_batched_4_kernelIiLi32ELi4ELb1E19rocblas_complex_numIdES1_PKS1_EviT5_lT_lS4_lS5_liPT4_ ; -- Begin function _ZL28rocblas_dot_batched_4_kernelIiLi32ELi4ELb1E19rocblas_complex_numIdES1_PKS1_EviT5_lT_lS4_lS5_liPT4_
	.p2align	8
	.type	_ZL28rocblas_dot_batched_4_kernelIiLi32ELi4ELb1E19rocblas_complex_numIdES1_PKS1_EviT5_lT_lS4_lS5_liPT4_,@function
_ZL28rocblas_dot_batched_4_kernelIiLi32ELi4ELb1E19rocblas_complex_numIdES1_PKS1_EviT5_lT_lS4_lS5_liPT4_: ; @_ZL28rocblas_dot_batched_4_kernelIiLi32ELi4ELb1E19rocblas_complex_numIdES1_PKS1_EviT5_lT_lS4_lS5_liPT4_
; %bb.0:
	s_load_dword s0, s[4:5], 0x48
	v_lshl_add_u32 v1, s6, 2, v1
	s_waitcnt lgkmcnt(0)
	v_cmp_gt_u32_e32 vcc, s0, v1
	s_and_saveexec_b64 s[0:1], vcc
	s_cbranch_execz .LBB62_7
; %bb.1:
	s_load_dword s12, s[4:5], 0x0
	s_load_dwordx2 s[6:7], s[4:5], 0x50
	v_mov_b32_e32 v3, 0
	v_mov_b32_e32 v5, 0
	;; [unrolled: 1-line block ×5, first 2 shown]
	s_waitcnt lgkmcnt(0)
	v_cmp_gt_i32_e32 vcc, s12, v0
	s_and_saveexec_b64 s[8:9], vcc
	s_cbranch_execz .LBB62_5
; %bb.2:
	s_load_dwordx2 s[10:11], s[4:5], 0x40
	s_load_dword s14, s[4:5], 0x38
	s_load_dwordx4 s[0:3], s[4:5], 0x8
	s_load_dword s20, s[4:5], 0x18
	s_waitcnt lgkmcnt(0)
	v_mad_u64_u32 v[3:4], s[16:17], s10, v1, 0
	s_load_dwordx4 s[16:19], s[4:5], 0x20
	s_load_dwordx2 s[22:23], s[4:5], 0x30
	v_mad_i64_i32 v[5:6], s[4:5], s14, v0, 0
	s_ashr_i32 s21, s20, 31
	s_ashr_i32 s15, s14, 31
	v_mad_u64_u32 v[7:8], s[4:5], s11, v1, v[4:5]
	v_lshlrev_b64 v[5:6], 4, v[5:6]
	s_waitcnt lgkmcnt(0)
	s_lshl_b64 s[4:5], s[22:23], 4
	v_mov_b32_e32 v4, v7
	v_lshlrev_b64 v[3:4], 4, v[3:4]
	s_add_u32 s10, s18, s4
	v_add_co_u32_e32 v5, vcc, v5, v3
	v_addc_co_u32_e32 v6, vcc, v6, v4, vcc
	s_addc_u32 s4, s19, s5
	v_mov_b32_e32 v7, s4
	v_add_co_u32_e32 v8, vcc, s10, v5
	v_mad_u64_u32 v[3:4], s[4:5], s16, v1, 0
	v_addc_co_u32_e32 v11, vcc, v7, v6, vcc
	v_mad_i64_i32 v[5:6], s[4:5], s20, v0, 0
	v_add_co_u32_e32 v7, vcc, 8, v8
	v_mad_u64_u32 v[9:10], s[4:5], s17, v1, v[4:5]
	v_lshlrev_b64 v[5:6], 4, v[5:6]
	v_addc_co_u32_e32 v8, vcc, 0, v11, vcc
	v_mov_b32_e32 v4, v9
	v_lshlrev_b64 v[3:4], 4, v[3:4]
	s_lshl_b64 s[4:5], s[14:15], 9
	s_lshl_b64 s[2:3], s[2:3], 4
	v_add_co_u32_e32 v3, vcc, v5, v3
	s_add_u32 s0, s0, s2
	v_addc_co_u32_e32 v4, vcc, v6, v4, vcc
	s_addc_u32 s1, s1, s3
	v_mov_b32_e32 v5, s1
	v_add_co_u32_e32 v3, vcc, s0, v3
	v_addc_co_u32_e32 v4, vcc, v5, v4, vcc
	v_add_co_u32_e32 v9, vcc, 8, v3
	v_addc_co_u32_e32 v10, vcc, 0, v4, vcc
	v_mov_b32_e32 v3, 0
	v_mov_b32_e32 v5, 0
	s_lshl_b64 s[2:3], s[20:21], 9
	v_mov_b32_e32 v4, 0
	s_mov_b64 s[10:11], 0
	v_mov_b32_e32 v6, 0
	v_mov_b32_e32 v11, v0
.LBB62_3:                               ; =>This Inner Loop Header: Depth=1
	global_load_dwordx4 v[12:15], v[9:10], off offset:-8
	global_load_dwordx4 v[16:19], v[7:8], off offset:-8
	v_add_co_u32_e64 v7, s[0:1], s4, v7
	v_add_u32_e32 v11, 32, v11
	v_add_co_u32_e32 v9, vcc, s2, v9
	s_waitcnt vmcnt(0)
	v_mul_f64 v[20:21], v[14:15], v[18:19]
	v_mul_f64 v[14:15], v[14:15], v[16:17]
	v_fma_f64 v[20:21], v[12:13], v[16:17], v[20:21]
	v_fma_f64 v[12:13], v[12:13], v[18:19], -v[14:15]
	v_mov_b32_e32 v14, s5
	v_addc_co_u32_e64 v8, s[0:1], v8, v14, s[0:1]
	v_mov_b32_e32 v15, s3
	v_cmp_le_i32_e64 s[0:1], s12, v11
	s_or_b64 s[10:11], s[0:1], s[10:11]
	v_add_f64 v[3:4], v[3:4], v[20:21]
	v_add_f64 v[5:6], v[5:6], v[12:13]
	v_addc_co_u32_e32 v10, vcc, v10, v15, vcc
	s_andn2_b64 exec, exec, s[10:11]
	s_cbranch_execnz .LBB62_3
; %bb.4:
	s_or_b64 exec, exec, s[10:11]
.LBB62_5:
	s_or_b64 exec, exec, s[8:9]
	v_mbcnt_lo_u32_b32 v7, -1, 0
	v_mbcnt_hi_u32_b32 v11, -1, v7
	v_and_b32_e32 v12, 63, v11
	v_cmp_gt_u32_e32 vcc, 48, v12
	v_cndmask_b32_e64 v7, 0, 16, vcc
	v_add_lshl_u32 v10, v7, v11, 2
	ds_bpermute_b32 v7, v10, v3
	ds_bpermute_b32 v8, v10, v4
	;; [unrolled: 1-line block ×4, first 2 shown]
	v_cmp_gt_u32_e32 vcc, 56, v12
	s_waitcnt lgkmcnt(0)
	v_add_f64 v[3:4], v[3:4], v[7:8]
	v_cndmask_b32_e64 v7, 0, 8, vcc
	v_add_f64 v[5:6], v[5:6], v[9:10]
	v_add_lshl_u32 v10, v7, v11, 2
	v_cmp_gt_u32_e32 vcc, 60, v12
	s_barrier
	ds_bpermute_b32 v7, v10, v3
	ds_bpermute_b32 v8, v10, v4
	;; [unrolled: 1-line block ×4, first 2 shown]
	s_waitcnt lgkmcnt(2)
	v_add_f64 v[3:4], v[3:4], v[7:8]
	v_cndmask_b32_e64 v7, 0, 4, vcc
	s_waitcnt lgkmcnt(0)
	v_add_f64 v[5:6], v[5:6], v[9:10]
	v_add_lshl_u32 v10, v7, v11, 2
	v_cmp_gt_u32_e32 vcc, 62, v12
	ds_bpermute_b32 v7, v10, v3
	ds_bpermute_b32 v8, v10, v4
	;; [unrolled: 1-line block ×4, first 2 shown]
	s_waitcnt lgkmcnt(2)
	v_add_f64 v[3:4], v[3:4], v[7:8]
	v_cndmask_b32_e64 v7, 0, 2, vcc
	s_waitcnt lgkmcnt(0)
	v_add_f64 v[5:6], v[5:6], v[9:10]
	v_add_lshl_u32 v10, v7, v11, 2
	v_cmp_ne_u32_e32 vcc, 63, v12
	ds_bpermute_b32 v7, v10, v3
	ds_bpermute_b32 v8, v10, v4
	ds_bpermute_b32 v9, v10, v5
	ds_bpermute_b32 v10, v10, v6
	s_waitcnt lgkmcnt(2)
	v_add_f64 v[3:4], v[3:4], v[7:8]
	v_addc_co_u32_e32 v7, vcc, 0, v11, vcc
	s_waitcnt lgkmcnt(0)
	v_add_f64 v[5:6], v[5:6], v[9:10]
	v_lshlrev_b32_e32 v10, 2, v7
	v_cmp_eq_u32_e32 vcc, 0, v0
	ds_bpermute_b32 v7, v10, v3
	ds_bpermute_b32 v8, v10, v4
	;; [unrolled: 1-line block ×4, first 2 shown]
	s_and_b64 exec, exec, vcc
	s_cbranch_execz .LBB62_7
; %bb.6:
	s_waitcnt lgkmcnt(0)
	v_add_f64 v[5:6], v[5:6], v[9:10]
	v_add_f64 v[3:4], v[3:4], v[7:8]
	v_lshlrev_b64 v[0:1], 4, v[1:2]
	v_mov_b32_e32 v2, s7
	v_add_co_u32_e32 v0, vcc, s6, v0
	v_addc_co_u32_e32 v1, vcc, v2, v1, vcc
	global_store_dwordx4 v[0:1], v[3:6], off
.LBB62_7:
	s_endpgm
	.section	.rodata,"a",@progbits
	.p2align	6, 0x0
	.amdhsa_kernel _ZL28rocblas_dot_batched_4_kernelIiLi32ELi4ELb1E19rocblas_complex_numIdES1_PKS1_EviT5_lT_lS4_lS5_liPT4_
		.amdhsa_group_segment_fixed_size 0
		.amdhsa_private_segment_fixed_size 0
		.amdhsa_kernarg_size 88
		.amdhsa_user_sgpr_count 6
		.amdhsa_user_sgpr_private_segment_buffer 1
		.amdhsa_user_sgpr_dispatch_ptr 0
		.amdhsa_user_sgpr_queue_ptr 0
		.amdhsa_user_sgpr_kernarg_segment_ptr 1
		.amdhsa_user_sgpr_dispatch_id 0
		.amdhsa_user_sgpr_flat_scratch_init 0
		.amdhsa_user_sgpr_private_segment_size 0
		.amdhsa_uses_dynamic_stack 0
		.amdhsa_system_sgpr_private_segment_wavefront_offset 0
		.amdhsa_system_sgpr_workgroup_id_x 1
		.amdhsa_system_sgpr_workgroup_id_y 0
		.amdhsa_system_sgpr_workgroup_id_z 0
		.amdhsa_system_sgpr_workgroup_info 0
		.amdhsa_system_vgpr_workitem_id 1
		.amdhsa_next_free_vgpr 22
		.amdhsa_next_free_sgpr 24
		.amdhsa_reserve_vcc 1
		.amdhsa_reserve_flat_scratch 0
		.amdhsa_float_round_mode_32 0
		.amdhsa_float_round_mode_16_64 0
		.amdhsa_float_denorm_mode_32 3
		.amdhsa_float_denorm_mode_16_64 3
		.amdhsa_dx10_clamp 1
		.amdhsa_ieee_mode 1
		.amdhsa_fp16_overflow 0
		.amdhsa_exception_fp_ieee_invalid_op 0
		.amdhsa_exception_fp_denorm_src 0
		.amdhsa_exception_fp_ieee_div_zero 0
		.amdhsa_exception_fp_ieee_overflow 0
		.amdhsa_exception_fp_ieee_underflow 0
		.amdhsa_exception_fp_ieee_inexact 0
		.amdhsa_exception_int_div_zero 0
	.end_amdhsa_kernel
	.section	.text._ZL28rocblas_dot_batched_4_kernelIiLi32ELi4ELb1E19rocblas_complex_numIdES1_PKS1_EviT5_lT_lS4_lS5_liPT4_,"axG",@progbits,_ZL28rocblas_dot_batched_4_kernelIiLi32ELi4ELb1E19rocblas_complex_numIdES1_PKS1_EviT5_lT_lS4_lS5_liPT4_,comdat
.Lfunc_end62:
	.size	_ZL28rocblas_dot_batched_4_kernelIiLi32ELi4ELb1E19rocblas_complex_numIdES1_PKS1_EviT5_lT_lS4_lS5_liPT4_, .Lfunc_end62-_ZL28rocblas_dot_batched_4_kernelIiLi32ELi4ELb1E19rocblas_complex_numIdES1_PKS1_EviT5_lT_lS4_lS5_liPT4_
                                        ; -- End function
	.set _ZL28rocblas_dot_batched_4_kernelIiLi32ELi4ELb1E19rocblas_complex_numIdES1_PKS1_EviT5_lT_lS4_lS5_liPT4_.num_vgpr, 22
	.set _ZL28rocblas_dot_batched_4_kernelIiLi32ELi4ELb1E19rocblas_complex_numIdES1_PKS1_EviT5_lT_lS4_lS5_liPT4_.num_agpr, 0
	.set _ZL28rocblas_dot_batched_4_kernelIiLi32ELi4ELb1E19rocblas_complex_numIdES1_PKS1_EviT5_lT_lS4_lS5_liPT4_.numbered_sgpr, 24
	.set _ZL28rocblas_dot_batched_4_kernelIiLi32ELi4ELb1E19rocblas_complex_numIdES1_PKS1_EviT5_lT_lS4_lS5_liPT4_.num_named_barrier, 0
	.set _ZL28rocblas_dot_batched_4_kernelIiLi32ELi4ELb1E19rocblas_complex_numIdES1_PKS1_EviT5_lT_lS4_lS5_liPT4_.private_seg_size, 0
	.set _ZL28rocblas_dot_batched_4_kernelIiLi32ELi4ELb1E19rocblas_complex_numIdES1_PKS1_EviT5_lT_lS4_lS5_liPT4_.uses_vcc, 1
	.set _ZL28rocblas_dot_batched_4_kernelIiLi32ELi4ELb1E19rocblas_complex_numIdES1_PKS1_EviT5_lT_lS4_lS5_liPT4_.uses_flat_scratch, 0
	.set _ZL28rocblas_dot_batched_4_kernelIiLi32ELi4ELb1E19rocblas_complex_numIdES1_PKS1_EviT5_lT_lS4_lS5_liPT4_.has_dyn_sized_stack, 0
	.set _ZL28rocblas_dot_batched_4_kernelIiLi32ELi4ELb1E19rocblas_complex_numIdES1_PKS1_EviT5_lT_lS4_lS5_liPT4_.has_recursion, 0
	.set _ZL28rocblas_dot_batched_4_kernelIiLi32ELi4ELb1E19rocblas_complex_numIdES1_PKS1_EviT5_lT_lS4_lS5_liPT4_.has_indirect_call, 0
	.section	.AMDGPU.csdata,"",@progbits
; Kernel info:
; codeLenInByte = 912
; TotalNumSgprs: 28
; NumVgprs: 22
; ScratchSize: 0
; MemoryBound: 0
; FloatMode: 240
; IeeeMode: 1
; LDSByteSize: 0 bytes/workgroup (compile time only)
; SGPRBlocks: 3
; VGPRBlocks: 5
; NumSGPRsForWavesPerEU: 28
; NumVGPRsForWavesPerEU: 22
; Occupancy: 10
; WaveLimiterHint : 0
; COMPUTE_PGM_RSRC2:SCRATCH_EN: 0
; COMPUTE_PGM_RSRC2:USER_SGPR: 6
; COMPUTE_PGM_RSRC2:TRAP_HANDLER: 0
; COMPUTE_PGM_RSRC2:TGID_X_EN: 1
; COMPUTE_PGM_RSRC2:TGID_Y_EN: 0
; COMPUTE_PGM_RSRC2:TGID_Z_EN: 0
; COMPUTE_PGM_RSRC2:TIDIG_COMP_CNT: 1
	.section	.text._ZL28rocblas_dot_batched_4_kernelIiLi64ELi4ELb1E19rocblas_complex_numIdES1_PKS1_EviT5_lT_lS4_lS5_liPT4_,"axG",@progbits,_ZL28rocblas_dot_batched_4_kernelIiLi64ELi4ELb1E19rocblas_complex_numIdES1_PKS1_EviT5_lT_lS4_lS5_liPT4_,comdat
	.globl	_ZL28rocblas_dot_batched_4_kernelIiLi64ELi4ELb1E19rocblas_complex_numIdES1_PKS1_EviT5_lT_lS4_lS5_liPT4_ ; -- Begin function _ZL28rocblas_dot_batched_4_kernelIiLi64ELi4ELb1E19rocblas_complex_numIdES1_PKS1_EviT5_lT_lS4_lS5_liPT4_
	.p2align	8
	.type	_ZL28rocblas_dot_batched_4_kernelIiLi64ELi4ELb1E19rocblas_complex_numIdES1_PKS1_EviT5_lT_lS4_lS5_liPT4_,@function
_ZL28rocblas_dot_batched_4_kernelIiLi64ELi4ELb1E19rocblas_complex_numIdES1_PKS1_EviT5_lT_lS4_lS5_liPT4_: ; @_ZL28rocblas_dot_batched_4_kernelIiLi64ELi4ELb1E19rocblas_complex_numIdES1_PKS1_EviT5_lT_lS4_lS5_liPT4_
; %bb.0:
	s_load_dword s0, s[4:5], 0x48
	v_lshl_add_u32 v1, s6, 2, v1
	s_waitcnt lgkmcnt(0)
	v_cmp_gt_u32_e32 vcc, s0, v1
	s_and_saveexec_b64 s[0:1], vcc
	s_cbranch_execz .LBB63_7
; %bb.1:
	s_load_dword s12, s[4:5], 0x0
	s_load_dwordx2 s[6:7], s[4:5], 0x50
	v_mov_b32_e32 v3, 0
	v_mov_b32_e32 v5, 0
	;; [unrolled: 1-line block ×5, first 2 shown]
	s_waitcnt lgkmcnt(0)
	v_cmp_gt_i32_e32 vcc, s12, v0
	s_and_saveexec_b64 s[8:9], vcc
	s_cbranch_execz .LBB63_5
; %bb.2:
	s_load_dwordx2 s[10:11], s[4:5], 0x40
	s_load_dword s14, s[4:5], 0x38
	s_load_dwordx4 s[0:3], s[4:5], 0x8
	s_load_dword s20, s[4:5], 0x18
	s_waitcnt lgkmcnt(0)
	v_mad_u64_u32 v[3:4], s[16:17], s10, v1, 0
	s_load_dwordx4 s[16:19], s[4:5], 0x20
	s_load_dwordx2 s[22:23], s[4:5], 0x30
	v_mad_i64_i32 v[5:6], s[4:5], s14, v0, 0
	s_ashr_i32 s21, s20, 31
	s_ashr_i32 s15, s14, 31
	v_mad_u64_u32 v[7:8], s[4:5], s11, v1, v[4:5]
	v_lshlrev_b64 v[5:6], 4, v[5:6]
	s_waitcnt lgkmcnt(0)
	s_lshl_b64 s[4:5], s[22:23], 4
	v_mov_b32_e32 v4, v7
	v_lshlrev_b64 v[3:4], 4, v[3:4]
	s_add_u32 s10, s18, s4
	v_add_co_u32_e32 v5, vcc, v5, v3
	v_addc_co_u32_e32 v6, vcc, v6, v4, vcc
	s_addc_u32 s4, s19, s5
	v_mov_b32_e32 v7, s4
	v_add_co_u32_e32 v8, vcc, s10, v5
	v_mad_u64_u32 v[3:4], s[4:5], s16, v1, 0
	v_addc_co_u32_e32 v11, vcc, v7, v6, vcc
	v_mad_i64_i32 v[5:6], s[4:5], s20, v0, 0
	v_add_co_u32_e32 v7, vcc, 8, v8
	v_mad_u64_u32 v[9:10], s[4:5], s17, v1, v[4:5]
	v_lshlrev_b64 v[5:6], 4, v[5:6]
	v_addc_co_u32_e32 v8, vcc, 0, v11, vcc
	v_mov_b32_e32 v4, v9
	v_lshlrev_b64 v[3:4], 4, v[3:4]
	s_lshl_b64 s[4:5], s[14:15], 10
	s_lshl_b64 s[2:3], s[2:3], 4
	v_add_co_u32_e32 v3, vcc, v5, v3
	s_add_u32 s0, s0, s2
	v_addc_co_u32_e32 v4, vcc, v6, v4, vcc
	s_addc_u32 s1, s1, s3
	v_mov_b32_e32 v5, s1
	v_add_co_u32_e32 v3, vcc, s0, v3
	v_addc_co_u32_e32 v4, vcc, v5, v4, vcc
	v_add_co_u32_e32 v9, vcc, 8, v3
	v_addc_co_u32_e32 v10, vcc, 0, v4, vcc
	v_mov_b32_e32 v3, 0
	v_mov_b32_e32 v5, 0
	s_lshl_b64 s[2:3], s[20:21], 10
	v_mov_b32_e32 v4, 0
	s_mov_b64 s[10:11], 0
	v_mov_b32_e32 v6, 0
	v_mov_b32_e32 v11, v0
.LBB63_3:                               ; =>This Inner Loop Header: Depth=1
	global_load_dwordx4 v[12:15], v[9:10], off offset:-8
	global_load_dwordx4 v[16:19], v[7:8], off offset:-8
	v_add_co_u32_e64 v7, s[0:1], s4, v7
	v_add_u32_e32 v11, 64, v11
	v_add_co_u32_e32 v9, vcc, s2, v9
	s_waitcnt vmcnt(0)
	v_mul_f64 v[20:21], v[14:15], v[18:19]
	v_mul_f64 v[14:15], v[14:15], v[16:17]
	v_fma_f64 v[20:21], v[12:13], v[16:17], v[20:21]
	v_fma_f64 v[12:13], v[12:13], v[18:19], -v[14:15]
	v_mov_b32_e32 v14, s5
	v_addc_co_u32_e64 v8, s[0:1], v8, v14, s[0:1]
	v_mov_b32_e32 v15, s3
	v_cmp_le_i32_e64 s[0:1], s12, v11
	s_or_b64 s[10:11], s[0:1], s[10:11]
	v_add_f64 v[3:4], v[3:4], v[20:21]
	v_add_f64 v[5:6], v[5:6], v[12:13]
	v_addc_co_u32_e32 v10, vcc, v10, v15, vcc
	s_andn2_b64 exec, exec, s[10:11]
	s_cbranch_execnz .LBB63_3
; %bb.4:
	s_or_b64 exec, exec, s[10:11]
.LBB63_5:
	s_or_b64 exec, exec, s[8:9]
	v_mbcnt_lo_u32_b32 v7, -1, 0
	v_mbcnt_hi_u32_b32 v11, -1, v7
	v_mov_b32_e32 v7, 0x80
	v_lshl_or_b32 v10, v11, 2, v7
	ds_bpermute_b32 v7, v10, v3
	ds_bpermute_b32 v8, v10, v4
	;; [unrolled: 1-line block ×4, first 2 shown]
	v_and_b32_e32 v12, 63, v11
	v_cmp_gt_u32_e32 vcc, 48, v12
	s_waitcnt lgkmcnt(2)
	v_add_f64 v[3:4], v[3:4], v[7:8]
	v_cndmask_b32_e64 v7, 0, 16, vcc
	s_waitcnt lgkmcnt(0)
	v_add_f64 v[5:6], v[5:6], v[9:10]
	v_add_lshl_u32 v10, v7, v11, 2
	v_cmp_gt_u32_e32 vcc, 56, v12
	s_barrier
	ds_bpermute_b32 v7, v10, v3
	ds_bpermute_b32 v8, v10, v4
	;; [unrolled: 1-line block ×4, first 2 shown]
	s_waitcnt lgkmcnt(2)
	v_add_f64 v[3:4], v[3:4], v[7:8]
	v_cndmask_b32_e64 v7, 0, 8, vcc
	s_waitcnt lgkmcnt(0)
	v_add_f64 v[5:6], v[5:6], v[9:10]
	v_add_lshl_u32 v10, v7, v11, 2
	v_cmp_gt_u32_e32 vcc, 60, v12
	ds_bpermute_b32 v7, v10, v3
	ds_bpermute_b32 v8, v10, v4
	;; [unrolled: 1-line block ×4, first 2 shown]
	s_waitcnt lgkmcnt(2)
	v_add_f64 v[3:4], v[3:4], v[7:8]
	v_cndmask_b32_e64 v7, 0, 4, vcc
	s_waitcnt lgkmcnt(0)
	v_add_f64 v[5:6], v[5:6], v[9:10]
	v_add_lshl_u32 v10, v7, v11, 2
	v_cmp_gt_u32_e32 vcc, 62, v12
	ds_bpermute_b32 v7, v10, v3
	ds_bpermute_b32 v8, v10, v4
	;; [unrolled: 1-line block ×4, first 2 shown]
	s_waitcnt lgkmcnt(2)
	v_add_f64 v[3:4], v[3:4], v[7:8]
	v_cndmask_b32_e64 v7, 0, 2, vcc
	s_waitcnt lgkmcnt(0)
	v_add_f64 v[5:6], v[5:6], v[9:10]
	v_add_lshl_u32 v10, v7, v11, 2
	v_cmp_ne_u32_e32 vcc, 63, v12
	ds_bpermute_b32 v7, v10, v3
	ds_bpermute_b32 v8, v10, v4
	;; [unrolled: 1-line block ×4, first 2 shown]
	s_waitcnt lgkmcnt(2)
	v_add_f64 v[3:4], v[3:4], v[7:8]
	v_addc_co_u32_e32 v7, vcc, 0, v11, vcc
	s_waitcnt lgkmcnt(0)
	v_add_f64 v[5:6], v[5:6], v[9:10]
	v_lshlrev_b32_e32 v10, 2, v7
	v_cmp_eq_u32_e32 vcc, 0, v0
	ds_bpermute_b32 v7, v10, v3
	ds_bpermute_b32 v8, v10, v4
	ds_bpermute_b32 v9, v10, v5
	ds_bpermute_b32 v10, v10, v6
	s_and_b64 exec, exec, vcc
	s_cbranch_execz .LBB63_7
; %bb.6:
	s_waitcnt lgkmcnt(0)
	v_add_f64 v[5:6], v[5:6], v[9:10]
	v_add_f64 v[3:4], v[3:4], v[7:8]
	v_lshlrev_b64 v[0:1], 4, v[1:2]
	v_mov_b32_e32 v2, s7
	v_add_co_u32_e32 v0, vcc, s6, v0
	v_addc_co_u32_e32 v1, vcc, v2, v1, vcc
	global_store_dwordx4 v[0:1], v[3:6], off
.LBB63_7:
	s_endpgm
	.section	.rodata,"a",@progbits
	.p2align	6, 0x0
	.amdhsa_kernel _ZL28rocblas_dot_batched_4_kernelIiLi64ELi4ELb1E19rocblas_complex_numIdES1_PKS1_EviT5_lT_lS4_lS5_liPT4_
		.amdhsa_group_segment_fixed_size 0
		.amdhsa_private_segment_fixed_size 0
		.amdhsa_kernarg_size 88
		.amdhsa_user_sgpr_count 6
		.amdhsa_user_sgpr_private_segment_buffer 1
		.amdhsa_user_sgpr_dispatch_ptr 0
		.amdhsa_user_sgpr_queue_ptr 0
		.amdhsa_user_sgpr_kernarg_segment_ptr 1
		.amdhsa_user_sgpr_dispatch_id 0
		.amdhsa_user_sgpr_flat_scratch_init 0
		.amdhsa_user_sgpr_private_segment_size 0
		.amdhsa_uses_dynamic_stack 0
		.amdhsa_system_sgpr_private_segment_wavefront_offset 0
		.amdhsa_system_sgpr_workgroup_id_x 1
		.amdhsa_system_sgpr_workgroup_id_y 0
		.amdhsa_system_sgpr_workgroup_id_z 0
		.amdhsa_system_sgpr_workgroup_info 0
		.amdhsa_system_vgpr_workitem_id 1
		.amdhsa_next_free_vgpr 22
		.amdhsa_next_free_sgpr 24
		.amdhsa_reserve_vcc 1
		.amdhsa_reserve_flat_scratch 0
		.amdhsa_float_round_mode_32 0
		.amdhsa_float_round_mode_16_64 0
		.amdhsa_float_denorm_mode_32 3
		.amdhsa_float_denorm_mode_16_64 3
		.amdhsa_dx10_clamp 1
		.amdhsa_ieee_mode 1
		.amdhsa_fp16_overflow 0
		.amdhsa_exception_fp_ieee_invalid_op 0
		.amdhsa_exception_fp_denorm_src 0
		.amdhsa_exception_fp_ieee_div_zero 0
		.amdhsa_exception_fp_ieee_overflow 0
		.amdhsa_exception_fp_ieee_underflow 0
		.amdhsa_exception_fp_ieee_inexact 0
		.amdhsa_exception_int_div_zero 0
	.end_amdhsa_kernel
	.section	.text._ZL28rocblas_dot_batched_4_kernelIiLi64ELi4ELb1E19rocblas_complex_numIdES1_PKS1_EviT5_lT_lS4_lS5_liPT4_,"axG",@progbits,_ZL28rocblas_dot_batched_4_kernelIiLi64ELi4ELb1E19rocblas_complex_numIdES1_PKS1_EviT5_lT_lS4_lS5_liPT4_,comdat
.Lfunc_end63:
	.size	_ZL28rocblas_dot_batched_4_kernelIiLi64ELi4ELb1E19rocblas_complex_numIdES1_PKS1_EviT5_lT_lS4_lS5_liPT4_, .Lfunc_end63-_ZL28rocblas_dot_batched_4_kernelIiLi64ELi4ELb1E19rocblas_complex_numIdES1_PKS1_EviT5_lT_lS4_lS5_liPT4_
                                        ; -- End function
	.set _ZL28rocblas_dot_batched_4_kernelIiLi64ELi4ELb1E19rocblas_complex_numIdES1_PKS1_EviT5_lT_lS4_lS5_liPT4_.num_vgpr, 22
	.set _ZL28rocblas_dot_batched_4_kernelIiLi64ELi4ELb1E19rocblas_complex_numIdES1_PKS1_EviT5_lT_lS4_lS5_liPT4_.num_agpr, 0
	.set _ZL28rocblas_dot_batched_4_kernelIiLi64ELi4ELb1E19rocblas_complex_numIdES1_PKS1_EviT5_lT_lS4_lS5_liPT4_.numbered_sgpr, 24
	.set _ZL28rocblas_dot_batched_4_kernelIiLi64ELi4ELb1E19rocblas_complex_numIdES1_PKS1_EviT5_lT_lS4_lS5_liPT4_.num_named_barrier, 0
	.set _ZL28rocblas_dot_batched_4_kernelIiLi64ELi4ELb1E19rocblas_complex_numIdES1_PKS1_EviT5_lT_lS4_lS5_liPT4_.private_seg_size, 0
	.set _ZL28rocblas_dot_batched_4_kernelIiLi64ELi4ELb1E19rocblas_complex_numIdES1_PKS1_EviT5_lT_lS4_lS5_liPT4_.uses_vcc, 1
	.set _ZL28rocblas_dot_batched_4_kernelIiLi64ELi4ELb1E19rocblas_complex_numIdES1_PKS1_EviT5_lT_lS4_lS5_liPT4_.uses_flat_scratch, 0
	.set _ZL28rocblas_dot_batched_4_kernelIiLi64ELi4ELb1E19rocblas_complex_numIdES1_PKS1_EviT5_lT_lS4_lS5_liPT4_.has_dyn_sized_stack, 0
	.set _ZL28rocblas_dot_batched_4_kernelIiLi64ELi4ELb1E19rocblas_complex_numIdES1_PKS1_EviT5_lT_lS4_lS5_liPT4_.has_recursion, 0
	.set _ZL28rocblas_dot_batched_4_kernelIiLi64ELi4ELb1E19rocblas_complex_numIdES1_PKS1_EviT5_lT_lS4_lS5_liPT4_.has_indirect_call, 0
	.section	.AMDGPU.csdata,"",@progbits
; Kernel info:
; codeLenInByte = 988
; TotalNumSgprs: 28
; NumVgprs: 22
; ScratchSize: 0
; MemoryBound: 0
; FloatMode: 240
; IeeeMode: 1
; LDSByteSize: 0 bytes/workgroup (compile time only)
; SGPRBlocks: 3
; VGPRBlocks: 5
; NumSGPRsForWavesPerEU: 28
; NumVGPRsForWavesPerEU: 22
; Occupancy: 10
; WaveLimiterHint : 0
; COMPUTE_PGM_RSRC2:SCRATCH_EN: 0
; COMPUTE_PGM_RSRC2:USER_SGPR: 6
; COMPUTE_PGM_RSRC2:TRAP_HANDLER: 0
; COMPUTE_PGM_RSRC2:TGID_X_EN: 1
; COMPUTE_PGM_RSRC2:TGID_Y_EN: 0
; COMPUTE_PGM_RSRC2:TGID_Z_EN: 0
; COMPUTE_PGM_RSRC2:TIDIG_COMP_CNT: 1
	.section	.text._ZL26rocblas_dot_kernel_inc1by2ILb1ELi1024ELi32ELb1E19rocblas_complex_numIdEPKS1_S1_EviT4_llS4_lliPT5_PT3_,"axG",@progbits,_ZL26rocblas_dot_kernel_inc1by2ILb1ELi1024ELi32ELb1E19rocblas_complex_numIdEPKS1_S1_EviT4_llS4_lliPT5_PT3_,comdat
	.globl	_ZL26rocblas_dot_kernel_inc1by2ILb1ELi1024ELi32ELb1E19rocblas_complex_numIdEPKS1_S1_EviT4_llS4_lliPT5_PT3_ ; -- Begin function _ZL26rocblas_dot_kernel_inc1by2ILb1ELi1024ELi32ELb1E19rocblas_complex_numIdEPKS1_S1_EviT4_llS4_lliPT5_PT3_
	.p2align	8
	.type	_ZL26rocblas_dot_kernel_inc1by2ILb1ELi1024ELi32ELb1E19rocblas_complex_numIdEPKS1_S1_EviT4_llS4_lliPT5_PT3_,@function
_ZL26rocblas_dot_kernel_inc1by2ILb1ELi1024ELi32ELb1E19rocblas_complex_numIdEPKS1_S1_EviT4_llS4_lliPT5_PT3_: ; @_ZL26rocblas_dot_kernel_inc1by2ILb1ELi1024ELi32ELb1E19rocblas_complex_numIdEPKS1_S1_EviT4_llS4_lliPT5_PT3_
; %bb.0:
	s_mov_b32 s2, s7
	s_load_dword s10, s[4:5], 0x0
	s_load_dwordx2 s[6:7], s[4:5], 0x48
	v_mov_b32_e32 v1, 0
	v_mov_b32_e32 v3, 0
	s_mov_b32 s3, 0
	v_mov_b32_e32 v2, 0
	v_mov_b32_e32 v4, 0
	s_waitcnt lgkmcnt(0)
	v_cmp_gt_i32_e32 vcc, s10, v0
	s_and_saveexec_b64 s[8:9], vcc
	s_cbranch_execz .LBB64_4
; %bb.1:
	s_load_dwordx4 s[12:15], s[4:5], 0x28
	s_load_dwordx2 s[0:1], s[4:5], 0x20
	s_load_dwordx2 s[20:21], s[4:5], 0x8
	s_load_dwordx4 s[16:19], s[4:5], 0x10
	v_lshlrev_b32_e32 v1, 4, v0
	s_waitcnt lgkmcnt(0)
	s_mul_i32 s4, s15, s2
	s_mul_hi_u32 s5, s14, s2
	s_add_i32 s5, s5, s4
	s_mul_i32 s4, s14, s2
	s_lshl_b64 s[4:5], s[4:5], 4
	s_lshl_b64 s[12:13], s[12:13], 4
	s_add_u32 s4, s4, s12
	s_addc_u32 s5, s5, s13
	s_add_u32 s0, s0, s4
	s_addc_u32 s1, s1, s5
	v_mov_b32_e32 v2, s1
	v_add_co_u32_e32 v3, vcc, s0, v1
	s_mul_i32 s0, s19, s2
	s_mul_hi_u32 s1, s18, s2
	s_add_i32 s1, s1, s0
	s_mul_i32 s0, s18, s2
	s_lshl_b64 s[0:1], s[0:1], 4
	s_lshl_b64 s[4:5], s[16:17], 4
	s_add_u32 s0, s0, s4
	v_addc_co_u32_e32 v2, vcc, 0, v2, vcc
	s_addc_u32 s1, s1, s5
	v_add_co_u32_e32 v5, vcc, 8, v3
	s_add_u32 s0, s20, s0
	v_addc_co_u32_e32 v6, vcc, 0, v2, vcc
	s_addc_u32 s1, s21, s1
	v_mov_b32_e32 v2, s1
	v_add_co_u32_e32 v1, vcc, s0, v1
	v_addc_co_u32_e32 v2, vcc, 0, v2, vcc
	v_add_co_u32_e32 v7, vcc, 8, v1
	v_addc_co_u32_e32 v8, vcc, 0, v2, vcc
	v_mov_b32_e32 v1, 0
	v_mov_b32_e32 v3, 0
	v_or_b32_e32 v9, 0x400, v0
	v_mov_b32_e32 v2, 0
	s_mov_b64 s[4:5], 0
	v_mov_b32_e32 v4, 0
	s_mov_b32 s11, s3
.LBB64_2:                               ; =>This Inner Loop Header: Depth=1
	global_load_dwordx4 v[10:13], v[5:6], off offset:-8
	global_load_dwordx4 v[14:17], v[7:8], off offset:-8
	s_add_i32 s12, s11, 1
	s_cmp_gt_u32 s11, 30
	v_cmp_le_i32_e64 s[0:1], s10, v9
	v_add_co_u32_e32 v5, vcc, 0x4000, v5
	s_mov_b32 s11, s12
	s_cselect_b64 s[12:13], -1, 0
	v_addc_co_u32_e32 v6, vcc, 0, v6, vcc
	s_or_b64 s[0:1], s[12:13], s[0:1]
	v_add_co_u32_e32 v7, vcc, 0x4000, v7
	s_and_b64 s[0:1], exec, s[0:1]
	v_add_u32_e32 v9, 0x400, v9
	s_or_b64 s[4:5], s[0:1], s[4:5]
	v_addc_co_u32_e32 v8, vcc, 0, v8, vcc
	s_waitcnt vmcnt(0)
	v_mul_f64 v[18:19], v[12:13], v[16:17]
	v_fma_f64 v[18:19], v[10:11], v[14:15], v[18:19]
	v_mul_f64 v[10:11], v[10:11], v[16:17]
	v_add_f64 v[3:4], v[3:4], v[18:19]
	v_fma_f64 v[10:11], v[12:13], v[14:15], -v[10:11]
	v_add_f64 v[1:2], v[1:2], v[10:11]
	s_andn2_b64 exec, exec, s[4:5]
	s_cbranch_execnz .LBB64_2
; %bb.3:
	s_or_b64 exec, exec, s[4:5]
.LBB64_4:
	s_or_b64 exec, exec, s[8:9]
	v_and_b32_e32 v14, 63, v0
	v_cmp_gt_u32_e32 vcc, 64, v0
	v_lshlrev_b32_e32 v9, 4, v14
	s_and_saveexec_b64 s[0:1], vcc
; %bb.5:
	v_mov_b32_e32 v5, 0
	v_mov_b32_e32 v6, v5
	;; [unrolled: 1-line block ×4, first 2 shown]
	ds_write_b128 v9, v[5:8]
; %bb.6:
	s_or_b64 exec, exec, s[0:1]
	v_mbcnt_lo_u32_b32 v5, -1, 0
	v_mbcnt_hi_u32_b32 v13, -1, v5
	v_mov_b32_e32 v5, 0x80
	v_lshl_or_b32 v8, v13, 2, v5
	ds_bpermute_b32 v5, v8, v3
	ds_bpermute_b32 v6, v8, v4
	;; [unrolled: 1-line block ×4, first 2 shown]
	v_and_b32_e32 v15, 63, v13
	v_cmp_gt_u32_e64 s[0:1], 48, v15
	s_waitcnt lgkmcnt(2)
	v_add_f64 v[3:4], v[3:4], v[5:6]
	v_cndmask_b32_e64 v5, 0, 16, s[0:1]
	s_waitcnt lgkmcnt(0)
	v_add_f64 v[1:2], v[1:2], v[7:8]
	v_add_lshl_u32 v8, v5, v13, 2
	v_cmp_gt_u32_e64 s[0:1], 56, v15
	s_barrier
	ds_bpermute_b32 v5, v8, v3
	ds_bpermute_b32 v6, v8, v4
	;; [unrolled: 1-line block ×4, first 2 shown]
	s_waitcnt lgkmcnt(2)
	v_add_f64 v[3:4], v[3:4], v[5:6]
	v_cndmask_b32_e64 v5, 0, 8, s[0:1]
	s_waitcnt lgkmcnt(0)
	v_add_f64 v[1:2], v[1:2], v[7:8]
	v_add_lshl_u32 v10, v5, v13, 2
	v_cmp_gt_u32_e64 s[0:1], 60, v15
	ds_bpermute_b32 v5, v10, v3
	ds_bpermute_b32 v6, v10, v4
	;; [unrolled: 1-line block ×4, first 2 shown]
	s_waitcnt lgkmcnt(2)
	v_add_f64 v[3:4], v[3:4], v[5:6]
	v_cndmask_b32_e64 v5, 0, 4, s[0:1]
	s_waitcnt lgkmcnt(0)
	v_add_f64 v[1:2], v[1:2], v[7:8]
	v_add_lshl_u32 v11, v5, v13, 2
	v_cmp_gt_u32_e64 s[0:1], 62, v15
	ds_bpermute_b32 v5, v11, v3
	ds_bpermute_b32 v6, v11, v4
	;; [unrolled: 1-line block ×4, first 2 shown]
	s_waitcnt lgkmcnt(2)
	v_add_f64 v[3:4], v[3:4], v[5:6]
	s_waitcnt lgkmcnt(0)
	v_add_f64 v[5:6], v[1:2], v[7:8]
	v_cndmask_b32_e64 v1, 0, 2, s[0:1]
	v_add_lshl_u32 v12, v1, v13, 2
	v_cmp_ne_u32_e64 s[0:1], 63, v15
	ds_bpermute_b32 v1, v12, v3
	ds_bpermute_b32 v2, v12, v4
	;; [unrolled: 1-line block ×4, first 2 shown]
	s_waitcnt lgkmcnt(2)
	v_add_f64 v[1:2], v[3:4], v[1:2]
	s_waitcnt lgkmcnt(0)
	v_add_f64 v[3:4], v[5:6], v[7:8]
	v_addc_co_u32_e64 v5, s[0:1], 0, v13, s[0:1]
	v_lshlrev_b32_e32 v13, 2, v5
	v_cmp_eq_u32_e64 s[0:1], 0, v14
	ds_bpermute_b32 v5, v13, v1
	ds_bpermute_b32 v6, v13, v2
	ds_bpermute_b32 v7, v13, v3
	ds_bpermute_b32 v8, v13, v4
	s_and_saveexec_b64 s[4:5], s[0:1]
	s_cbranch_execz .LBB64_8
; %bb.7:
	s_waitcnt lgkmcnt(0)
	v_add_f64 v[3:4], v[3:4], v[7:8]
	v_add_f64 v[1:2], v[1:2], v[5:6]
	v_lshrrev_b32_e32 v5, 2, v0
	v_and_b32_e32 v5, 0xf0, v5
	ds_write_b128 v5, v[1:4]
.LBB64_8:
	s_or_b64 exec, exec, s[4:5]
	v_mov_b32_e32 v3, 0
	v_mov_b32_e32 v1, 0
	;; [unrolled: 1-line block ×4, first 2 shown]
	v_cmp_gt_u32_e64 s[0:1], 16, v0
	s_waitcnt lgkmcnt(0)
	s_barrier
	s_and_saveexec_b64 s[4:5], s[0:1]
	s_cbranch_execnz .LBB64_12
; %bb.9:
	s_or_b64 exec, exec, s[4:5]
	s_and_saveexec_b64 s[0:1], vcc
	s_cbranch_execnz .LBB64_13
.LBB64_10:
	s_or_b64 exec, exec, s[0:1]
	v_cmp_eq_u32_e32 vcc, 0, v0
	s_and_saveexec_b64 s[0:1], vcc
	s_cbranch_execnz .LBB64_14
.LBB64_11:
	s_endpgm
.LBB64_12:
	ds_read_b128 v[1:4], v9
	s_or_b64 exec, exec, s[4:5]
	s_and_saveexec_b64 s[0:1], vcc
	s_cbranch_execz .LBB64_10
.LBB64_13:
	s_waitcnt lgkmcnt(0)
	ds_bpermute_b32 v5, v10, v1
	ds_bpermute_b32 v6, v10, v2
	ds_bpermute_b32 v7, v10, v3
	ds_bpermute_b32 v8, v10, v4
	s_waitcnt lgkmcnt(2)
	v_add_f64 v[1:2], v[1:2], v[5:6]
	s_waitcnt lgkmcnt(0)
	v_add_f64 v[3:4], v[3:4], v[7:8]
	ds_bpermute_b32 v5, v11, v1
	ds_bpermute_b32 v6, v11, v2
	ds_bpermute_b32 v7, v11, v3
	ds_bpermute_b32 v8, v11, v4
	s_waitcnt lgkmcnt(2)
	v_add_f64 v[1:2], v[1:2], v[5:6]
	s_waitcnt lgkmcnt(0)
	v_add_f64 v[3:4], v[3:4], v[7:8]
	;; [unrolled: 8-line block ×4, first 2 shown]
	s_or_b64 exec, exec, s[0:1]
	v_cmp_eq_u32_e32 vcc, 0, v0
	s_and_saveexec_b64 s[0:1], vcc
	s_cbranch_execz .LBB64_11
.LBB64_14:
	s_lshl_b64 s[0:1], s[2:3], 4
	s_add_u32 s0, s6, s0
	s_addc_u32 s1, s7, s1
	v_mov_b32_e32 v0, 0
	s_waitcnt lgkmcnt(0)
	global_store_dwordx4 v0, v[1:4], s[0:1]
	s_endpgm
	.section	.rodata,"a",@progbits
	.p2align	6, 0x0
	.amdhsa_kernel _ZL26rocblas_dot_kernel_inc1by2ILb1ELi1024ELi32ELb1E19rocblas_complex_numIdEPKS1_S1_EviT4_llS4_lliPT5_PT3_
		.amdhsa_group_segment_fixed_size 1024
		.amdhsa_private_segment_fixed_size 0
		.amdhsa_kernarg_size 80
		.amdhsa_user_sgpr_count 6
		.amdhsa_user_sgpr_private_segment_buffer 1
		.amdhsa_user_sgpr_dispatch_ptr 0
		.amdhsa_user_sgpr_queue_ptr 0
		.amdhsa_user_sgpr_kernarg_segment_ptr 1
		.amdhsa_user_sgpr_dispatch_id 0
		.amdhsa_user_sgpr_flat_scratch_init 0
		.amdhsa_user_sgpr_private_segment_size 0
		.amdhsa_uses_dynamic_stack 0
		.amdhsa_system_sgpr_private_segment_wavefront_offset 0
		.amdhsa_system_sgpr_workgroup_id_x 1
		.amdhsa_system_sgpr_workgroup_id_y 0
		.amdhsa_system_sgpr_workgroup_id_z 1
		.amdhsa_system_sgpr_workgroup_info 0
		.amdhsa_system_vgpr_workitem_id 0
		.amdhsa_next_free_vgpr 20
		.amdhsa_next_free_sgpr 22
		.amdhsa_reserve_vcc 1
		.amdhsa_reserve_flat_scratch 0
		.amdhsa_float_round_mode_32 0
		.amdhsa_float_round_mode_16_64 0
		.amdhsa_float_denorm_mode_32 3
		.amdhsa_float_denorm_mode_16_64 3
		.amdhsa_dx10_clamp 1
		.amdhsa_ieee_mode 1
		.amdhsa_fp16_overflow 0
		.amdhsa_exception_fp_ieee_invalid_op 0
		.amdhsa_exception_fp_denorm_src 0
		.amdhsa_exception_fp_ieee_div_zero 0
		.amdhsa_exception_fp_ieee_overflow 0
		.amdhsa_exception_fp_ieee_underflow 0
		.amdhsa_exception_fp_ieee_inexact 0
		.amdhsa_exception_int_div_zero 0
	.end_amdhsa_kernel
	.section	.text._ZL26rocblas_dot_kernel_inc1by2ILb1ELi1024ELi32ELb1E19rocblas_complex_numIdEPKS1_S1_EviT4_llS4_lliPT5_PT3_,"axG",@progbits,_ZL26rocblas_dot_kernel_inc1by2ILb1ELi1024ELi32ELb1E19rocblas_complex_numIdEPKS1_S1_EviT4_llS4_lliPT5_PT3_,comdat
.Lfunc_end64:
	.size	_ZL26rocblas_dot_kernel_inc1by2ILb1ELi1024ELi32ELb1E19rocblas_complex_numIdEPKS1_S1_EviT4_llS4_lliPT5_PT3_, .Lfunc_end64-_ZL26rocblas_dot_kernel_inc1by2ILb1ELi1024ELi32ELb1E19rocblas_complex_numIdEPKS1_S1_EviT4_llS4_lliPT5_PT3_
                                        ; -- End function
	.set _ZL26rocblas_dot_kernel_inc1by2ILb1ELi1024ELi32ELb1E19rocblas_complex_numIdEPKS1_S1_EviT4_llS4_lliPT5_PT3_.num_vgpr, 20
	.set _ZL26rocblas_dot_kernel_inc1by2ILb1ELi1024ELi32ELb1E19rocblas_complex_numIdEPKS1_S1_EviT4_llS4_lliPT5_PT3_.num_agpr, 0
	.set _ZL26rocblas_dot_kernel_inc1by2ILb1ELi1024ELi32ELb1E19rocblas_complex_numIdEPKS1_S1_EviT4_llS4_lliPT5_PT3_.numbered_sgpr, 22
	.set _ZL26rocblas_dot_kernel_inc1by2ILb1ELi1024ELi32ELb1E19rocblas_complex_numIdEPKS1_S1_EviT4_llS4_lliPT5_PT3_.num_named_barrier, 0
	.set _ZL26rocblas_dot_kernel_inc1by2ILb1ELi1024ELi32ELb1E19rocblas_complex_numIdEPKS1_S1_EviT4_llS4_lliPT5_PT3_.private_seg_size, 0
	.set _ZL26rocblas_dot_kernel_inc1by2ILb1ELi1024ELi32ELb1E19rocblas_complex_numIdEPKS1_S1_EviT4_llS4_lliPT5_PT3_.uses_vcc, 1
	.set _ZL26rocblas_dot_kernel_inc1by2ILb1ELi1024ELi32ELb1E19rocblas_complex_numIdEPKS1_S1_EviT4_llS4_lliPT5_PT3_.uses_flat_scratch, 0
	.set _ZL26rocblas_dot_kernel_inc1by2ILb1ELi1024ELi32ELb1E19rocblas_complex_numIdEPKS1_S1_EviT4_llS4_lliPT5_PT3_.has_dyn_sized_stack, 0
	.set _ZL26rocblas_dot_kernel_inc1by2ILb1ELi1024ELi32ELb1E19rocblas_complex_numIdEPKS1_S1_EviT4_llS4_lliPT5_PT3_.has_recursion, 0
	.set _ZL26rocblas_dot_kernel_inc1by2ILb1ELi1024ELi32ELb1E19rocblas_complex_numIdEPKS1_S1_EviT4_llS4_lliPT5_PT3_.has_indirect_call, 0
	.section	.AMDGPU.csdata,"",@progbits
; Kernel info:
; codeLenInByte = 1340
; TotalNumSgprs: 26
; NumVgprs: 20
; ScratchSize: 0
; MemoryBound: 0
; FloatMode: 240
; IeeeMode: 1
; LDSByteSize: 1024 bytes/workgroup (compile time only)
; SGPRBlocks: 3
; VGPRBlocks: 4
; NumSGPRsForWavesPerEU: 26
; NumVGPRsForWavesPerEU: 20
; Occupancy: 10
; WaveLimiterHint : 0
; COMPUTE_PGM_RSRC2:SCRATCH_EN: 0
; COMPUTE_PGM_RSRC2:USER_SGPR: 6
; COMPUTE_PGM_RSRC2:TRAP_HANDLER: 0
; COMPUTE_PGM_RSRC2:TGID_X_EN: 1
; COMPUTE_PGM_RSRC2:TGID_Y_EN: 0
; COMPUTE_PGM_RSRC2:TGID_Z_EN: 1
; COMPUTE_PGM_RSRC2:TIDIG_COMP_CNT: 0
	.section	.text._ZL18rocblas_dot_kernelIiLb1ELi1024ELi32ELb1E19rocblas_complex_numIdEPKS1_S1_EviT5_lT_lS4_lS5_liPT6_PT4_,"axG",@progbits,_ZL18rocblas_dot_kernelIiLb1ELi1024ELi32ELb1E19rocblas_complex_numIdEPKS1_S1_EviT5_lT_lS4_lS5_liPT6_PT4_,comdat
	.globl	_ZL18rocblas_dot_kernelIiLb1ELi1024ELi32ELb1E19rocblas_complex_numIdEPKS1_S1_EviT5_lT_lS4_lS5_liPT6_PT4_ ; -- Begin function _ZL18rocblas_dot_kernelIiLb1ELi1024ELi32ELb1E19rocblas_complex_numIdEPKS1_S1_EviT5_lT_lS4_lS5_liPT6_PT4_
	.p2align	8
	.type	_ZL18rocblas_dot_kernelIiLb1ELi1024ELi32ELb1E19rocblas_complex_numIdEPKS1_S1_EviT5_lT_lS4_lS5_liPT6_PT4_,@function
_ZL18rocblas_dot_kernelIiLb1ELi1024ELi32ELb1E19rocblas_complex_numIdEPKS1_S1_EviT5_lT_lS4_lS5_liPT6_PT4_: ; @_ZL18rocblas_dot_kernelIiLb1ELi1024ELi32ELb1E19rocblas_complex_numIdEPKS1_S1_EviT5_lT_lS4_lS5_liPT6_PT4_
; %bb.0:
	s_load_dword s14, s[4:5], 0x0
	s_load_dwordx2 s[8:9], s[4:5], 0x58
	v_mov_b32_e32 v1, 0
	v_mov_b32_e32 v5, 0
	s_mov_b32 s6, s7
	s_mov_b32 s7, 0
	v_mov_b32_e32 v2, 0
	v_mov_b32_e32 v6, 0
	s_waitcnt lgkmcnt(0)
	v_cmp_gt_i32_e32 vcc, s14, v0
	s_and_saveexec_b64 s[10:11], vcc
	s_cbranch_execz .LBB65_4
; %bb.1:
	s_load_dword s22, s[4:5], 0x38
	s_load_dwordx2 s[12:13], s[4:5], 0x40
	s_load_dword s15, s[4:5], 0x60
	s_load_dwordx4 s[0:3], s[4:5], 0x20
	s_load_dwordx4 s[16:19], s[4:5], 0x8
	s_load_dword s23, s[4:5], 0x18
	s_load_dwordx2 s[20:21], s[4:5], 0x30
	s_waitcnt lgkmcnt(0)
	s_lshl_b32 s15, s15, 10
	s_mul_i32 s1, s1, s6
	s_mul_hi_u32 s24, s0, s6
	v_mad_i64_i32 v[1:2], s[4:5], s23, v0, 0
	s_add_i32 s1, s24, s1
	s_mul_i32 s0, s0, s6
	s_lshl_b64 s[0:1], s[0:1], 4
	s_lshl_b64 s[4:5], s[18:19], 4
	s_add_u32 s4, s16, s4
	s_addc_u32 s5, s17, s5
	v_lshlrev_b64 v[1:2], 4, v[1:2]
	s_add_u32 s0, s4, s0
	s_addc_u32 s1, s5, s1
	v_mov_b32_e32 v3, s1
	v_add_co_u32_e32 v1, vcc, s0, v1
	v_addc_co_u32_e32 v2, vcc, v3, v2, vcc
	v_add_co_u32_e32 v3, vcc, 8, v1
	s_mul_hi_i32 s1, s23, s15
	s_mul_i32 s0, s23, s15
	v_addc_co_u32_e32 v4, vcc, 0, v2, vcc
	s_lshl_b64 s[4:5], s[0:1], 4
	s_mul_i32 s13, s13, s6
	s_mul_hi_u32 s16, s12, s6
	v_mad_i64_i32 v[1:2], s[0:1], s22, v0, 0
	s_add_i32 s1, s16, s13
	s_mul_i32 s0, s12, s6
	s_lshl_b64 s[0:1], s[0:1], 4
	s_lshl_b64 s[12:13], s[20:21], 4
	s_add_u32 s2, s2, s12
	s_addc_u32 s3, s3, s13
	v_lshlrev_b64 v[1:2], 4, v[1:2]
	s_add_u32 s0, s2, s0
	s_addc_u32 s1, s3, s1
	v_mov_b32_e32 v5, s1
	v_add_co_u32_e32 v1, vcc, s0, v1
	v_addc_co_u32_e32 v2, vcc, v5, v2, vcc
	v_add_co_u32_e32 v7, vcc, 8, v1
	s_mul_hi_i32 s1, s22, s15
	s_mul_i32 s0, s22, s15
	v_addc_co_u32_e32 v8, vcc, 0, v2, vcc
	s_lshl_b64 s[2:3], s[0:1], 4
	v_mov_b32_e32 v1, 0
	v_mov_b32_e32 v5, 0
	v_or_b32_e32 v9, s15, v0
	v_mov_b32_e32 v2, 0
	s_mov_b64 s[12:13], 0
	v_mov_b32_e32 v10, s5
	v_mov_b32_e32 v11, s3
	;; [unrolled: 1-line block ×3, first 2 shown]
	s_mov_b32 s3, s7
.LBB65_2:                               ; =>This Inner Loop Header: Depth=1
	global_load_dwordx4 v[12:15], v[7:8], off offset:-8
	global_load_dwordx4 v[16:19], v[3:4], off offset:-8
	v_add_co_u32_e64 v3, s[0:1], s4, v3
	v_addc_co_u32_e64 v4, s[0:1], v4, v10, s[0:1]
	s_add_i32 s5, s3, 1
	v_add_co_u32_e64 v7, s[0:1], s2, v7
	v_addc_co_u32_e64 v8, s[0:1], v8, v11, s[0:1]
	s_cmp_gt_u32 s3, 30
	v_cmp_le_i32_e32 vcc, s14, v9
	s_cselect_b64 s[0:1], -1, 0
	s_or_b64 s[0:1], s[0:1], vcc
	s_and_b64 s[0:1], exec, s[0:1]
	v_add_u32_e32 v9, s15, v9
	s_or_b64 s[12:13], s[0:1], s[12:13]
	s_mov_b32 s3, s5
	s_waitcnt vmcnt(0)
	v_mul_f64 v[20:21], v[14:15], v[18:19]
	v_fma_f64 v[20:21], v[12:13], v[16:17], v[20:21]
	v_mul_f64 v[12:13], v[12:13], v[18:19]
	v_add_f64 v[5:6], v[5:6], v[20:21]
	v_fma_f64 v[12:13], v[14:15], v[16:17], -v[12:13]
	v_add_f64 v[1:2], v[1:2], v[12:13]
	s_andn2_b64 exec, exec, s[12:13]
	s_cbranch_execnz .LBB65_2
; %bb.3:
	s_or_b64 exec, exec, s[12:13]
.LBB65_4:
	s_or_b64 exec, exec, s[10:11]
	v_and_b32_e32 v14, 63, v0
	v_cmp_gt_u32_e32 vcc, 64, v0
	v_lshlrev_b32_e32 v9, 4, v14
	s_and_saveexec_b64 s[0:1], vcc
; %bb.5:
	v_mov_b32_e32 v10, 0
	v_mov_b32_e32 v11, v10
	;; [unrolled: 1-line block ×4, first 2 shown]
	ds_write_b128 v9, v[10:13]
; %bb.6:
	s_or_b64 exec, exec, s[0:1]
	v_mbcnt_lo_u32_b32 v3, -1, 0
	v_mbcnt_hi_u32_b32 v13, -1, v3
	v_mov_b32_e32 v3, 0x80
	v_lshl_or_b32 v8, v13, 2, v3
	ds_bpermute_b32 v3, v8, v5
	ds_bpermute_b32 v4, v8, v6
	;; [unrolled: 1-line block ×4, first 2 shown]
	v_and_b32_e32 v15, 63, v13
	v_cmp_gt_u32_e64 s[0:1], 48, v15
	s_waitcnt lgkmcnt(2)
	v_add_f64 v[3:4], v[5:6], v[3:4]
	v_cndmask_b32_e64 v5, 0, 16, s[0:1]
	s_waitcnt lgkmcnt(0)
	v_add_f64 v[1:2], v[1:2], v[7:8]
	v_add_lshl_u32 v8, v5, v13, 2
	v_cmp_gt_u32_e64 s[0:1], 56, v15
	s_barrier
	ds_bpermute_b32 v5, v8, v3
	ds_bpermute_b32 v6, v8, v4
	;; [unrolled: 1-line block ×4, first 2 shown]
	s_waitcnt lgkmcnt(2)
	v_add_f64 v[3:4], v[3:4], v[5:6]
	v_cndmask_b32_e64 v5, 0, 8, s[0:1]
	s_waitcnt lgkmcnt(0)
	v_add_f64 v[1:2], v[1:2], v[7:8]
	v_add_lshl_u32 v10, v5, v13, 2
	v_cmp_gt_u32_e64 s[0:1], 60, v15
	ds_bpermute_b32 v5, v10, v3
	ds_bpermute_b32 v6, v10, v4
	;; [unrolled: 1-line block ×4, first 2 shown]
	s_waitcnt lgkmcnt(2)
	v_add_f64 v[3:4], v[3:4], v[5:6]
	v_cndmask_b32_e64 v5, 0, 4, s[0:1]
	s_waitcnt lgkmcnt(0)
	v_add_f64 v[1:2], v[1:2], v[7:8]
	v_add_lshl_u32 v11, v5, v13, 2
	v_cmp_gt_u32_e64 s[0:1], 62, v15
	ds_bpermute_b32 v5, v11, v3
	ds_bpermute_b32 v6, v11, v4
	;; [unrolled: 1-line block ×4, first 2 shown]
	s_waitcnt lgkmcnt(2)
	v_add_f64 v[3:4], v[3:4], v[5:6]
	s_waitcnt lgkmcnt(0)
	v_add_f64 v[5:6], v[1:2], v[7:8]
	v_cndmask_b32_e64 v1, 0, 2, s[0:1]
	v_add_lshl_u32 v12, v1, v13, 2
	v_cmp_ne_u32_e64 s[0:1], 63, v15
	ds_bpermute_b32 v1, v12, v3
	ds_bpermute_b32 v2, v12, v4
	;; [unrolled: 1-line block ×4, first 2 shown]
	s_waitcnt lgkmcnt(2)
	v_add_f64 v[1:2], v[3:4], v[1:2]
	s_waitcnt lgkmcnt(0)
	v_add_f64 v[3:4], v[5:6], v[7:8]
	v_addc_co_u32_e64 v5, s[0:1], 0, v13, s[0:1]
	v_lshlrev_b32_e32 v13, 2, v5
	v_cmp_eq_u32_e64 s[0:1], 0, v14
	ds_bpermute_b32 v5, v13, v1
	ds_bpermute_b32 v6, v13, v2
	;; [unrolled: 1-line block ×4, first 2 shown]
	s_and_saveexec_b64 s[2:3], s[0:1]
	s_cbranch_execz .LBB65_8
; %bb.7:
	s_waitcnt lgkmcnt(0)
	v_add_f64 v[3:4], v[3:4], v[7:8]
	v_add_f64 v[1:2], v[1:2], v[5:6]
	v_lshrrev_b32_e32 v5, 2, v0
	v_and_b32_e32 v5, 0xf0, v5
	ds_write_b128 v5, v[1:4]
.LBB65_8:
	s_or_b64 exec, exec, s[2:3]
	v_mov_b32_e32 v3, 0
	v_mov_b32_e32 v1, 0
	v_mov_b32_e32 v4, 0
	v_mov_b32_e32 v2, 0
	v_cmp_gt_u32_e64 s[0:1], 16, v0
	s_waitcnt lgkmcnt(0)
	s_barrier
	s_and_saveexec_b64 s[2:3], s[0:1]
	s_cbranch_execnz .LBB65_12
; %bb.9:
	s_or_b64 exec, exec, s[2:3]
	s_and_saveexec_b64 s[0:1], vcc
	s_cbranch_execnz .LBB65_13
.LBB65_10:
	s_or_b64 exec, exec, s[0:1]
	v_cmp_eq_u32_e32 vcc, 0, v0
	s_and_saveexec_b64 s[0:1], vcc
	s_cbranch_execnz .LBB65_14
.LBB65_11:
	s_endpgm
.LBB65_12:
	ds_read_b128 v[1:4], v9
	s_or_b64 exec, exec, s[2:3]
	s_and_saveexec_b64 s[0:1], vcc
	s_cbranch_execz .LBB65_10
.LBB65_13:
	s_waitcnt lgkmcnt(0)
	ds_bpermute_b32 v5, v10, v1
	ds_bpermute_b32 v6, v10, v2
	ds_bpermute_b32 v7, v10, v3
	ds_bpermute_b32 v8, v10, v4
	s_waitcnt lgkmcnt(2)
	v_add_f64 v[1:2], v[1:2], v[5:6]
	s_waitcnt lgkmcnt(0)
	v_add_f64 v[3:4], v[3:4], v[7:8]
	ds_bpermute_b32 v5, v11, v1
	ds_bpermute_b32 v6, v11, v2
	ds_bpermute_b32 v7, v11, v3
	ds_bpermute_b32 v8, v11, v4
	s_waitcnt lgkmcnt(2)
	v_add_f64 v[1:2], v[1:2], v[5:6]
	s_waitcnt lgkmcnt(0)
	v_add_f64 v[3:4], v[3:4], v[7:8]
	ds_bpermute_b32 v5, v12, v1
	ds_bpermute_b32 v6, v12, v2
	ds_bpermute_b32 v7, v12, v3
	ds_bpermute_b32 v8, v12, v4
	s_waitcnt lgkmcnt(2)
	v_add_f64 v[1:2], v[1:2], v[5:6]
	s_waitcnt lgkmcnt(0)
	v_add_f64 v[3:4], v[3:4], v[7:8]
	ds_bpermute_b32 v5, v13, v1
	ds_bpermute_b32 v6, v13, v2
	ds_bpermute_b32 v7, v13, v3
	ds_bpermute_b32 v8, v13, v4
	s_waitcnt lgkmcnt(2)
	v_add_f64 v[1:2], v[1:2], v[5:6]
	s_waitcnt lgkmcnt(0)
	v_add_f64 v[3:4], v[3:4], v[7:8]
	s_or_b64 exec, exec, s[0:1]
	v_cmp_eq_u32_e32 vcc, 0, v0
	s_and_saveexec_b64 s[0:1], vcc
	s_cbranch_execz .LBB65_11
.LBB65_14:
	s_lshl_b64 s[0:1], s[6:7], 4
	s_add_u32 s0, s8, s0
	s_addc_u32 s1, s9, s1
	v_mov_b32_e32 v0, 0
	s_waitcnt lgkmcnt(0)
	global_store_dwordx4 v0, v[1:4], s[0:1]
	s_endpgm
	.section	.rodata,"a",@progbits
	.p2align	6, 0x0
	.amdhsa_kernel _ZL18rocblas_dot_kernelIiLb1ELi1024ELi32ELb1E19rocblas_complex_numIdEPKS1_S1_EviT5_lT_lS4_lS5_liPT6_PT4_
		.amdhsa_group_segment_fixed_size 1024
		.amdhsa_private_segment_fixed_size 0
		.amdhsa_kernarg_size 352
		.amdhsa_user_sgpr_count 6
		.amdhsa_user_sgpr_private_segment_buffer 1
		.amdhsa_user_sgpr_dispatch_ptr 0
		.amdhsa_user_sgpr_queue_ptr 0
		.amdhsa_user_sgpr_kernarg_segment_ptr 1
		.amdhsa_user_sgpr_dispatch_id 0
		.amdhsa_user_sgpr_flat_scratch_init 0
		.amdhsa_user_sgpr_private_segment_size 0
		.amdhsa_uses_dynamic_stack 0
		.amdhsa_system_sgpr_private_segment_wavefront_offset 0
		.amdhsa_system_sgpr_workgroup_id_x 1
		.amdhsa_system_sgpr_workgroup_id_y 0
		.amdhsa_system_sgpr_workgroup_id_z 1
		.amdhsa_system_sgpr_workgroup_info 0
		.amdhsa_system_vgpr_workitem_id 0
		.amdhsa_next_free_vgpr 22
		.amdhsa_next_free_sgpr 25
		.amdhsa_reserve_vcc 1
		.amdhsa_reserve_flat_scratch 0
		.amdhsa_float_round_mode_32 0
		.amdhsa_float_round_mode_16_64 0
		.amdhsa_float_denorm_mode_32 3
		.amdhsa_float_denorm_mode_16_64 3
		.amdhsa_dx10_clamp 1
		.amdhsa_ieee_mode 1
		.amdhsa_fp16_overflow 0
		.amdhsa_exception_fp_ieee_invalid_op 0
		.amdhsa_exception_fp_denorm_src 0
		.amdhsa_exception_fp_ieee_div_zero 0
		.amdhsa_exception_fp_ieee_overflow 0
		.amdhsa_exception_fp_ieee_underflow 0
		.amdhsa_exception_fp_ieee_inexact 0
		.amdhsa_exception_int_div_zero 0
	.end_amdhsa_kernel
	.section	.text._ZL18rocblas_dot_kernelIiLb1ELi1024ELi32ELb1E19rocblas_complex_numIdEPKS1_S1_EviT5_lT_lS4_lS5_liPT6_PT4_,"axG",@progbits,_ZL18rocblas_dot_kernelIiLb1ELi1024ELi32ELb1E19rocblas_complex_numIdEPKS1_S1_EviT5_lT_lS4_lS5_liPT6_PT4_,comdat
.Lfunc_end65:
	.size	_ZL18rocblas_dot_kernelIiLb1ELi1024ELi32ELb1E19rocblas_complex_numIdEPKS1_S1_EviT5_lT_lS4_lS5_liPT6_PT4_, .Lfunc_end65-_ZL18rocblas_dot_kernelIiLb1ELi1024ELi32ELb1E19rocblas_complex_numIdEPKS1_S1_EviT5_lT_lS4_lS5_liPT6_PT4_
                                        ; -- End function
	.set _ZL18rocblas_dot_kernelIiLb1ELi1024ELi32ELb1E19rocblas_complex_numIdEPKS1_S1_EviT5_lT_lS4_lS5_liPT6_PT4_.num_vgpr, 22
	.set _ZL18rocblas_dot_kernelIiLb1ELi1024ELi32ELb1E19rocblas_complex_numIdEPKS1_S1_EviT5_lT_lS4_lS5_liPT6_PT4_.num_agpr, 0
	.set _ZL18rocblas_dot_kernelIiLb1ELi1024ELi32ELb1E19rocblas_complex_numIdEPKS1_S1_EviT5_lT_lS4_lS5_liPT6_PT4_.numbered_sgpr, 25
	.set _ZL18rocblas_dot_kernelIiLb1ELi1024ELi32ELb1E19rocblas_complex_numIdEPKS1_S1_EviT5_lT_lS4_lS5_liPT6_PT4_.num_named_barrier, 0
	.set _ZL18rocblas_dot_kernelIiLb1ELi1024ELi32ELb1E19rocblas_complex_numIdEPKS1_S1_EviT5_lT_lS4_lS5_liPT6_PT4_.private_seg_size, 0
	.set _ZL18rocblas_dot_kernelIiLb1ELi1024ELi32ELb1E19rocblas_complex_numIdEPKS1_S1_EviT5_lT_lS4_lS5_liPT6_PT4_.uses_vcc, 1
	.set _ZL18rocblas_dot_kernelIiLb1ELi1024ELi32ELb1E19rocblas_complex_numIdEPKS1_S1_EviT5_lT_lS4_lS5_liPT6_PT4_.uses_flat_scratch, 0
	.set _ZL18rocblas_dot_kernelIiLb1ELi1024ELi32ELb1E19rocblas_complex_numIdEPKS1_S1_EviT5_lT_lS4_lS5_liPT6_PT4_.has_dyn_sized_stack, 0
	.set _ZL18rocblas_dot_kernelIiLb1ELi1024ELi32ELb1E19rocblas_complex_numIdEPKS1_S1_EviT5_lT_lS4_lS5_liPT6_PT4_.has_recursion, 0
	.set _ZL18rocblas_dot_kernelIiLb1ELi1024ELi32ELb1E19rocblas_complex_numIdEPKS1_S1_EviT5_lT_lS4_lS5_liPT6_PT4_.has_indirect_call, 0
	.section	.AMDGPU.csdata,"",@progbits
; Kernel info:
; codeLenInByte = 1424
; TotalNumSgprs: 29
; NumVgprs: 22
; ScratchSize: 0
; MemoryBound: 0
; FloatMode: 240
; IeeeMode: 1
; LDSByteSize: 1024 bytes/workgroup (compile time only)
; SGPRBlocks: 3
; VGPRBlocks: 5
; NumSGPRsForWavesPerEU: 29
; NumVGPRsForWavesPerEU: 22
; Occupancy: 10
; WaveLimiterHint : 0
; COMPUTE_PGM_RSRC2:SCRATCH_EN: 0
; COMPUTE_PGM_RSRC2:USER_SGPR: 6
; COMPUTE_PGM_RSRC2:TRAP_HANDLER: 0
; COMPUTE_PGM_RSRC2:TGID_X_EN: 1
; COMPUTE_PGM_RSRC2:TGID_Y_EN: 0
; COMPUTE_PGM_RSRC2:TGID_Z_EN: 1
; COMPUTE_PGM_RSRC2:TIDIG_COMP_CNT: 0
	.section	.text._ZL24rocblas_dot_kernel_magsqIiLb1ELi1024ELi32ELb1E19rocblas_complex_numIdEPKS1_S1_EviT5_lT_liPT6_PT4_,"axG",@progbits,_ZL24rocblas_dot_kernel_magsqIiLb1ELi1024ELi32ELb1E19rocblas_complex_numIdEPKS1_S1_EviT5_lT_liPT6_PT4_,comdat
	.globl	_ZL24rocblas_dot_kernel_magsqIiLb1ELi1024ELi32ELb1E19rocblas_complex_numIdEPKS1_S1_EviT5_lT_liPT6_PT4_ ; -- Begin function _ZL24rocblas_dot_kernel_magsqIiLb1ELi1024ELi32ELb1E19rocblas_complex_numIdEPKS1_S1_EviT5_lT_liPT6_PT4_
	.p2align	8
	.type	_ZL24rocblas_dot_kernel_magsqIiLb1ELi1024ELi32ELb1E19rocblas_complex_numIdEPKS1_S1_EviT5_lT_liPT6_PT4_,@function
_ZL24rocblas_dot_kernel_magsqIiLb1ELi1024ELi32ELb1E19rocblas_complex_numIdEPKS1_S1_EviT5_lT_liPT6_PT4_: ; @_ZL24rocblas_dot_kernel_magsqIiLb1ELi1024ELi32ELb1E19rocblas_complex_numIdEPKS1_S1_EviT5_lT_liPT6_PT4_
; %bb.0:
	s_mov_b32 s2, s7
	s_load_dword s12, s[4:5], 0x0
	s_load_dwordx2 s[6:7], s[4:5], 0x38
	v_mov_b32_e32 v1, 0
	v_mov_b32_e32 v3, 0
	s_mov_b32 s3, 0
	v_mov_b32_e32 v2, 0
	v_mov_b32_e32 v4, 0
	s_waitcnt lgkmcnt(0)
	v_cmp_gt_i32_e32 vcc, s12, v0
	s_and_saveexec_b64 s[8:9], vcc
	s_cbranch_execz .LBB66_4
; %bb.1:
	s_load_dword s10, s[4:5], 0x40
	s_load_dwordx2 s[0:1], s[4:5], 0x20
	s_load_dwordx4 s[16:19], s[4:5], 0x8
	s_load_dword s11, s[4:5], 0x18
	s_waitcnt lgkmcnt(0)
	s_lshl_b32 s13, s10, 10
	s_mul_i32 s1, s1, s2
	s_mul_hi_u32 s10, s0, s2
	v_mad_i64_i32 v[1:2], s[4:5], s11, v0, 0
	s_add_i32 s1, s10, s1
	s_mul_i32 s0, s0, s2
	s_lshl_b64 s[0:1], s[0:1], 4
	s_lshl_b64 s[4:5], s[18:19], 4
	s_add_u32 s4, s16, s4
	s_addc_u32 s5, s17, s5
	v_lshlrev_b64 v[1:2], 4, v[1:2]
	s_add_u32 s0, s4, s0
	s_addc_u32 s1, s5, s1
	v_mov_b32_e32 v3, s1
	v_add_co_u32_e32 v5, vcc, s0, v1
	s_mul_hi_i32 s1, s11, s13
	s_mul_i32 s0, s11, s13
	v_addc_co_u32_e32 v6, vcc, v3, v2, vcc
	s_lshl_b64 s[4:5], s[0:1], 4
	v_mov_b32_e32 v1, 0
	v_mov_b32_e32 v3, 0
	v_or_b32_e32 v7, s13, v0
	v_mov_b32_e32 v2, 0
	s_mov_b64 s[10:11], 0
	v_mov_b32_e32 v8, s5
	v_mov_b32_e32 v4, 0
	s_mov_b32 s5, s3
.LBB66_2:                               ; =>This Inner Loop Header: Depth=1
	global_load_dwordx4 v[9:12], v[5:6], off
	s_add_i32 s14, s5, 1
	v_add_co_u32_e64 v5, s[0:1], s4, v5
	v_addc_co_u32_e64 v6, s[0:1], v6, v8, s[0:1]
	s_cmp_gt_u32 s5, 30
	v_cmp_le_i32_e32 vcc, s12, v7
	s_cselect_b64 s[0:1], -1, 0
	s_or_b64 s[0:1], s[0:1], vcc
	s_and_b64 s[0:1], exec, s[0:1]
	v_add_u32_e32 v7, s13, v7
	s_or_b64 s[10:11], s[0:1], s[10:11]
	s_mov_b32 s5, s14
	s_waitcnt vmcnt(0)
	v_mul_f64 v[13:14], v[11:12], v[11:12]
	v_mul_f64 v[15:16], v[9:10], v[11:12]
	v_fma_f64 v[13:14], v[9:10], v[9:10], v[13:14]
	v_fma_f64 v[9:10], v[9:10], v[11:12], -v[15:16]
	v_add_f64 v[3:4], v[3:4], v[13:14]
	v_add_f64 v[1:2], v[1:2], v[9:10]
	s_andn2_b64 exec, exec, s[10:11]
	s_cbranch_execnz .LBB66_2
; %bb.3:
	s_or_b64 exec, exec, s[10:11]
.LBB66_4:
	s_or_b64 exec, exec, s[8:9]
	v_and_b32_e32 v14, 63, v0
	v_cmp_gt_u32_e32 vcc, 64, v0
	v_lshlrev_b32_e32 v9, 4, v14
	s_and_saveexec_b64 s[0:1], vcc
; %bb.5:
	v_mov_b32_e32 v5, 0
	v_mov_b32_e32 v6, v5
	;; [unrolled: 1-line block ×4, first 2 shown]
	ds_write_b128 v9, v[5:8]
; %bb.6:
	s_or_b64 exec, exec, s[0:1]
	v_mbcnt_lo_u32_b32 v5, -1, 0
	v_mbcnt_hi_u32_b32 v13, -1, v5
	v_mov_b32_e32 v5, 0x80
	v_lshl_or_b32 v8, v13, 2, v5
	ds_bpermute_b32 v5, v8, v3
	ds_bpermute_b32 v6, v8, v4
	;; [unrolled: 1-line block ×4, first 2 shown]
	v_and_b32_e32 v15, 63, v13
	v_cmp_gt_u32_e64 s[0:1], 48, v15
	s_waitcnt lgkmcnt(2)
	v_add_f64 v[3:4], v[3:4], v[5:6]
	v_cndmask_b32_e64 v5, 0, 16, s[0:1]
	s_waitcnt lgkmcnt(0)
	v_add_f64 v[1:2], v[1:2], v[7:8]
	v_add_lshl_u32 v8, v5, v13, 2
	v_cmp_gt_u32_e64 s[0:1], 56, v15
	s_barrier
	ds_bpermute_b32 v5, v8, v3
	ds_bpermute_b32 v6, v8, v4
	;; [unrolled: 1-line block ×4, first 2 shown]
	s_waitcnt lgkmcnt(2)
	v_add_f64 v[3:4], v[3:4], v[5:6]
	v_cndmask_b32_e64 v5, 0, 8, s[0:1]
	s_waitcnt lgkmcnt(0)
	v_add_f64 v[1:2], v[1:2], v[7:8]
	v_add_lshl_u32 v10, v5, v13, 2
	v_cmp_gt_u32_e64 s[0:1], 60, v15
	ds_bpermute_b32 v5, v10, v3
	ds_bpermute_b32 v6, v10, v4
	;; [unrolled: 1-line block ×4, first 2 shown]
	s_waitcnt lgkmcnt(2)
	v_add_f64 v[3:4], v[3:4], v[5:6]
	v_cndmask_b32_e64 v5, 0, 4, s[0:1]
	s_waitcnt lgkmcnt(0)
	v_add_f64 v[1:2], v[1:2], v[7:8]
	v_add_lshl_u32 v11, v5, v13, 2
	v_cmp_gt_u32_e64 s[0:1], 62, v15
	ds_bpermute_b32 v5, v11, v3
	ds_bpermute_b32 v6, v11, v4
	;; [unrolled: 1-line block ×4, first 2 shown]
	s_waitcnt lgkmcnt(2)
	v_add_f64 v[3:4], v[3:4], v[5:6]
	s_waitcnt lgkmcnt(0)
	v_add_f64 v[5:6], v[1:2], v[7:8]
	v_cndmask_b32_e64 v1, 0, 2, s[0:1]
	v_add_lshl_u32 v12, v1, v13, 2
	v_cmp_ne_u32_e64 s[0:1], 63, v15
	ds_bpermute_b32 v1, v12, v3
	ds_bpermute_b32 v2, v12, v4
	;; [unrolled: 1-line block ×4, first 2 shown]
	s_waitcnt lgkmcnt(2)
	v_add_f64 v[1:2], v[3:4], v[1:2]
	s_waitcnt lgkmcnt(0)
	v_add_f64 v[3:4], v[5:6], v[7:8]
	v_addc_co_u32_e64 v5, s[0:1], 0, v13, s[0:1]
	v_lshlrev_b32_e32 v13, 2, v5
	v_cmp_eq_u32_e64 s[0:1], 0, v14
	ds_bpermute_b32 v5, v13, v1
	ds_bpermute_b32 v6, v13, v2
	;; [unrolled: 1-line block ×4, first 2 shown]
	s_and_saveexec_b64 s[4:5], s[0:1]
	s_cbranch_execz .LBB66_8
; %bb.7:
	s_waitcnt lgkmcnt(0)
	v_add_f64 v[3:4], v[3:4], v[7:8]
	v_add_f64 v[1:2], v[1:2], v[5:6]
	v_lshrrev_b32_e32 v5, 2, v0
	v_and_b32_e32 v5, 0xf0, v5
	ds_write_b128 v5, v[1:4]
.LBB66_8:
	s_or_b64 exec, exec, s[4:5]
	v_mov_b32_e32 v3, 0
	v_mov_b32_e32 v1, 0
	;; [unrolled: 1-line block ×4, first 2 shown]
	v_cmp_gt_u32_e64 s[0:1], 16, v0
	s_waitcnt lgkmcnt(0)
	s_barrier
	s_and_saveexec_b64 s[4:5], s[0:1]
	s_cbranch_execnz .LBB66_12
; %bb.9:
	s_or_b64 exec, exec, s[4:5]
	s_and_saveexec_b64 s[0:1], vcc
	s_cbranch_execnz .LBB66_13
.LBB66_10:
	s_or_b64 exec, exec, s[0:1]
	v_cmp_eq_u32_e32 vcc, 0, v0
	s_and_saveexec_b64 s[0:1], vcc
	s_cbranch_execnz .LBB66_14
.LBB66_11:
	s_endpgm
.LBB66_12:
	ds_read_b128 v[1:4], v9
	s_or_b64 exec, exec, s[4:5]
	s_and_saveexec_b64 s[0:1], vcc
	s_cbranch_execz .LBB66_10
.LBB66_13:
	s_waitcnt lgkmcnt(0)
	ds_bpermute_b32 v5, v10, v1
	ds_bpermute_b32 v6, v10, v2
	ds_bpermute_b32 v7, v10, v3
	ds_bpermute_b32 v8, v10, v4
	s_waitcnt lgkmcnt(2)
	v_add_f64 v[1:2], v[1:2], v[5:6]
	s_waitcnt lgkmcnt(0)
	v_add_f64 v[3:4], v[3:4], v[7:8]
	ds_bpermute_b32 v5, v11, v1
	ds_bpermute_b32 v6, v11, v2
	ds_bpermute_b32 v7, v11, v3
	ds_bpermute_b32 v8, v11, v4
	s_waitcnt lgkmcnt(2)
	v_add_f64 v[1:2], v[1:2], v[5:6]
	s_waitcnt lgkmcnt(0)
	v_add_f64 v[3:4], v[3:4], v[7:8]
	;; [unrolled: 8-line block ×4, first 2 shown]
	s_or_b64 exec, exec, s[0:1]
	v_cmp_eq_u32_e32 vcc, 0, v0
	s_and_saveexec_b64 s[0:1], vcc
	s_cbranch_execz .LBB66_11
.LBB66_14:
	s_lshl_b64 s[0:1], s[2:3], 4
	s_add_u32 s0, s6, s0
	s_addc_u32 s1, s7, s1
	v_mov_b32_e32 v0, 0
	s_waitcnt lgkmcnt(0)
	global_store_dwordx4 v0, v[1:4], s[0:1]
	s_endpgm
	.section	.rodata,"a",@progbits
	.p2align	6, 0x0
	.amdhsa_kernel _ZL24rocblas_dot_kernel_magsqIiLb1ELi1024ELi32ELb1E19rocblas_complex_numIdEPKS1_S1_EviT5_lT_liPT6_PT4_
		.amdhsa_group_segment_fixed_size 1024
		.amdhsa_private_segment_fixed_size 0
		.amdhsa_kernarg_size 320
		.amdhsa_user_sgpr_count 6
		.amdhsa_user_sgpr_private_segment_buffer 1
		.amdhsa_user_sgpr_dispatch_ptr 0
		.amdhsa_user_sgpr_queue_ptr 0
		.amdhsa_user_sgpr_kernarg_segment_ptr 1
		.amdhsa_user_sgpr_dispatch_id 0
		.amdhsa_user_sgpr_flat_scratch_init 0
		.amdhsa_user_sgpr_private_segment_size 0
		.amdhsa_uses_dynamic_stack 0
		.amdhsa_system_sgpr_private_segment_wavefront_offset 0
		.amdhsa_system_sgpr_workgroup_id_x 1
		.amdhsa_system_sgpr_workgroup_id_y 0
		.amdhsa_system_sgpr_workgroup_id_z 1
		.amdhsa_system_sgpr_workgroup_info 0
		.amdhsa_system_vgpr_workitem_id 0
		.amdhsa_next_free_vgpr 17
		.amdhsa_next_free_sgpr 20
		.amdhsa_reserve_vcc 1
		.amdhsa_reserve_flat_scratch 0
		.amdhsa_float_round_mode_32 0
		.amdhsa_float_round_mode_16_64 0
		.amdhsa_float_denorm_mode_32 3
		.amdhsa_float_denorm_mode_16_64 3
		.amdhsa_dx10_clamp 1
		.amdhsa_ieee_mode 1
		.amdhsa_fp16_overflow 0
		.amdhsa_exception_fp_ieee_invalid_op 0
		.amdhsa_exception_fp_denorm_src 0
		.amdhsa_exception_fp_ieee_div_zero 0
		.amdhsa_exception_fp_ieee_overflow 0
		.amdhsa_exception_fp_ieee_underflow 0
		.amdhsa_exception_fp_ieee_inexact 0
		.amdhsa_exception_int_div_zero 0
	.end_amdhsa_kernel
	.section	.text._ZL24rocblas_dot_kernel_magsqIiLb1ELi1024ELi32ELb1E19rocblas_complex_numIdEPKS1_S1_EviT5_lT_liPT6_PT4_,"axG",@progbits,_ZL24rocblas_dot_kernel_magsqIiLb1ELi1024ELi32ELb1E19rocblas_complex_numIdEPKS1_S1_EviT5_lT_liPT6_PT4_,comdat
.Lfunc_end66:
	.size	_ZL24rocblas_dot_kernel_magsqIiLb1ELi1024ELi32ELb1E19rocblas_complex_numIdEPKS1_S1_EviT5_lT_liPT6_PT4_, .Lfunc_end66-_ZL24rocblas_dot_kernel_magsqIiLb1ELi1024ELi32ELb1E19rocblas_complex_numIdEPKS1_S1_EviT5_lT_liPT6_PT4_
                                        ; -- End function
	.set _ZL24rocblas_dot_kernel_magsqIiLb1ELi1024ELi32ELb1E19rocblas_complex_numIdEPKS1_S1_EviT5_lT_liPT6_PT4_.num_vgpr, 17
	.set _ZL24rocblas_dot_kernel_magsqIiLb1ELi1024ELi32ELb1E19rocblas_complex_numIdEPKS1_S1_EviT5_lT_liPT6_PT4_.num_agpr, 0
	.set _ZL24rocblas_dot_kernel_magsqIiLb1ELi1024ELi32ELb1E19rocblas_complex_numIdEPKS1_S1_EviT5_lT_liPT6_PT4_.numbered_sgpr, 20
	.set _ZL24rocblas_dot_kernel_magsqIiLb1ELi1024ELi32ELb1E19rocblas_complex_numIdEPKS1_S1_EviT5_lT_liPT6_PT4_.num_named_barrier, 0
	.set _ZL24rocblas_dot_kernel_magsqIiLb1ELi1024ELi32ELb1E19rocblas_complex_numIdEPKS1_S1_EviT5_lT_liPT6_PT4_.private_seg_size, 0
	.set _ZL24rocblas_dot_kernel_magsqIiLb1ELi1024ELi32ELb1E19rocblas_complex_numIdEPKS1_S1_EviT5_lT_liPT6_PT4_.uses_vcc, 1
	.set _ZL24rocblas_dot_kernel_magsqIiLb1ELi1024ELi32ELb1E19rocblas_complex_numIdEPKS1_S1_EviT5_lT_liPT6_PT4_.uses_flat_scratch, 0
	.set _ZL24rocblas_dot_kernel_magsqIiLb1ELi1024ELi32ELb1E19rocblas_complex_numIdEPKS1_S1_EviT5_lT_liPT6_PT4_.has_dyn_sized_stack, 0
	.set _ZL24rocblas_dot_kernel_magsqIiLb1ELi1024ELi32ELb1E19rocblas_complex_numIdEPKS1_S1_EviT5_lT_liPT6_PT4_.has_recursion, 0
	.set _ZL24rocblas_dot_kernel_magsqIiLb1ELi1024ELi32ELb1E19rocblas_complex_numIdEPKS1_S1_EviT5_lT_liPT6_PT4_.has_indirect_call, 0
	.section	.AMDGPU.csdata,"",@progbits
; Kernel info:
; codeLenInByte = 1276
; TotalNumSgprs: 24
; NumVgprs: 17
; ScratchSize: 0
; MemoryBound: 0
; FloatMode: 240
; IeeeMode: 1
; LDSByteSize: 1024 bytes/workgroup (compile time only)
; SGPRBlocks: 2
; VGPRBlocks: 4
; NumSGPRsForWavesPerEU: 24
; NumVGPRsForWavesPerEU: 17
; Occupancy: 10
; WaveLimiterHint : 0
; COMPUTE_PGM_RSRC2:SCRATCH_EN: 0
; COMPUTE_PGM_RSRC2:USER_SGPR: 6
; COMPUTE_PGM_RSRC2:TRAP_HANDLER: 0
; COMPUTE_PGM_RSRC2:TGID_X_EN: 1
; COMPUTE_PGM_RSRC2:TGID_Y_EN: 0
; COMPUTE_PGM_RSRC2:TGID_Z_EN: 1
; COMPUTE_PGM_RSRC2:TIDIG_COMP_CNT: 0
	.section	.text._ZL23rocblas_dot_kernel_inc1ILb0ELi512ELi2ELb1E19rocblas_complex_numIdEPKS1_S1_EviT4_llS4_lliPT5_PT3_,"axG",@progbits,_ZL23rocblas_dot_kernel_inc1ILb0ELi512ELi2ELb1E19rocblas_complex_numIdEPKS1_S1_EviT4_llS4_lliPT5_PT3_,comdat
	.globl	_ZL23rocblas_dot_kernel_inc1ILb0ELi512ELi2ELb1E19rocblas_complex_numIdEPKS1_S1_EviT4_llS4_lliPT5_PT3_ ; -- Begin function _ZL23rocblas_dot_kernel_inc1ILb0ELi512ELi2ELb1E19rocblas_complex_numIdEPKS1_S1_EviT4_llS4_lliPT5_PT3_
	.p2align	8
	.type	_ZL23rocblas_dot_kernel_inc1ILb0ELi512ELi2ELb1E19rocblas_complex_numIdEPKS1_S1_EviT4_llS4_lliPT5_PT3_,@function
_ZL23rocblas_dot_kernel_inc1ILb0ELi512ELi2ELb1E19rocblas_complex_numIdEPKS1_S1_EviT4_llS4_lliPT5_PT3_: ; @_ZL23rocblas_dot_kernel_inc1ILb0ELi512ELi2ELb1E19rocblas_complex_numIdEPKS1_S1_EviT4_llS4_lliPT5_PT3_
; %bb.0:
	s_mov_b32 s2, s7
	s_load_dword s7, s[4:5], 0x0
	s_load_dword s10, s[4:5], 0x50
	v_lshl_or_b32 v5, s6, 9, v0
	v_mov_b32_e32 v1, 0
	v_mov_b32_e32 v3, 0
	s_mov_b32 s3, 0
	v_mov_b32_e32 v2, 0
	v_mov_b32_e32 v4, 0
	s_waitcnt lgkmcnt(0)
	v_cmp_gt_i32_e32 vcc, s7, v5
	s_and_saveexec_b64 s[0:1], vcc
	s_cbranch_execz .LBB67_4
; %bb.1:
	s_load_dwordx4 s[12:15], s[4:5], 0x10
	s_load_dwordx2 s[8:9], s[4:5], 0x8
	s_load_dwordx2 s[20:21], s[4:5], 0x20
	s_load_dwordx4 s[16:19], s[4:5], 0x28
	v_ashrrev_i32_e32 v6, 31, v5
	s_waitcnt lgkmcnt(0)
	s_mul_i32 s11, s15, s2
	s_mul_hi_u32 s15, s14, s2
	s_add_i32 s15, s15, s11
	s_mul_i32 s14, s14, s2
	s_lshl_b64 s[14:15], s[14:15], 4
	s_add_u32 s11, s8, s14
	s_addc_u32 s14, s9, s15
	s_lshl_b64 s[8:9], s[12:13], 4
	s_add_u32 s11, s11, s8
	s_addc_u32 s12, s14, s9
	s_mul_i32 s8, s19, s2
	s_mul_hi_u32 s9, s18, s2
	s_add_i32 s9, s9, s8
	s_mul_i32 s8, s18, s2
	s_lshl_b64 s[8:9], s[8:9], 4
	s_add_u32 s13, s20, s8
	s_addc_u32 s14, s21, s9
	s_lshl_b64 s[8:9], s[16:17], 4
	s_add_u32 s13, s13, s8
	v_lshlrev_b64 v[1:2], 4, v[5:6]
	s_addc_u32 s14, s14, s9
	v_mov_b32_e32 v3, s14
	v_add_co_u32_e32 v9, vcc, s13, v1
	v_addc_co_u32_e32 v10, vcc, v3, v2, vcc
	v_mov_b32_e32 v3, s12
	v_add_co_u32_e32 v11, vcc, s11, v1
	v_addc_co_u32_e32 v12, vcc, v3, v2, vcc
	global_load_dwordx4 v[1:4], v[11:12], off
	global_load_dwordx4 v[5:8], v[9:10], off
	s_add_i32 s8, s6, s10
	s_waitcnt vmcnt(0)
	v_mul_f64 v[9:10], v[7:8], v[3:4]
	v_mul_f64 v[3:4], v[5:6], v[3:4]
	v_fma_f64 v[5:6], v[5:6], v[1:2], v[9:10]
	v_fma_f64 v[3:4], v[7:8], v[1:2], -v[3:4]
	v_add_f64 v[1:2], v[5:6], 0
	v_add_f64 v[3:4], v[3:4], 0
	v_lshl_or_b32 v5, s8, 9, v0
	v_cmp_gt_i32_e32 vcc, s7, v5
	s_and_saveexec_b64 s[8:9], vcc
	s_cbranch_execz .LBB67_3
; %bb.2:
	v_ashrrev_i32_e32 v6, 31, v5
	v_lshlrev_b64 v[9:10], 4, v[5:6]
	v_mov_b32_e32 v6, s14
	v_add_co_u32_e32 v5, vcc, s13, v9
	v_addc_co_u32_e32 v6, vcc, v6, v10, vcc
	v_mov_b32_e32 v11, s12
	v_add_co_u32_e32 v9, vcc, s11, v9
	v_addc_co_u32_e32 v10, vcc, v11, v10, vcc
	global_load_dwordx4 v[5:8], v[5:6], off
	s_nop 0
	global_load_dwordx4 v[9:12], v[9:10], off
	s_waitcnt vmcnt(0)
	v_mul_f64 v[13:14], v[5:6], v[11:12]
	v_mul_f64 v[11:12], v[7:8], v[11:12]
	v_fma_f64 v[7:8], v[7:8], v[9:10], -v[13:14]
	v_fma_f64 v[5:6], v[5:6], v[9:10], v[11:12]
	v_add_f64 v[3:4], v[3:4], v[7:8]
	v_add_f64 v[1:2], v[1:2], v[5:6]
.LBB67_3:
	s_or_b64 exec, exec, s[8:9]
.LBB67_4:
	s_or_b64 exec, exec, s[0:1]
	v_and_b32_e32 v10, 63, v0
	v_cmp_gt_u32_e32 vcc, 64, v0
	v_lshlrev_b32_e32 v9, 4, v10
	s_and_saveexec_b64 s[0:1], vcc
; %bb.5:
	v_mov_b32_e32 v5, 0
	v_mov_b32_e32 v6, v5
	;; [unrolled: 1-line block ×4, first 2 shown]
	ds_write_b128 v9, v[5:8]
; %bb.6:
	s_or_b64 exec, exec, s[0:1]
	v_mbcnt_lo_u32_b32 v5, -1, 0
	v_mbcnt_hi_u32_b32 v13, -1, v5
	v_mov_b32_e32 v5, 0x80
	v_lshl_or_b32 v8, v13, 2, v5
	ds_bpermute_b32 v5, v8, v1
	ds_bpermute_b32 v6, v8, v2
	;; [unrolled: 1-line block ×4, first 2 shown]
	v_and_b32_e32 v14, 63, v13
	v_cmp_gt_u32_e64 s[0:1], 48, v14
	s_waitcnt lgkmcnt(2)
	v_add_f64 v[1:2], v[1:2], v[5:6]
	v_cndmask_b32_e64 v5, 0, 16, s[0:1]
	s_waitcnt lgkmcnt(0)
	v_add_f64 v[3:4], v[3:4], v[7:8]
	v_add_lshl_u32 v8, v5, v13, 2
	v_cmp_gt_u32_e64 s[0:1], 56, v14
	s_barrier
	ds_bpermute_b32 v5, v8, v1
	ds_bpermute_b32 v6, v8, v2
	;; [unrolled: 1-line block ×4, first 2 shown]
	s_waitcnt lgkmcnt(2)
	v_add_f64 v[1:2], v[1:2], v[5:6]
	v_cndmask_b32_e64 v5, 0, 8, s[0:1]
	s_waitcnt lgkmcnt(0)
	v_add_f64 v[3:4], v[3:4], v[7:8]
	v_add_lshl_u32 v8, v5, v13, 2
	v_cmp_gt_u32_e64 s[0:1], 60, v14
	ds_bpermute_b32 v5, v8, v1
	ds_bpermute_b32 v6, v8, v2
	;; [unrolled: 1-line block ×4, first 2 shown]
	s_waitcnt lgkmcnt(2)
	v_add_f64 v[1:2], v[1:2], v[5:6]
	v_cndmask_b32_e64 v5, 0, 4, s[0:1]
	s_waitcnt lgkmcnt(0)
	v_add_f64 v[3:4], v[3:4], v[7:8]
	v_add_lshl_u32 v11, v5, v13, 2
	v_cmp_gt_u32_e64 s[0:1], 62, v14
	ds_bpermute_b32 v5, v11, v1
	ds_bpermute_b32 v6, v11, v2
	;; [unrolled: 1-line block ×4, first 2 shown]
	s_waitcnt lgkmcnt(2)
	v_add_f64 v[1:2], v[1:2], v[5:6]
	v_cndmask_b32_e64 v5, 0, 2, s[0:1]
	s_waitcnt lgkmcnt(0)
	v_add_f64 v[3:4], v[3:4], v[7:8]
	v_add_lshl_u32 v12, v5, v13, 2
	v_cmp_ne_u32_e64 s[0:1], 63, v14
	ds_bpermute_b32 v5, v12, v1
	ds_bpermute_b32 v6, v12, v2
	;; [unrolled: 1-line block ×4, first 2 shown]
	s_waitcnt lgkmcnt(2)
	v_add_f64 v[1:2], v[1:2], v[5:6]
	v_addc_co_u32_e64 v5, s[0:1], 0, v13, s[0:1]
	s_waitcnt lgkmcnt(0)
	v_add_f64 v[3:4], v[3:4], v[7:8]
	v_lshlrev_b32_e32 v13, 2, v5
	v_cmp_eq_u32_e64 s[0:1], 0, v10
	ds_bpermute_b32 v5, v13, v1
	ds_bpermute_b32 v6, v13, v2
	;; [unrolled: 1-line block ×4, first 2 shown]
	s_and_saveexec_b64 s[8:9], s[0:1]
	s_cbranch_execz .LBB67_8
; %bb.7:
	s_waitcnt lgkmcnt(0)
	v_add_f64 v[3:4], v[3:4], v[7:8]
	v_add_f64 v[1:2], v[1:2], v[5:6]
	v_lshrrev_b32_e32 v5, 2, v0
	v_and_b32_e32 v5, 0x70, v5
	ds_write_b128 v5, v[1:4]
.LBB67_8:
	s_or_b64 exec, exec, s[8:9]
	v_mov_b32_e32 v3, 0
	v_mov_b32_e32 v1, 0
	;; [unrolled: 1-line block ×4, first 2 shown]
	v_cmp_gt_u32_e64 s[0:1], 8, v0
	s_waitcnt lgkmcnt(0)
	s_barrier
	s_and_saveexec_b64 s[8:9], s[0:1]
	s_cbranch_execnz .LBB67_12
; %bb.9:
	s_or_b64 exec, exec, s[8:9]
	s_and_saveexec_b64 s[0:1], vcc
	s_cbranch_execnz .LBB67_13
.LBB67_10:
	s_or_b64 exec, exec, s[0:1]
	v_cmp_eq_u32_e32 vcc, 0, v0
	s_and_saveexec_b64 s[0:1], vcc
	s_cbranch_execnz .LBB67_14
.LBB67_11:
	s_endpgm
.LBB67_12:
	ds_read_b128 v[1:4], v9
	s_or_b64 exec, exec, s[8:9]
	s_and_saveexec_b64 s[0:1], vcc
	s_cbranch_execz .LBB67_10
.LBB67_13:
	s_waitcnt lgkmcnt(0)
	ds_bpermute_b32 v5, v11, v1
	ds_bpermute_b32 v6, v11, v2
	ds_bpermute_b32 v7, v11, v3
	ds_bpermute_b32 v8, v11, v4
	s_waitcnt lgkmcnt(2)
	v_add_f64 v[1:2], v[1:2], v[5:6]
	s_waitcnt lgkmcnt(0)
	v_add_f64 v[3:4], v[3:4], v[7:8]
	ds_bpermute_b32 v5, v12, v1
	ds_bpermute_b32 v6, v12, v2
	ds_bpermute_b32 v7, v12, v3
	ds_bpermute_b32 v8, v12, v4
	s_waitcnt lgkmcnt(2)
	v_add_f64 v[1:2], v[1:2], v[5:6]
	s_waitcnt lgkmcnt(0)
	v_add_f64 v[3:4], v[3:4], v[7:8]
	;; [unrolled: 8-line block ×3, first 2 shown]
	s_or_b64 exec, exec, s[0:1]
	v_cmp_eq_u32_e32 vcc, 0, v0
	s_and_saveexec_b64 s[0:1], vcc
	s_cbranch_execz .LBB67_11
.LBB67_14:
	s_cmp_lg_u32 s10, 1
	s_cbranch_scc0 .LBB67_16
; %bb.15:
	s_load_dwordx2 s[0:1], s[4:5], 0x40
	s_mul_hi_u32 s9, s10, s2
	s_mul_i32 s8, s10, s2
	s_lshl_b64 s[8:9], s[8:9], 4
	s_mov_b32 s7, 0
	s_waitcnt lgkmcnt(0)
	s_add_u32 s8, s0, s8
	s_addc_u32 s9, s1, s9
	s_lshl_b64 s[0:1], s[6:7], 4
	s_add_u32 s0, s8, s0
	s_addc_u32 s1, s9, s1
	v_mov_b32_e32 v0, 0
	global_store_dwordx2 v0, v[1:2], s[0:1]
	s_cbranch_execz .LBB67_17
	s_branch .LBB67_18
.LBB67_16:
                                        ; implicit-def: $sgpr0_sgpr1
.LBB67_17:
	s_load_dwordx2 s[0:1], s[4:5], 0x48
	s_lshl_b64 s[2:3], s[2:3], 4
	v_mov_b32_e32 v0, 0
	s_waitcnt lgkmcnt(0)
	s_add_u32 s0, s0, s2
	s_addc_u32 s1, s1, s3
	global_store_dwordx2 v0, v[1:2], s[0:1]
.LBB67_18:
	v_mov_b32_e32 v0, 0
	s_waitcnt lgkmcnt(0)
	global_store_dwordx2 v0, v[3:4], s[0:1] offset:8
	s_endpgm
	.section	.rodata,"a",@progbits
	.p2align	6, 0x0
	.amdhsa_kernel _ZL23rocblas_dot_kernel_inc1ILb0ELi512ELi2ELb1E19rocblas_complex_numIdEPKS1_S1_EviT4_llS4_lliPT5_PT3_
		.amdhsa_group_segment_fixed_size 1024
		.amdhsa_private_segment_fixed_size 0
		.amdhsa_kernarg_size 336
		.amdhsa_user_sgpr_count 6
		.amdhsa_user_sgpr_private_segment_buffer 1
		.amdhsa_user_sgpr_dispatch_ptr 0
		.amdhsa_user_sgpr_queue_ptr 0
		.amdhsa_user_sgpr_kernarg_segment_ptr 1
		.amdhsa_user_sgpr_dispatch_id 0
		.amdhsa_user_sgpr_flat_scratch_init 0
		.amdhsa_user_sgpr_private_segment_size 0
		.amdhsa_uses_dynamic_stack 0
		.amdhsa_system_sgpr_private_segment_wavefront_offset 0
		.amdhsa_system_sgpr_workgroup_id_x 1
		.amdhsa_system_sgpr_workgroup_id_y 0
		.amdhsa_system_sgpr_workgroup_id_z 1
		.amdhsa_system_sgpr_workgroup_info 0
		.amdhsa_system_vgpr_workitem_id 0
		.amdhsa_next_free_vgpr 15
		.amdhsa_next_free_sgpr 22
		.amdhsa_reserve_vcc 1
		.amdhsa_reserve_flat_scratch 0
		.amdhsa_float_round_mode_32 0
		.amdhsa_float_round_mode_16_64 0
		.amdhsa_float_denorm_mode_32 3
		.amdhsa_float_denorm_mode_16_64 3
		.amdhsa_dx10_clamp 1
		.amdhsa_ieee_mode 1
		.amdhsa_fp16_overflow 0
		.amdhsa_exception_fp_ieee_invalid_op 0
		.amdhsa_exception_fp_denorm_src 0
		.amdhsa_exception_fp_ieee_div_zero 0
		.amdhsa_exception_fp_ieee_overflow 0
		.amdhsa_exception_fp_ieee_underflow 0
		.amdhsa_exception_fp_ieee_inexact 0
		.amdhsa_exception_int_div_zero 0
	.end_amdhsa_kernel
	.section	.text._ZL23rocblas_dot_kernel_inc1ILb0ELi512ELi2ELb1E19rocblas_complex_numIdEPKS1_S1_EviT4_llS4_lliPT5_PT3_,"axG",@progbits,_ZL23rocblas_dot_kernel_inc1ILb0ELi512ELi2ELb1E19rocblas_complex_numIdEPKS1_S1_EviT4_llS4_lliPT5_PT3_,comdat
.Lfunc_end67:
	.size	_ZL23rocblas_dot_kernel_inc1ILb0ELi512ELi2ELb1E19rocblas_complex_numIdEPKS1_S1_EviT4_llS4_lliPT5_PT3_, .Lfunc_end67-_ZL23rocblas_dot_kernel_inc1ILb0ELi512ELi2ELb1E19rocblas_complex_numIdEPKS1_S1_EviT4_llS4_lliPT5_PT3_
                                        ; -- End function
	.set _ZL23rocblas_dot_kernel_inc1ILb0ELi512ELi2ELb1E19rocblas_complex_numIdEPKS1_S1_EviT4_llS4_lliPT5_PT3_.num_vgpr, 15
	.set _ZL23rocblas_dot_kernel_inc1ILb0ELi512ELi2ELb1E19rocblas_complex_numIdEPKS1_S1_EviT4_llS4_lliPT5_PT3_.num_agpr, 0
	.set _ZL23rocblas_dot_kernel_inc1ILb0ELi512ELi2ELb1E19rocblas_complex_numIdEPKS1_S1_EviT4_llS4_lliPT5_PT3_.numbered_sgpr, 22
	.set _ZL23rocblas_dot_kernel_inc1ILb0ELi512ELi2ELb1E19rocblas_complex_numIdEPKS1_S1_EviT4_llS4_lliPT5_PT3_.num_named_barrier, 0
	.set _ZL23rocblas_dot_kernel_inc1ILb0ELi512ELi2ELb1E19rocblas_complex_numIdEPKS1_S1_EviT4_llS4_lliPT5_PT3_.private_seg_size, 0
	.set _ZL23rocblas_dot_kernel_inc1ILb0ELi512ELi2ELb1E19rocblas_complex_numIdEPKS1_S1_EviT4_llS4_lliPT5_PT3_.uses_vcc, 1
	.set _ZL23rocblas_dot_kernel_inc1ILb0ELi512ELi2ELb1E19rocblas_complex_numIdEPKS1_S1_EviT4_llS4_lliPT5_PT3_.uses_flat_scratch, 0
	.set _ZL23rocblas_dot_kernel_inc1ILb0ELi512ELi2ELb1E19rocblas_complex_numIdEPKS1_S1_EviT4_llS4_lliPT5_PT3_.has_dyn_sized_stack, 0
	.set _ZL23rocblas_dot_kernel_inc1ILb0ELi512ELi2ELb1E19rocblas_complex_numIdEPKS1_S1_EviT4_llS4_lliPT5_PT3_.has_recursion, 0
	.set _ZL23rocblas_dot_kernel_inc1ILb0ELi512ELi2ELb1E19rocblas_complex_numIdEPKS1_S1_EviT4_llS4_lliPT5_PT3_.has_indirect_call, 0
	.section	.AMDGPU.csdata,"",@progbits
; Kernel info:
; codeLenInByte = 1408
; TotalNumSgprs: 26
; NumVgprs: 15
; ScratchSize: 0
; MemoryBound: 0
; FloatMode: 240
; IeeeMode: 1
; LDSByteSize: 1024 bytes/workgroup (compile time only)
; SGPRBlocks: 3
; VGPRBlocks: 3
; NumSGPRsForWavesPerEU: 26
; NumVGPRsForWavesPerEU: 15
; Occupancy: 10
; WaveLimiterHint : 0
; COMPUTE_PGM_RSRC2:SCRATCH_EN: 0
; COMPUTE_PGM_RSRC2:USER_SGPR: 6
; COMPUTE_PGM_RSRC2:TRAP_HANDLER: 0
; COMPUTE_PGM_RSRC2:TGID_X_EN: 1
; COMPUTE_PGM_RSRC2:TGID_Y_EN: 0
; COMPUTE_PGM_RSRC2:TGID_Z_EN: 1
; COMPUTE_PGM_RSRC2:TIDIG_COMP_CNT: 0
	.section	.text._ZL18rocblas_dot_kernelIiLb0ELi512ELi2ELb1E19rocblas_complex_numIdEPKS1_S1_EviT5_lT_lS4_lS5_liPT6_PT4_,"axG",@progbits,_ZL18rocblas_dot_kernelIiLb0ELi512ELi2ELb1E19rocblas_complex_numIdEPKS1_S1_EviT5_lT_lS4_lS5_liPT6_PT4_,comdat
	.globl	_ZL18rocblas_dot_kernelIiLb0ELi512ELi2ELb1E19rocblas_complex_numIdEPKS1_S1_EviT5_lT_lS4_lS5_liPT6_PT4_ ; -- Begin function _ZL18rocblas_dot_kernelIiLb0ELi512ELi2ELb1E19rocblas_complex_numIdEPKS1_S1_EviT5_lT_lS4_lS5_liPT6_PT4_
	.p2align	8
	.type	_ZL18rocblas_dot_kernelIiLb0ELi512ELi2ELb1E19rocblas_complex_numIdEPKS1_S1_EviT5_lT_lS4_lS5_liPT6_PT4_,@function
_ZL18rocblas_dot_kernelIiLb0ELi512ELi2ELb1E19rocblas_complex_numIdEPKS1_S1_EviT5_lT_lS4_lS5_liPT6_PT4_: ; @_ZL18rocblas_dot_kernelIiLb0ELi512ELi2ELb1E19rocblas_complex_numIdEPKS1_S1_EviT5_lT_lS4_lS5_liPT6_PT4_
; %bb.0:
	s_load_dword s8, s[4:5], 0x0
	s_load_dword s10, s[4:5], 0x60
	v_lshl_or_b32 v5, s6, 9, v0
	v_mov_b32_e32 v1, 0
	v_mov_b32_e32 v3, 0
	s_mov_b32 s2, s7
	s_mov_b32 s3, 0
	v_mov_b32_e32 v2, 0
	v_mov_b32_e32 v4, 0
	s_waitcnt lgkmcnt(0)
	v_cmp_gt_i32_e32 vcc, s8, v5
	s_and_saveexec_b64 s[0:1], vcc
	s_cbranch_execz .LBB68_4
; %bb.1:
	s_load_dwordx4 s[16:19], s[4:5], 0x20
	s_load_dwordx4 s[20:23], s[4:5], 0x8
	s_load_dword s7, s[4:5], 0x18
	s_load_dwordx2 s[14:15], s[4:5], 0x30
	s_load_dword s13, s[4:5], 0x38
	s_load_dwordx2 s[24:25], s[4:5], 0x40
	s_waitcnt lgkmcnt(0)
	s_mul_i32 s9, s17, s2
	s_mul_hi_u32 s11, s16, s2
	s_add_i32 s17, s11, s9
	s_mul_i32 s16, s16, s2
	s_lshl_b64 s[16:17], s[16:17], 4
	s_add_u32 s9, s20, s16
	s_addc_u32 s12, s21, s17
	s_lshl_b64 s[16:17], s[22:23], 4
	s_add_u32 s11, s9, s16
	s_mul_i32 s9, s25, s2
	s_mul_hi_u32 s16, s24, s2
	s_addc_u32 s12, s12, s17
	s_add_i32 s17, s16, s9
	s_mul_i32 s16, s24, s2
	s_lshl_b64 s[16:17], s[16:17], 4
	s_add_u32 s9, s18, s16
	s_addc_u32 s18, s19, s17
	v_mad_i64_i32 v[1:2], s[16:17], v5, s13, 0
	s_lshl_b64 s[14:15], s[14:15], 4
	v_mad_i64_i32 v[3:4], s[16:17], v5, s7, 0
	s_add_u32 s14, s9, s14
	v_lshlrev_b64 v[1:2], 4, v[1:2]
	s_addc_u32 s15, s18, s15
	v_mov_b32_e32 v6, s15
	v_add_co_u32_e32 v9, vcc, s14, v1
	v_addc_co_u32_e32 v10, vcc, v6, v2, vcc
	v_lshlrev_b64 v[1:2], 4, v[3:4]
	v_mov_b32_e32 v3, s12
	v_add_co_u32_e32 v11, vcc, s11, v1
	v_addc_co_u32_e32 v12, vcc, v3, v2, vcc
	global_load_dwordx4 v[1:4], v[11:12], off
	global_load_dwordx4 v[5:8], v[9:10], off
	s_add_i32 s9, s6, s10
	s_waitcnt vmcnt(0)
	v_mul_f64 v[9:10], v[7:8], v[3:4]
	v_mul_f64 v[3:4], v[5:6], v[3:4]
	v_fma_f64 v[5:6], v[5:6], v[1:2], v[9:10]
	v_fma_f64 v[3:4], v[7:8], v[1:2], -v[3:4]
	v_add_f64 v[1:2], v[5:6], 0
	v_add_f64 v[3:4], v[3:4], 0
	v_lshl_or_b32 v5, s9, 9, v0
	v_cmp_gt_i32_e32 vcc, s8, v5
	s_and_saveexec_b64 s[8:9], vcc
	s_cbranch_execz .LBB68_3
; %bb.2:
	v_mad_i64_i32 v[6:7], s[16:17], v5, s13, 0
	v_mad_i64_i32 v[9:10], s[16:17], v5, s7, 0
	v_lshlrev_b64 v[6:7], 4, v[6:7]
	v_mov_b32_e32 v8, s15
	v_add_co_u32_e32 v5, vcc, s14, v6
	v_lshlrev_b64 v[9:10], 4, v[9:10]
	v_addc_co_u32_e32 v6, vcc, v8, v7, vcc
	v_mov_b32_e32 v11, s12
	v_add_co_u32_e32 v9, vcc, s11, v9
	v_addc_co_u32_e32 v10, vcc, v11, v10, vcc
	global_load_dwordx4 v[5:8], v[5:6], off
	s_nop 0
	global_load_dwordx4 v[9:12], v[9:10], off
	s_waitcnt vmcnt(0)
	v_mul_f64 v[13:14], v[5:6], v[11:12]
	v_mul_f64 v[11:12], v[7:8], v[11:12]
	v_fma_f64 v[7:8], v[7:8], v[9:10], -v[13:14]
	v_fma_f64 v[5:6], v[5:6], v[9:10], v[11:12]
	v_add_f64 v[3:4], v[3:4], v[7:8]
	v_add_f64 v[1:2], v[1:2], v[5:6]
.LBB68_3:
	s_or_b64 exec, exec, s[8:9]
.LBB68_4:
	s_or_b64 exec, exec, s[0:1]
	v_and_b32_e32 v10, 63, v0
	v_cmp_gt_u32_e32 vcc, 64, v0
	v_lshlrev_b32_e32 v9, 4, v10
	s_and_saveexec_b64 s[0:1], vcc
; %bb.5:
	v_mov_b32_e32 v5, 0
	v_mov_b32_e32 v6, v5
	;; [unrolled: 1-line block ×4, first 2 shown]
	ds_write_b128 v9, v[5:8]
; %bb.6:
	s_or_b64 exec, exec, s[0:1]
	v_mbcnt_lo_u32_b32 v5, -1, 0
	v_mbcnt_hi_u32_b32 v13, -1, v5
	v_mov_b32_e32 v5, 0x80
	v_lshl_or_b32 v8, v13, 2, v5
	ds_bpermute_b32 v5, v8, v1
	ds_bpermute_b32 v6, v8, v2
	;; [unrolled: 1-line block ×4, first 2 shown]
	v_and_b32_e32 v14, 63, v13
	v_cmp_gt_u32_e64 s[0:1], 48, v14
	s_waitcnt lgkmcnt(2)
	v_add_f64 v[1:2], v[1:2], v[5:6]
	v_cndmask_b32_e64 v5, 0, 16, s[0:1]
	s_waitcnt lgkmcnt(0)
	v_add_f64 v[3:4], v[3:4], v[7:8]
	v_add_lshl_u32 v8, v5, v13, 2
	v_cmp_gt_u32_e64 s[0:1], 56, v14
	s_barrier
	ds_bpermute_b32 v5, v8, v1
	ds_bpermute_b32 v6, v8, v2
	;; [unrolled: 1-line block ×4, first 2 shown]
	s_waitcnt lgkmcnt(2)
	v_add_f64 v[1:2], v[1:2], v[5:6]
	v_cndmask_b32_e64 v5, 0, 8, s[0:1]
	s_waitcnt lgkmcnt(0)
	v_add_f64 v[3:4], v[3:4], v[7:8]
	v_add_lshl_u32 v8, v5, v13, 2
	v_cmp_gt_u32_e64 s[0:1], 60, v14
	ds_bpermute_b32 v5, v8, v1
	ds_bpermute_b32 v6, v8, v2
	;; [unrolled: 1-line block ×4, first 2 shown]
	s_waitcnt lgkmcnt(2)
	v_add_f64 v[1:2], v[1:2], v[5:6]
	v_cndmask_b32_e64 v5, 0, 4, s[0:1]
	s_waitcnt lgkmcnt(0)
	v_add_f64 v[3:4], v[3:4], v[7:8]
	v_add_lshl_u32 v11, v5, v13, 2
	v_cmp_gt_u32_e64 s[0:1], 62, v14
	ds_bpermute_b32 v5, v11, v1
	ds_bpermute_b32 v6, v11, v2
	ds_bpermute_b32 v7, v11, v3
	ds_bpermute_b32 v8, v11, v4
	s_waitcnt lgkmcnt(2)
	v_add_f64 v[1:2], v[1:2], v[5:6]
	v_cndmask_b32_e64 v5, 0, 2, s[0:1]
	s_waitcnt lgkmcnt(0)
	v_add_f64 v[3:4], v[3:4], v[7:8]
	v_add_lshl_u32 v12, v5, v13, 2
	v_cmp_ne_u32_e64 s[0:1], 63, v14
	ds_bpermute_b32 v5, v12, v1
	ds_bpermute_b32 v6, v12, v2
	;; [unrolled: 1-line block ×4, first 2 shown]
	s_waitcnt lgkmcnt(2)
	v_add_f64 v[1:2], v[1:2], v[5:6]
	v_addc_co_u32_e64 v5, s[0:1], 0, v13, s[0:1]
	s_waitcnt lgkmcnt(0)
	v_add_f64 v[3:4], v[3:4], v[7:8]
	v_lshlrev_b32_e32 v13, 2, v5
	v_cmp_eq_u32_e64 s[0:1], 0, v10
	ds_bpermute_b32 v5, v13, v1
	ds_bpermute_b32 v6, v13, v2
	;; [unrolled: 1-line block ×4, first 2 shown]
	s_and_saveexec_b64 s[8:9], s[0:1]
	s_cbranch_execz .LBB68_8
; %bb.7:
	s_waitcnt lgkmcnt(0)
	v_add_f64 v[3:4], v[3:4], v[7:8]
	v_add_f64 v[1:2], v[1:2], v[5:6]
	v_lshrrev_b32_e32 v5, 2, v0
	v_and_b32_e32 v5, 0x70, v5
	ds_write_b128 v5, v[1:4]
.LBB68_8:
	s_or_b64 exec, exec, s[8:9]
	v_mov_b32_e32 v3, 0
	v_mov_b32_e32 v1, 0
	v_mov_b32_e32 v4, 0
	v_mov_b32_e32 v2, 0
	v_cmp_gt_u32_e64 s[0:1], 8, v0
	s_waitcnt lgkmcnt(0)
	s_barrier
	s_and_saveexec_b64 s[8:9], s[0:1]
	s_cbranch_execnz .LBB68_12
; %bb.9:
	s_or_b64 exec, exec, s[8:9]
	s_and_saveexec_b64 s[0:1], vcc
	s_cbranch_execnz .LBB68_13
.LBB68_10:
	s_or_b64 exec, exec, s[0:1]
	v_cmp_eq_u32_e32 vcc, 0, v0
	s_and_saveexec_b64 s[0:1], vcc
	s_cbranch_execnz .LBB68_14
.LBB68_11:
	s_endpgm
.LBB68_12:
	ds_read_b128 v[1:4], v9
	s_or_b64 exec, exec, s[8:9]
	s_and_saveexec_b64 s[0:1], vcc
	s_cbranch_execz .LBB68_10
.LBB68_13:
	s_waitcnt lgkmcnt(0)
	ds_bpermute_b32 v5, v11, v1
	ds_bpermute_b32 v6, v11, v2
	ds_bpermute_b32 v7, v11, v3
	ds_bpermute_b32 v8, v11, v4
	s_waitcnt lgkmcnt(2)
	v_add_f64 v[1:2], v[1:2], v[5:6]
	s_waitcnt lgkmcnt(0)
	v_add_f64 v[3:4], v[3:4], v[7:8]
	ds_bpermute_b32 v5, v12, v1
	ds_bpermute_b32 v6, v12, v2
	ds_bpermute_b32 v7, v12, v3
	ds_bpermute_b32 v8, v12, v4
	s_waitcnt lgkmcnt(2)
	v_add_f64 v[1:2], v[1:2], v[5:6]
	s_waitcnt lgkmcnt(0)
	v_add_f64 v[3:4], v[3:4], v[7:8]
	;; [unrolled: 8-line block ×3, first 2 shown]
	s_or_b64 exec, exec, s[0:1]
	v_cmp_eq_u32_e32 vcc, 0, v0
	s_and_saveexec_b64 s[0:1], vcc
	s_cbranch_execz .LBB68_11
.LBB68_14:
	s_cmp_lg_u32 s10, 1
	s_cbranch_scc0 .LBB68_16
; %bb.15:
	s_load_dwordx2 s[0:1], s[4:5], 0x50
	s_mul_hi_u32 s9, s10, s2
	s_mul_i32 s8, s10, s2
	s_lshl_b64 s[8:9], s[8:9], 4
	s_mov_b32 s7, 0
	s_waitcnt lgkmcnt(0)
	s_add_u32 s8, s0, s8
	s_addc_u32 s9, s1, s9
	s_lshl_b64 s[0:1], s[6:7], 4
	s_add_u32 s0, s8, s0
	s_addc_u32 s1, s9, s1
	v_mov_b32_e32 v0, 0
	global_store_dwordx2 v0, v[1:2], s[0:1]
	s_cbranch_execz .LBB68_17
	s_branch .LBB68_18
.LBB68_16:
                                        ; implicit-def: $sgpr0_sgpr1
.LBB68_17:
	s_load_dwordx2 s[0:1], s[4:5], 0x58
	s_lshl_b64 s[2:3], s[2:3], 4
	v_mov_b32_e32 v0, 0
	s_waitcnt lgkmcnt(0)
	s_add_u32 s0, s0, s2
	s_addc_u32 s1, s1, s3
	global_store_dwordx2 v0, v[1:2], s[0:1]
.LBB68_18:
	v_mov_b32_e32 v0, 0
	s_waitcnt lgkmcnt(0)
	global_store_dwordx2 v0, v[3:4], s[0:1] offset:8
	s_endpgm
	.section	.rodata,"a",@progbits
	.p2align	6, 0x0
	.amdhsa_kernel _ZL18rocblas_dot_kernelIiLb0ELi512ELi2ELb1E19rocblas_complex_numIdEPKS1_S1_EviT5_lT_lS4_lS5_liPT6_PT4_
		.amdhsa_group_segment_fixed_size 1024
		.amdhsa_private_segment_fixed_size 0
		.amdhsa_kernarg_size 352
		.amdhsa_user_sgpr_count 6
		.amdhsa_user_sgpr_private_segment_buffer 1
		.amdhsa_user_sgpr_dispatch_ptr 0
		.amdhsa_user_sgpr_queue_ptr 0
		.amdhsa_user_sgpr_kernarg_segment_ptr 1
		.amdhsa_user_sgpr_dispatch_id 0
		.amdhsa_user_sgpr_flat_scratch_init 0
		.amdhsa_user_sgpr_private_segment_size 0
		.amdhsa_uses_dynamic_stack 0
		.amdhsa_system_sgpr_private_segment_wavefront_offset 0
		.amdhsa_system_sgpr_workgroup_id_x 1
		.amdhsa_system_sgpr_workgroup_id_y 0
		.amdhsa_system_sgpr_workgroup_id_z 1
		.amdhsa_system_sgpr_workgroup_info 0
		.amdhsa_system_vgpr_workitem_id 0
		.amdhsa_next_free_vgpr 15
		.amdhsa_next_free_sgpr 26
		.amdhsa_reserve_vcc 1
		.amdhsa_reserve_flat_scratch 0
		.amdhsa_float_round_mode_32 0
		.amdhsa_float_round_mode_16_64 0
		.amdhsa_float_denorm_mode_32 3
		.amdhsa_float_denorm_mode_16_64 3
		.amdhsa_dx10_clamp 1
		.amdhsa_ieee_mode 1
		.amdhsa_fp16_overflow 0
		.amdhsa_exception_fp_ieee_invalid_op 0
		.amdhsa_exception_fp_denorm_src 0
		.amdhsa_exception_fp_ieee_div_zero 0
		.amdhsa_exception_fp_ieee_overflow 0
		.amdhsa_exception_fp_ieee_underflow 0
		.amdhsa_exception_fp_ieee_inexact 0
		.amdhsa_exception_int_div_zero 0
	.end_amdhsa_kernel
	.section	.text._ZL18rocblas_dot_kernelIiLb0ELi512ELi2ELb1E19rocblas_complex_numIdEPKS1_S1_EviT5_lT_lS4_lS5_liPT6_PT4_,"axG",@progbits,_ZL18rocblas_dot_kernelIiLb0ELi512ELi2ELb1E19rocblas_complex_numIdEPKS1_S1_EviT5_lT_lS4_lS5_liPT6_PT4_,comdat
.Lfunc_end68:
	.size	_ZL18rocblas_dot_kernelIiLb0ELi512ELi2ELb1E19rocblas_complex_numIdEPKS1_S1_EviT5_lT_lS4_lS5_liPT6_PT4_, .Lfunc_end68-_ZL18rocblas_dot_kernelIiLb0ELi512ELi2ELb1E19rocblas_complex_numIdEPKS1_S1_EviT5_lT_lS4_lS5_liPT6_PT4_
                                        ; -- End function
	.set _ZL18rocblas_dot_kernelIiLb0ELi512ELi2ELb1E19rocblas_complex_numIdEPKS1_S1_EviT5_lT_lS4_lS5_liPT6_PT4_.num_vgpr, 15
	.set _ZL18rocblas_dot_kernelIiLb0ELi512ELi2ELb1E19rocblas_complex_numIdEPKS1_S1_EviT5_lT_lS4_lS5_liPT6_PT4_.num_agpr, 0
	.set _ZL18rocblas_dot_kernelIiLb0ELi512ELi2ELb1E19rocblas_complex_numIdEPKS1_S1_EviT5_lT_lS4_lS5_liPT6_PT4_.numbered_sgpr, 26
	.set _ZL18rocblas_dot_kernelIiLb0ELi512ELi2ELb1E19rocblas_complex_numIdEPKS1_S1_EviT5_lT_lS4_lS5_liPT6_PT4_.num_named_barrier, 0
	.set _ZL18rocblas_dot_kernelIiLb0ELi512ELi2ELb1E19rocblas_complex_numIdEPKS1_S1_EviT5_lT_lS4_lS5_liPT6_PT4_.private_seg_size, 0
	.set _ZL18rocblas_dot_kernelIiLb0ELi512ELi2ELb1E19rocblas_complex_numIdEPKS1_S1_EviT5_lT_lS4_lS5_liPT6_PT4_.uses_vcc, 1
	.set _ZL18rocblas_dot_kernelIiLb0ELi512ELi2ELb1E19rocblas_complex_numIdEPKS1_S1_EviT5_lT_lS4_lS5_liPT6_PT4_.uses_flat_scratch, 0
	.set _ZL18rocblas_dot_kernelIiLb0ELi512ELi2ELb1E19rocblas_complex_numIdEPKS1_S1_EviT5_lT_lS4_lS5_liPT6_PT4_.has_dyn_sized_stack, 0
	.set _ZL18rocblas_dot_kernelIiLb0ELi512ELi2ELb1E19rocblas_complex_numIdEPKS1_S1_EviT5_lT_lS4_lS5_liPT6_PT4_.has_recursion, 0
	.set _ZL18rocblas_dot_kernelIiLb0ELi512ELi2ELb1E19rocblas_complex_numIdEPKS1_S1_EviT5_lT_lS4_lS5_liPT6_PT4_.has_indirect_call, 0
	.section	.AMDGPU.csdata,"",@progbits
; Kernel info:
; codeLenInByte = 1464
; TotalNumSgprs: 30
; NumVgprs: 15
; ScratchSize: 0
; MemoryBound: 0
; FloatMode: 240
; IeeeMode: 1
; LDSByteSize: 1024 bytes/workgroup (compile time only)
; SGPRBlocks: 3
; VGPRBlocks: 3
; NumSGPRsForWavesPerEU: 30
; NumVGPRsForWavesPerEU: 15
; Occupancy: 10
; WaveLimiterHint : 0
; COMPUTE_PGM_RSRC2:SCRATCH_EN: 0
; COMPUTE_PGM_RSRC2:USER_SGPR: 6
; COMPUTE_PGM_RSRC2:TRAP_HANDLER: 0
; COMPUTE_PGM_RSRC2:TGID_X_EN: 1
; COMPUTE_PGM_RSRC2:TGID_Y_EN: 0
; COMPUTE_PGM_RSRC2:TGID_Z_EN: 1
; COMPUTE_PGM_RSRC2:TIDIG_COMP_CNT: 0
	.section	.text._ZL24rocblas_dot_kernel_magsqIiLb0ELi512ELi2ELb1E19rocblas_complex_numIdEPKS1_S1_EviT5_lT_liPT6_PT4_,"axG",@progbits,_ZL24rocblas_dot_kernel_magsqIiLb0ELi512ELi2ELb1E19rocblas_complex_numIdEPKS1_S1_EviT5_lT_liPT6_PT4_,comdat
	.globl	_ZL24rocblas_dot_kernel_magsqIiLb0ELi512ELi2ELb1E19rocblas_complex_numIdEPKS1_S1_EviT5_lT_liPT6_PT4_ ; -- Begin function _ZL24rocblas_dot_kernel_magsqIiLb0ELi512ELi2ELb1E19rocblas_complex_numIdEPKS1_S1_EviT5_lT_liPT6_PT4_
	.p2align	8
	.type	_ZL24rocblas_dot_kernel_magsqIiLb0ELi512ELi2ELb1E19rocblas_complex_numIdEPKS1_S1_EviT5_lT_liPT6_PT4_,@function
_ZL24rocblas_dot_kernel_magsqIiLb0ELi512ELi2ELb1E19rocblas_complex_numIdEPKS1_S1_EviT5_lT_liPT6_PT4_: ; @_ZL24rocblas_dot_kernel_magsqIiLb0ELi512ELi2ELb1E19rocblas_complex_numIdEPKS1_S1_EviT5_lT_liPT6_PT4_
; %bb.0:
	s_mov_b32 s2, s7
	s_load_dword s7, s[4:5], 0x0
	s_load_dword s10, s[4:5], 0x40
	v_lshl_or_b32 v5, s6, 9, v0
	v_mov_b32_e32 v1, 0
	v_mov_b32_e32 v3, 0
	s_mov_b32 s3, 0
	v_mov_b32_e32 v2, 0
	v_mov_b32_e32 v4, 0
	s_waitcnt lgkmcnt(0)
	v_cmp_gt_i32_e32 vcc, s7, v5
	s_and_saveexec_b64 s[0:1], vcc
	s_cbranch_execz .LBB69_4
; %bb.1:
	s_load_dwordx2 s[8:9], s[4:5], 0x20
	s_load_dwordx4 s[12:15], s[4:5], 0x8
	s_load_dword s11, s[4:5], 0x18
	s_waitcnt lgkmcnt(0)
	s_mul_i32 s9, s9, s2
	s_mul_hi_u32 s16, s8, s2
	s_mul_i32 s8, s8, s2
	s_add_i32 s9, s16, s9
	s_lshl_b64 s[8:9], s[8:9], 4
	s_add_u32 s12, s12, s8
	s_addc_u32 s13, s13, s9
	v_mad_i64_i32 v[1:2], s[8:9], v5, s11, 0
	s_lshl_b64 s[8:9], s[14:15], 4
	s_add_u32 s12, s12, s8
	v_lshlrev_b64 v[1:2], 4, v[1:2]
	s_addc_u32 s13, s13, s9
	v_mov_b32_e32 v3, s13
	v_add_co_u32_e32 v1, vcc, s12, v1
	v_addc_co_u32_e32 v2, vcc, v3, v2, vcc
	global_load_dwordx4 v[1:4], v[1:2], off
	s_add_i32 s8, s6, s10
	s_waitcnt vmcnt(0)
	v_mul_f64 v[5:6], v[1:2], v[3:4]
	v_mul_f64 v[7:8], v[3:4], v[3:4]
	v_fma_f64 v[3:4], v[1:2], v[3:4], -v[5:6]
	v_fma_f64 v[1:2], v[1:2], v[1:2], v[7:8]
	v_lshl_or_b32 v5, s8, 9, v0
	v_cmp_gt_i32_e32 vcc, s7, v5
	v_add_f64 v[3:4], v[3:4], 0
	s_and_saveexec_b64 s[8:9], vcc
	s_cbranch_execz .LBB69_3
; %bb.2:
	v_mad_i64_i32 v[5:6], s[14:15], v5, s11, 0
	v_mov_b32_e32 v7, s13
	v_lshlrev_b64 v[5:6], 4, v[5:6]
	v_add_co_u32_e32 v5, vcc, s12, v5
	v_addc_co_u32_e32 v6, vcc, v7, v6, vcc
	global_load_dwordx4 v[5:8], v[5:6], off
	s_waitcnt vmcnt(0)
	v_mul_f64 v[9:10], v[5:6], v[7:8]
	v_mul_f64 v[11:12], v[7:8], v[7:8]
	v_fma_f64 v[7:8], v[5:6], v[7:8], -v[9:10]
	v_fma_f64 v[5:6], v[5:6], v[5:6], v[11:12]
	v_add_f64 v[3:4], v[3:4], v[7:8]
	v_add_f64 v[1:2], v[1:2], v[5:6]
.LBB69_3:
	s_or_b64 exec, exec, s[8:9]
.LBB69_4:
	s_or_b64 exec, exec, s[0:1]
	v_and_b32_e32 v10, 63, v0
	v_cmp_gt_u32_e32 vcc, 64, v0
	v_lshlrev_b32_e32 v9, 4, v10
	s_and_saveexec_b64 s[0:1], vcc
; %bb.5:
	v_mov_b32_e32 v5, 0
	v_mov_b32_e32 v6, v5
	;; [unrolled: 1-line block ×4, first 2 shown]
	ds_write_b128 v9, v[5:8]
; %bb.6:
	s_or_b64 exec, exec, s[0:1]
	v_mbcnt_lo_u32_b32 v5, -1, 0
	v_mbcnt_hi_u32_b32 v13, -1, v5
	v_mov_b32_e32 v5, 0x80
	v_lshl_or_b32 v8, v13, 2, v5
	ds_bpermute_b32 v5, v8, v1
	ds_bpermute_b32 v6, v8, v2
	;; [unrolled: 1-line block ×4, first 2 shown]
	v_and_b32_e32 v14, 63, v13
	v_cmp_gt_u32_e64 s[0:1], 48, v14
	s_waitcnt lgkmcnt(2)
	v_add_f64 v[1:2], v[1:2], v[5:6]
	v_cndmask_b32_e64 v5, 0, 16, s[0:1]
	s_waitcnt lgkmcnt(0)
	v_add_f64 v[3:4], v[3:4], v[7:8]
	v_add_lshl_u32 v8, v5, v13, 2
	v_cmp_gt_u32_e64 s[0:1], 56, v14
	s_barrier
	ds_bpermute_b32 v5, v8, v1
	ds_bpermute_b32 v6, v8, v2
	;; [unrolled: 1-line block ×4, first 2 shown]
	s_waitcnt lgkmcnt(2)
	v_add_f64 v[1:2], v[1:2], v[5:6]
	v_cndmask_b32_e64 v5, 0, 8, s[0:1]
	s_waitcnt lgkmcnt(0)
	v_add_f64 v[3:4], v[3:4], v[7:8]
	v_add_lshl_u32 v8, v5, v13, 2
	v_cmp_gt_u32_e64 s[0:1], 60, v14
	ds_bpermute_b32 v5, v8, v1
	ds_bpermute_b32 v6, v8, v2
	;; [unrolled: 1-line block ×4, first 2 shown]
	s_waitcnt lgkmcnt(2)
	v_add_f64 v[1:2], v[1:2], v[5:6]
	v_cndmask_b32_e64 v5, 0, 4, s[0:1]
	s_waitcnt lgkmcnt(0)
	v_add_f64 v[3:4], v[3:4], v[7:8]
	v_add_lshl_u32 v11, v5, v13, 2
	v_cmp_gt_u32_e64 s[0:1], 62, v14
	ds_bpermute_b32 v5, v11, v1
	ds_bpermute_b32 v6, v11, v2
	;; [unrolled: 1-line block ×4, first 2 shown]
	s_waitcnt lgkmcnt(2)
	v_add_f64 v[1:2], v[1:2], v[5:6]
	v_cndmask_b32_e64 v5, 0, 2, s[0:1]
	s_waitcnt lgkmcnt(0)
	v_add_f64 v[3:4], v[3:4], v[7:8]
	v_add_lshl_u32 v12, v5, v13, 2
	v_cmp_ne_u32_e64 s[0:1], 63, v14
	ds_bpermute_b32 v5, v12, v1
	ds_bpermute_b32 v6, v12, v2
	;; [unrolled: 1-line block ×4, first 2 shown]
	s_waitcnt lgkmcnt(2)
	v_add_f64 v[1:2], v[1:2], v[5:6]
	v_addc_co_u32_e64 v5, s[0:1], 0, v13, s[0:1]
	s_waitcnt lgkmcnt(0)
	v_add_f64 v[3:4], v[3:4], v[7:8]
	v_lshlrev_b32_e32 v13, 2, v5
	v_cmp_eq_u32_e64 s[0:1], 0, v10
	ds_bpermute_b32 v5, v13, v1
	ds_bpermute_b32 v6, v13, v2
	ds_bpermute_b32 v7, v13, v3
	ds_bpermute_b32 v8, v13, v4
	s_and_saveexec_b64 s[8:9], s[0:1]
	s_cbranch_execz .LBB69_8
; %bb.7:
	s_waitcnt lgkmcnt(0)
	v_add_f64 v[3:4], v[3:4], v[7:8]
	v_add_f64 v[1:2], v[1:2], v[5:6]
	v_lshrrev_b32_e32 v5, 2, v0
	v_and_b32_e32 v5, 0x70, v5
	ds_write_b128 v5, v[1:4]
.LBB69_8:
	s_or_b64 exec, exec, s[8:9]
	v_mov_b32_e32 v3, 0
	v_mov_b32_e32 v1, 0
	;; [unrolled: 1-line block ×4, first 2 shown]
	v_cmp_gt_u32_e64 s[0:1], 8, v0
	s_waitcnt lgkmcnt(0)
	s_barrier
	s_and_saveexec_b64 s[8:9], s[0:1]
	s_cbranch_execnz .LBB69_12
; %bb.9:
	s_or_b64 exec, exec, s[8:9]
	s_and_saveexec_b64 s[0:1], vcc
	s_cbranch_execnz .LBB69_13
.LBB69_10:
	s_or_b64 exec, exec, s[0:1]
	v_cmp_eq_u32_e32 vcc, 0, v0
	s_and_saveexec_b64 s[0:1], vcc
	s_cbranch_execnz .LBB69_14
.LBB69_11:
	s_endpgm
.LBB69_12:
	ds_read_b128 v[1:4], v9
	s_or_b64 exec, exec, s[8:9]
	s_and_saveexec_b64 s[0:1], vcc
	s_cbranch_execz .LBB69_10
.LBB69_13:
	s_waitcnt lgkmcnt(0)
	ds_bpermute_b32 v5, v11, v1
	ds_bpermute_b32 v6, v11, v2
	ds_bpermute_b32 v7, v11, v3
	ds_bpermute_b32 v8, v11, v4
	s_waitcnt lgkmcnt(2)
	v_add_f64 v[1:2], v[1:2], v[5:6]
	s_waitcnt lgkmcnt(0)
	v_add_f64 v[3:4], v[3:4], v[7:8]
	ds_bpermute_b32 v5, v12, v1
	ds_bpermute_b32 v6, v12, v2
	ds_bpermute_b32 v7, v12, v3
	ds_bpermute_b32 v8, v12, v4
	s_waitcnt lgkmcnt(2)
	v_add_f64 v[1:2], v[1:2], v[5:6]
	s_waitcnt lgkmcnt(0)
	v_add_f64 v[3:4], v[3:4], v[7:8]
	;; [unrolled: 8-line block ×3, first 2 shown]
	s_or_b64 exec, exec, s[0:1]
	v_cmp_eq_u32_e32 vcc, 0, v0
	s_and_saveexec_b64 s[0:1], vcc
	s_cbranch_execz .LBB69_11
.LBB69_14:
	s_cmp_lg_u32 s10, 1
	s_cbranch_scc0 .LBB69_16
; %bb.15:
	s_load_dwordx2 s[0:1], s[4:5], 0x30
	s_mul_hi_u32 s9, s10, s2
	s_mul_i32 s8, s10, s2
	s_lshl_b64 s[8:9], s[8:9], 4
	s_mov_b32 s7, 0
	s_waitcnt lgkmcnt(0)
	s_add_u32 s8, s0, s8
	s_addc_u32 s9, s1, s9
	s_lshl_b64 s[0:1], s[6:7], 4
	s_add_u32 s0, s8, s0
	s_addc_u32 s1, s9, s1
	v_mov_b32_e32 v0, 0
	global_store_dwordx2 v0, v[1:2], s[0:1]
	s_cbranch_execz .LBB69_17
	s_branch .LBB69_18
.LBB69_16:
                                        ; implicit-def: $sgpr0_sgpr1
.LBB69_17:
	s_load_dwordx2 s[0:1], s[4:5], 0x38
	s_lshl_b64 s[2:3], s[2:3], 4
	v_mov_b32_e32 v0, 0
	s_waitcnt lgkmcnt(0)
	s_add_u32 s0, s0, s2
	s_addc_u32 s1, s1, s3
	global_store_dwordx2 v0, v[1:2], s[0:1]
.LBB69_18:
	v_mov_b32_e32 v0, 0
	s_waitcnt lgkmcnt(0)
	global_store_dwordx2 v0, v[3:4], s[0:1] offset:8
	s_endpgm
	.section	.rodata,"a",@progbits
	.p2align	6, 0x0
	.amdhsa_kernel _ZL24rocblas_dot_kernel_magsqIiLb0ELi512ELi2ELb1E19rocblas_complex_numIdEPKS1_S1_EviT5_lT_liPT6_PT4_
		.amdhsa_group_segment_fixed_size 1024
		.amdhsa_private_segment_fixed_size 0
		.amdhsa_kernarg_size 320
		.amdhsa_user_sgpr_count 6
		.amdhsa_user_sgpr_private_segment_buffer 1
		.amdhsa_user_sgpr_dispatch_ptr 0
		.amdhsa_user_sgpr_queue_ptr 0
		.amdhsa_user_sgpr_kernarg_segment_ptr 1
		.amdhsa_user_sgpr_dispatch_id 0
		.amdhsa_user_sgpr_flat_scratch_init 0
		.amdhsa_user_sgpr_private_segment_size 0
		.amdhsa_uses_dynamic_stack 0
		.amdhsa_system_sgpr_private_segment_wavefront_offset 0
		.amdhsa_system_sgpr_workgroup_id_x 1
		.amdhsa_system_sgpr_workgroup_id_y 0
		.amdhsa_system_sgpr_workgroup_id_z 1
		.amdhsa_system_sgpr_workgroup_info 0
		.amdhsa_system_vgpr_workitem_id 0
		.amdhsa_next_free_vgpr 15
		.amdhsa_next_free_sgpr 17
		.amdhsa_reserve_vcc 1
		.amdhsa_reserve_flat_scratch 0
		.amdhsa_float_round_mode_32 0
		.amdhsa_float_round_mode_16_64 0
		.amdhsa_float_denorm_mode_32 3
		.amdhsa_float_denorm_mode_16_64 3
		.amdhsa_dx10_clamp 1
		.amdhsa_ieee_mode 1
		.amdhsa_fp16_overflow 0
		.amdhsa_exception_fp_ieee_invalid_op 0
		.amdhsa_exception_fp_denorm_src 0
		.amdhsa_exception_fp_ieee_div_zero 0
		.amdhsa_exception_fp_ieee_overflow 0
		.amdhsa_exception_fp_ieee_underflow 0
		.amdhsa_exception_fp_ieee_inexact 0
		.amdhsa_exception_int_div_zero 0
	.end_amdhsa_kernel
	.section	.text._ZL24rocblas_dot_kernel_magsqIiLb0ELi512ELi2ELb1E19rocblas_complex_numIdEPKS1_S1_EviT5_lT_liPT6_PT4_,"axG",@progbits,_ZL24rocblas_dot_kernel_magsqIiLb0ELi512ELi2ELb1E19rocblas_complex_numIdEPKS1_S1_EviT5_lT_liPT6_PT4_,comdat
.Lfunc_end69:
	.size	_ZL24rocblas_dot_kernel_magsqIiLb0ELi512ELi2ELb1E19rocblas_complex_numIdEPKS1_S1_EviT5_lT_liPT6_PT4_, .Lfunc_end69-_ZL24rocblas_dot_kernel_magsqIiLb0ELi512ELi2ELb1E19rocblas_complex_numIdEPKS1_S1_EviT5_lT_liPT6_PT4_
                                        ; -- End function
	.set _ZL24rocblas_dot_kernel_magsqIiLb0ELi512ELi2ELb1E19rocblas_complex_numIdEPKS1_S1_EviT5_lT_liPT6_PT4_.num_vgpr, 15
	.set _ZL24rocblas_dot_kernel_magsqIiLb0ELi512ELi2ELb1E19rocblas_complex_numIdEPKS1_S1_EviT5_lT_liPT6_PT4_.num_agpr, 0
	.set _ZL24rocblas_dot_kernel_magsqIiLb0ELi512ELi2ELb1E19rocblas_complex_numIdEPKS1_S1_EviT5_lT_liPT6_PT4_.numbered_sgpr, 17
	.set _ZL24rocblas_dot_kernel_magsqIiLb0ELi512ELi2ELb1E19rocblas_complex_numIdEPKS1_S1_EviT5_lT_liPT6_PT4_.num_named_barrier, 0
	.set _ZL24rocblas_dot_kernel_magsqIiLb0ELi512ELi2ELb1E19rocblas_complex_numIdEPKS1_S1_EviT5_lT_liPT6_PT4_.private_seg_size, 0
	.set _ZL24rocblas_dot_kernel_magsqIiLb0ELi512ELi2ELb1E19rocblas_complex_numIdEPKS1_S1_EviT5_lT_liPT6_PT4_.uses_vcc, 1
	.set _ZL24rocblas_dot_kernel_magsqIiLb0ELi512ELi2ELb1E19rocblas_complex_numIdEPKS1_S1_EviT5_lT_liPT6_PT4_.uses_flat_scratch, 0
	.set _ZL24rocblas_dot_kernel_magsqIiLb0ELi512ELi2ELb1E19rocblas_complex_numIdEPKS1_S1_EviT5_lT_liPT6_PT4_.has_dyn_sized_stack, 0
	.set _ZL24rocblas_dot_kernel_magsqIiLb0ELi512ELi2ELb1E19rocblas_complex_numIdEPKS1_S1_EviT5_lT_liPT6_PT4_.has_recursion, 0
	.set _ZL24rocblas_dot_kernel_magsqIiLb0ELi512ELi2ELb1E19rocblas_complex_numIdEPKS1_S1_EviT5_lT_liPT6_PT4_.has_indirect_call, 0
	.section	.AMDGPU.csdata,"",@progbits
; Kernel info:
; codeLenInByte = 1316
; TotalNumSgprs: 21
; NumVgprs: 15
; ScratchSize: 0
; MemoryBound: 0
; FloatMode: 240
; IeeeMode: 1
; LDSByteSize: 1024 bytes/workgroup (compile time only)
; SGPRBlocks: 2
; VGPRBlocks: 3
; NumSGPRsForWavesPerEU: 21
; NumVGPRsForWavesPerEU: 15
; Occupancy: 10
; WaveLimiterHint : 0
; COMPUTE_PGM_RSRC2:SCRATCH_EN: 0
; COMPUTE_PGM_RSRC2:USER_SGPR: 6
; COMPUTE_PGM_RSRC2:TRAP_HANDLER: 0
; COMPUTE_PGM_RSRC2:TGID_X_EN: 1
; COMPUTE_PGM_RSRC2:TGID_Y_EN: 0
; COMPUTE_PGM_RSRC2:TGID_Z_EN: 1
; COMPUTE_PGM_RSRC2:TIDIG_COMP_CNT: 0
	.section	.text._ZL28rocblas_dot_batched_4_kernelIiLi32ELi4ELb0EDF16_DF16_PKPKDF16_EviT5_lT_lS4_lS5_liPT4_,"axG",@progbits,_ZL28rocblas_dot_batched_4_kernelIiLi32ELi4ELb0EDF16_DF16_PKPKDF16_EviT5_lT_lS4_lS5_liPT4_,comdat
	.globl	_ZL28rocblas_dot_batched_4_kernelIiLi32ELi4ELb0EDF16_DF16_PKPKDF16_EviT5_lT_lS4_lS5_liPT4_ ; -- Begin function _ZL28rocblas_dot_batched_4_kernelIiLi32ELi4ELb0EDF16_DF16_PKPKDF16_EviT5_lT_lS4_lS5_liPT4_
	.p2align	8
	.type	_ZL28rocblas_dot_batched_4_kernelIiLi32ELi4ELb0EDF16_DF16_PKPKDF16_EviT5_lT_lS4_lS5_liPT4_,@function
_ZL28rocblas_dot_batched_4_kernelIiLi32ELi4ELb0EDF16_DF16_PKPKDF16_EviT5_lT_lS4_lS5_liPT4_: ; @_ZL28rocblas_dot_batched_4_kernelIiLi32ELi4ELb0EDF16_DF16_PKPKDF16_EviT5_lT_lS4_lS5_liPT4_
; %bb.0:
	s_load_dword s0, s[4:5], 0x48
	v_lshl_add_u32 v1, s6, 2, v1
	s_waitcnt lgkmcnt(0)
	v_cmp_gt_u32_e32 vcc, s0, v1
	s_and_saveexec_b64 s[0:1], vcc
	s_cbranch_execz .LBB70_7
; %bb.1:
	s_load_dword s14, s[4:5], 0x0
	s_load_dwordx2 s[6:7], s[4:5], 0x50
	v_mov_b32_e32 v2, 0
	v_mov_b32_e32 v7, v2
	s_waitcnt lgkmcnt(0)
	v_cmp_gt_i32_e32 vcc, s14, v0
	s_and_saveexec_b64 s[12:13], vcc
	s_cbranch_execz .LBB70_5
; %bb.2:
	s_load_dwordx4 s[0:3], s[4:5], 0x8
	s_load_dwordx4 s[8:11], s[4:5], 0x28
	v_lshlrev_b64 v[3:4], 3, v[1:2]
	s_load_dword s16, s[4:5], 0x18
	s_waitcnt lgkmcnt(0)
	v_mov_b32_e32 v6, s1
	v_add_co_u32_e32 v5, vcc, s0, v3
	v_addc_co_u32_e32 v6, vcc, v6, v4, vcc
	global_load_dwordx2 v[5:6], v[5:6], off
	v_mov_b32_e32 v7, s9
	v_add_co_u32_e32 v3, vcc, s8, v3
	v_addc_co_u32_e32 v4, vcc, v7, v4, vcc
	global_load_dwordx2 v[10:11], v[3:4], off
	s_load_dword s4, s[4:5], 0x38
	v_mad_i64_i32 v[3:4], s[8:9], s16, v0, 0
	s_lshl_b64 s[8:9], s[2:3], 1
	v_mov_b32_e32 v14, s9
	s_waitcnt lgkmcnt(0)
	v_mad_i64_i32 v[12:13], s[2:3], s4, v0, 0
	v_lshlrev_b64 v[3:4], 1, v[3:4]
	s_lshl_b64 s[10:11], s[10:11], 1
	v_lshlrev_b64 v[12:13], 1, v[12:13]
	v_add_co_u32_e32 v3, vcc, s8, v3
	v_addc_co_u32_e32 v4, vcc, v4, v14, vcc
	v_mov_b32_e32 v15, s11
	v_add_co_u32_e32 v12, vcc, s10, v12
	v_addc_co_u32_e32 v13, vcc, v13, v15, vcc
	s_ashr_i32 s17, s16, 31
	s_ashr_i32 s5, s4, 31
	s_lshl_b64 s[2:3], s[16:17], 6
	s_lshl_b64 s[4:5], s[4:5], 6
	v_mov_b32_e32 v7, 0
	s_mov_b64 s[0:1], 0
	v_mov_b32_e32 v8, s3
	v_mov_b32_e32 v9, s5
	s_waitcnt vmcnt(1)
	v_add_co_u32_e32 v3, vcc, v5, v3
	v_addc_co_u32_e32 v4, vcc, v6, v4, vcc
	s_waitcnt vmcnt(0)
	v_add_co_u32_e32 v5, vcc, v10, v12
	v_addc_co_u32_e32 v6, vcc, v11, v13, vcc
	v_mov_b32_e32 v10, v0
.LBB70_3:                               ; =>This Inner Loop Header: Depth=1
	flat_load_ushort v11, v[3:4]
	flat_load_ushort v12, v[5:6]
	v_add_co_u32_e32 v3, vcc, s2, v3
	v_addc_co_u32_e32 v4, vcc, v4, v8, vcc
	v_add_co_u32_e32 v5, vcc, s4, v5
	v_add_u32_e32 v10, 32, v10
	v_addc_co_u32_e32 v6, vcc, v6, v9, vcc
	v_cmp_le_i32_e32 vcc, s14, v10
	s_or_b64 s[0:1], vcc, s[0:1]
	s_waitcnt vmcnt(0) lgkmcnt(0)
	v_fma_f16 v7, v11, v12, v7
	s_andn2_b64 exec, exec, s[0:1]
	s_cbranch_execnz .LBB70_3
; %bb.4:
	s_or_b64 exec, exec, s[0:1]
.LBB70_5:
	s_or_b64 exec, exec, s[12:13]
	v_mbcnt_lo_u32_b32 v3, -1, 0
	v_mbcnt_hi_u32_b32 v3, -1, v3
	v_and_b32_e32 v4, 63, v3
	v_cmp_gt_u32_e32 vcc, 48, v4
	v_cndmask_b32_e64 v6, 0, 16, vcc
	v_and_b32_e32 v5, 0xffff, v7
	v_add_lshl_u32 v6, v6, v3, 2
	ds_bpermute_b32 v5, v6, v5
	v_cmp_gt_u32_e32 vcc, 56, v4
	s_mov_b32 s0, 0xffff0000
	s_waitcnt lgkmcnt(0)
	s_barrier
	v_add_f16_e32 v6, v7, v5
	v_cndmask_b32_e64 v7, 0, 8, vcc
	v_and_or_b32 v5, v5, s0, v6
	v_add_lshl_u32 v7, v7, v3, 2
	ds_bpermute_b32 v5, v7, v5
	v_cmp_gt_u32_e32 vcc, 60, v4
	v_cndmask_b32_e64 v7, 0, 4, vcc
	v_add_lshl_u32 v7, v7, v3, 2
	v_cmp_gt_u32_e32 vcc, 62, v4
	s_waitcnt lgkmcnt(0)
	v_add_f16_e32 v6, v6, v5
	v_and_or_b32 v5, v5, s0, v6
	ds_bpermute_b32 v5, v7, v5
	v_cndmask_b32_e64 v7, 0, 2, vcc
	v_add_lshl_u32 v7, v7, v3, 2
	v_cmp_ne_u32_e32 vcc, 63, v4
	v_addc_co_u32_e32 v4, vcc, 0, v3, vcc
	s_waitcnt lgkmcnt(0)
	v_add_f16_e32 v6, v6, v5
	v_and_or_b32 v5, v5, s0, v6
	ds_bpermute_b32 v5, v7, v5
	v_lshlrev_b32_e32 v4, 2, v4
	v_cmp_eq_u32_e32 vcc, 0, v0
	s_waitcnt lgkmcnt(0)
	v_add_f16_e32 v3, v6, v5
	v_and_or_b32 v5, v5, s0, v3
	ds_bpermute_b32 v4, v4, v5
	s_and_b64 exec, exec, vcc
	s_cbranch_execz .LBB70_7
; %bb.6:
	v_lshlrev_b64 v[0:1], 1, v[1:2]
	v_mov_b32_e32 v2, s7
	v_add_co_u32_e32 v0, vcc, s6, v0
	v_addc_co_u32_e32 v1, vcc, v2, v1, vcc
	s_waitcnt lgkmcnt(0)
	v_add_f16_e32 v2, v3, v4
	global_store_short v[0:1], v2, off
.LBB70_7:
	s_endpgm
	.section	.rodata,"a",@progbits
	.p2align	6, 0x0
	.amdhsa_kernel _ZL28rocblas_dot_batched_4_kernelIiLi32ELi4ELb0EDF16_DF16_PKPKDF16_EviT5_lT_lS4_lS5_liPT4_
		.amdhsa_group_segment_fixed_size 0
		.amdhsa_private_segment_fixed_size 0
		.amdhsa_kernarg_size 88
		.amdhsa_user_sgpr_count 6
		.amdhsa_user_sgpr_private_segment_buffer 1
		.amdhsa_user_sgpr_dispatch_ptr 0
		.amdhsa_user_sgpr_queue_ptr 0
		.amdhsa_user_sgpr_kernarg_segment_ptr 1
		.amdhsa_user_sgpr_dispatch_id 0
		.amdhsa_user_sgpr_flat_scratch_init 0
		.amdhsa_user_sgpr_private_segment_size 0
		.amdhsa_uses_dynamic_stack 0
		.amdhsa_system_sgpr_private_segment_wavefront_offset 0
		.amdhsa_system_sgpr_workgroup_id_x 1
		.amdhsa_system_sgpr_workgroup_id_y 0
		.amdhsa_system_sgpr_workgroup_id_z 0
		.amdhsa_system_sgpr_workgroup_info 0
		.amdhsa_system_vgpr_workitem_id 1
		.amdhsa_next_free_vgpr 16
		.amdhsa_next_free_sgpr 18
		.amdhsa_reserve_vcc 1
		.amdhsa_reserve_flat_scratch 0
		.amdhsa_float_round_mode_32 0
		.amdhsa_float_round_mode_16_64 0
		.amdhsa_float_denorm_mode_32 3
		.amdhsa_float_denorm_mode_16_64 3
		.amdhsa_dx10_clamp 1
		.amdhsa_ieee_mode 1
		.amdhsa_fp16_overflow 0
		.amdhsa_exception_fp_ieee_invalid_op 0
		.amdhsa_exception_fp_denorm_src 0
		.amdhsa_exception_fp_ieee_div_zero 0
		.amdhsa_exception_fp_ieee_overflow 0
		.amdhsa_exception_fp_ieee_underflow 0
		.amdhsa_exception_fp_ieee_inexact 0
		.amdhsa_exception_int_div_zero 0
	.end_amdhsa_kernel
	.section	.text._ZL28rocblas_dot_batched_4_kernelIiLi32ELi4ELb0EDF16_DF16_PKPKDF16_EviT5_lT_lS4_lS5_liPT4_,"axG",@progbits,_ZL28rocblas_dot_batched_4_kernelIiLi32ELi4ELb0EDF16_DF16_PKPKDF16_EviT5_lT_lS4_lS5_liPT4_,comdat
.Lfunc_end70:
	.size	_ZL28rocblas_dot_batched_4_kernelIiLi32ELi4ELb0EDF16_DF16_PKPKDF16_EviT5_lT_lS4_lS5_liPT4_, .Lfunc_end70-_ZL28rocblas_dot_batched_4_kernelIiLi32ELi4ELb0EDF16_DF16_PKPKDF16_EviT5_lT_lS4_lS5_liPT4_
                                        ; -- End function
	.set _ZL28rocblas_dot_batched_4_kernelIiLi32ELi4ELb0EDF16_DF16_PKPKDF16_EviT5_lT_lS4_lS5_liPT4_.num_vgpr, 16
	.set _ZL28rocblas_dot_batched_4_kernelIiLi32ELi4ELb0EDF16_DF16_PKPKDF16_EviT5_lT_lS4_lS5_liPT4_.num_agpr, 0
	.set _ZL28rocblas_dot_batched_4_kernelIiLi32ELi4ELb0EDF16_DF16_PKPKDF16_EviT5_lT_lS4_lS5_liPT4_.numbered_sgpr, 18
	.set _ZL28rocblas_dot_batched_4_kernelIiLi32ELi4ELb0EDF16_DF16_PKPKDF16_EviT5_lT_lS4_lS5_liPT4_.num_named_barrier, 0
	.set _ZL28rocblas_dot_batched_4_kernelIiLi32ELi4ELb0EDF16_DF16_PKPKDF16_EviT5_lT_lS4_lS5_liPT4_.private_seg_size, 0
	.set _ZL28rocblas_dot_batched_4_kernelIiLi32ELi4ELb0EDF16_DF16_PKPKDF16_EviT5_lT_lS4_lS5_liPT4_.uses_vcc, 1
	.set _ZL28rocblas_dot_batched_4_kernelIiLi32ELi4ELb0EDF16_DF16_PKPKDF16_EviT5_lT_lS4_lS5_liPT4_.uses_flat_scratch, 0
	.set _ZL28rocblas_dot_batched_4_kernelIiLi32ELi4ELb0EDF16_DF16_PKPKDF16_EviT5_lT_lS4_lS5_liPT4_.has_dyn_sized_stack, 0
	.set _ZL28rocblas_dot_batched_4_kernelIiLi32ELi4ELb0EDF16_DF16_PKPKDF16_EviT5_lT_lS4_lS5_liPT4_.has_recursion, 0
	.set _ZL28rocblas_dot_batched_4_kernelIiLi32ELi4ELb0EDF16_DF16_PKPKDF16_EviT5_lT_lS4_lS5_liPT4_.has_indirect_call, 0
	.section	.AMDGPU.csdata,"",@progbits
; Kernel info:
; codeLenInByte = 644
; TotalNumSgprs: 22
; NumVgprs: 16
; ScratchSize: 0
; MemoryBound: 0
; FloatMode: 240
; IeeeMode: 1
; LDSByteSize: 0 bytes/workgroup (compile time only)
; SGPRBlocks: 2
; VGPRBlocks: 3
; NumSGPRsForWavesPerEU: 22
; NumVGPRsForWavesPerEU: 16
; Occupancy: 10
; WaveLimiterHint : 0
; COMPUTE_PGM_RSRC2:SCRATCH_EN: 0
; COMPUTE_PGM_RSRC2:USER_SGPR: 6
; COMPUTE_PGM_RSRC2:TRAP_HANDLER: 0
; COMPUTE_PGM_RSRC2:TGID_X_EN: 1
; COMPUTE_PGM_RSRC2:TGID_Y_EN: 0
; COMPUTE_PGM_RSRC2:TGID_Z_EN: 0
; COMPUTE_PGM_RSRC2:TIDIG_COMP_CNT: 1
	.section	.text._ZL28rocblas_dot_batched_4_kernelIiLi64ELi4ELb0EDF16_DF16_PKPKDF16_EviT5_lT_lS4_lS5_liPT4_,"axG",@progbits,_ZL28rocblas_dot_batched_4_kernelIiLi64ELi4ELb0EDF16_DF16_PKPKDF16_EviT5_lT_lS4_lS5_liPT4_,comdat
	.globl	_ZL28rocblas_dot_batched_4_kernelIiLi64ELi4ELb0EDF16_DF16_PKPKDF16_EviT5_lT_lS4_lS5_liPT4_ ; -- Begin function _ZL28rocblas_dot_batched_4_kernelIiLi64ELi4ELb0EDF16_DF16_PKPKDF16_EviT5_lT_lS4_lS5_liPT4_
	.p2align	8
	.type	_ZL28rocblas_dot_batched_4_kernelIiLi64ELi4ELb0EDF16_DF16_PKPKDF16_EviT5_lT_lS4_lS5_liPT4_,@function
_ZL28rocblas_dot_batched_4_kernelIiLi64ELi4ELb0EDF16_DF16_PKPKDF16_EviT5_lT_lS4_lS5_liPT4_: ; @_ZL28rocblas_dot_batched_4_kernelIiLi64ELi4ELb0EDF16_DF16_PKPKDF16_EviT5_lT_lS4_lS5_liPT4_
; %bb.0:
	s_load_dword s0, s[4:5], 0x48
	v_lshl_add_u32 v1, s6, 2, v1
	s_waitcnt lgkmcnt(0)
	v_cmp_gt_u32_e32 vcc, s0, v1
	s_and_saveexec_b64 s[0:1], vcc
	s_cbranch_execz .LBB71_7
; %bb.1:
	s_load_dword s14, s[4:5], 0x0
	s_load_dwordx2 s[6:7], s[4:5], 0x50
	v_mov_b32_e32 v2, 0
	v_mov_b32_e32 v7, v2
	s_waitcnt lgkmcnt(0)
	v_cmp_gt_i32_e32 vcc, s14, v0
	s_and_saveexec_b64 s[12:13], vcc
	s_cbranch_execz .LBB71_5
; %bb.2:
	s_load_dwordx4 s[0:3], s[4:5], 0x8
	s_load_dwordx4 s[8:11], s[4:5], 0x28
	v_lshlrev_b64 v[3:4], 3, v[1:2]
	s_load_dword s16, s[4:5], 0x18
	s_waitcnt lgkmcnt(0)
	v_mov_b32_e32 v6, s1
	v_add_co_u32_e32 v5, vcc, s0, v3
	v_addc_co_u32_e32 v6, vcc, v6, v4, vcc
	global_load_dwordx2 v[5:6], v[5:6], off
	v_mov_b32_e32 v7, s9
	v_add_co_u32_e32 v3, vcc, s8, v3
	v_addc_co_u32_e32 v4, vcc, v7, v4, vcc
	global_load_dwordx2 v[8:9], v[3:4], off
	s_load_dword s0, s[4:5], 0x38
	v_mad_i64_i32 v[3:4], s[8:9], s16, v0, 0
	s_lshl_b64 s[18:19], s[2:3], 1
	v_mov_b32_e32 v12, s19
	s_waitcnt lgkmcnt(0)
	v_mad_i64_i32 v[10:11], s[2:3], s0, v0, 0
	v_lshlrev_b64 v[3:4], 1, v[3:4]
	s_lshl_b64 s[10:11], s[10:11], 1
	v_lshlrev_b64 v[10:11], 1, v[10:11]
	v_add_co_u32_e32 v3, vcc, s18, v3
	v_addc_co_u32_e32 v4, vcc, v4, v12, vcc
	v_mov_b32_e32 v13, s11
	v_add_co_u32_e32 v10, vcc, s10, v10
	v_addc_co_u32_e32 v11, vcc, v11, v13, vcc
	s_ashr_i32 s17, s16, 31
	s_ashr_i32 s1, s0, 31
	v_mov_b32_e32 v7, 0
	s_mov_b64 s[4:5], 0
	s_lshl_b64 s[2:3], s[16:17], 7
	s_lshl_b64 s[8:9], s[0:1], 7
	s_waitcnt vmcnt(1)
	v_add_co_u32_e32 v3, vcc, v5, v3
	v_addc_co_u32_e32 v4, vcc, v6, v4, vcc
	s_waitcnt vmcnt(0)
	v_add_co_u32_e32 v5, vcc, v8, v10
	v_addc_co_u32_e32 v6, vcc, v9, v11, vcc
	v_mov_b32_e32 v8, v0
.LBB71_3:                               ; =>This Inner Loop Header: Depth=1
	flat_load_ushort v9, v[3:4]
	flat_load_ushort v10, v[5:6]
	v_mov_b32_e32 v12, s9
	v_add_co_u32_e32 v5, vcc, s8, v5
	v_add_u32_e32 v8, 64, v8
	v_addc_co_u32_e32 v6, vcc, v6, v12, vcc
	v_mov_b32_e32 v11, s3
	v_add_co_u32_e64 v3, s[0:1], s2, v3
	v_cmp_le_i32_e32 vcc, s14, v8
	v_addc_co_u32_e64 v4, s[0:1], v4, v11, s[0:1]
	s_or_b64 s[4:5], vcc, s[4:5]
	s_waitcnt vmcnt(0) lgkmcnt(0)
	v_fma_f16 v7, v9, v10, v7
	s_andn2_b64 exec, exec, s[4:5]
	s_cbranch_execnz .LBB71_3
; %bb.4:
	s_or_b64 exec, exec, s[4:5]
.LBB71_5:
	s_or_b64 exec, exec, s[12:13]
	v_mbcnt_lo_u32_b32 v3, -1, 0
	v_mbcnt_hi_u32_b32 v3, -1, v3
	v_mov_b32_e32 v5, 0x80
	v_and_b32_e32 v4, 0xffff, v7
	v_lshl_or_b32 v5, v3, 2, v5
	ds_bpermute_b32 v4, v5, v4
	v_and_b32_e32 v5, 63, v3
	v_cmp_gt_u32_e32 vcc, 48, v5
	s_mov_b32 s0, 0xffff0000
	s_waitcnt lgkmcnt(0)
	v_add_f16_e32 v6, v7, v4
	v_cndmask_b32_e64 v7, 0, 16, vcc
	v_and_or_b32 v4, v4, s0, v6
	v_add_lshl_u32 v7, v7, v3, 2
	ds_bpermute_b32 v4, v7, v4
	v_cmp_gt_u32_e32 vcc, 56, v5
	v_cndmask_b32_e64 v7, 0, 8, vcc
	v_add_lshl_u32 v7, v7, v3, 2
	v_cmp_gt_u32_e32 vcc, 60, v5
	s_waitcnt lgkmcnt(0)
	v_add_f16_e32 v6, v6, v4
	v_and_or_b32 v4, v4, s0, v6
	ds_bpermute_b32 v4, v7, v4
	v_cndmask_b32_e64 v7, 0, 4, vcc
	v_add_lshl_u32 v7, v7, v3, 2
	v_cmp_gt_u32_e32 vcc, 62, v5
	s_waitcnt lgkmcnt(0)
	s_barrier
	v_add_f16_e32 v6, v6, v4
	v_and_or_b32 v4, v4, s0, v6
	ds_bpermute_b32 v4, v7, v4
	v_cndmask_b32_e64 v7, 0, 2, vcc
	v_add_lshl_u32 v7, v7, v3, 2
	v_cmp_ne_u32_e32 vcc, 63, v5
	v_addc_co_u32_e32 v5, vcc, 0, v3, vcc
	s_waitcnt lgkmcnt(0)
	v_add_f16_e32 v6, v6, v4
	v_and_or_b32 v4, v4, s0, v6
	ds_bpermute_b32 v4, v7, v4
	v_lshlrev_b32_e32 v5, 2, v5
	v_cmp_eq_u32_e32 vcc, 0, v0
	s_waitcnt lgkmcnt(0)
	v_add_f16_e32 v3, v6, v4
	v_and_or_b32 v4, v4, s0, v3
	ds_bpermute_b32 v4, v5, v4
	s_and_b64 exec, exec, vcc
	s_cbranch_execz .LBB71_7
; %bb.6:
	v_lshlrev_b64 v[0:1], 1, v[1:2]
	v_mov_b32_e32 v2, s7
	v_add_co_u32_e32 v0, vcc, s6, v0
	v_addc_co_u32_e32 v1, vcc, v2, v1, vcc
	s_waitcnt lgkmcnt(0)
	v_add_f16_e32 v2, v3, v4
	global_store_short v[0:1], v2, off
.LBB71_7:
	s_endpgm
	.section	.rodata,"a",@progbits
	.p2align	6, 0x0
	.amdhsa_kernel _ZL28rocblas_dot_batched_4_kernelIiLi64ELi4ELb0EDF16_DF16_PKPKDF16_EviT5_lT_lS4_lS5_liPT4_
		.amdhsa_group_segment_fixed_size 0
		.amdhsa_private_segment_fixed_size 0
		.amdhsa_kernarg_size 88
		.amdhsa_user_sgpr_count 6
		.amdhsa_user_sgpr_private_segment_buffer 1
		.amdhsa_user_sgpr_dispatch_ptr 0
		.amdhsa_user_sgpr_queue_ptr 0
		.amdhsa_user_sgpr_kernarg_segment_ptr 1
		.amdhsa_user_sgpr_dispatch_id 0
		.amdhsa_user_sgpr_flat_scratch_init 0
		.amdhsa_user_sgpr_private_segment_size 0
		.amdhsa_uses_dynamic_stack 0
		.amdhsa_system_sgpr_private_segment_wavefront_offset 0
		.amdhsa_system_sgpr_workgroup_id_x 1
		.amdhsa_system_sgpr_workgroup_id_y 0
		.amdhsa_system_sgpr_workgroup_id_z 0
		.amdhsa_system_sgpr_workgroup_info 0
		.amdhsa_system_vgpr_workitem_id 1
		.amdhsa_next_free_vgpr 14
		.amdhsa_next_free_sgpr 20
		.amdhsa_reserve_vcc 1
		.amdhsa_reserve_flat_scratch 0
		.amdhsa_float_round_mode_32 0
		.amdhsa_float_round_mode_16_64 0
		.amdhsa_float_denorm_mode_32 3
		.amdhsa_float_denorm_mode_16_64 3
		.amdhsa_dx10_clamp 1
		.amdhsa_ieee_mode 1
		.amdhsa_fp16_overflow 0
		.amdhsa_exception_fp_ieee_invalid_op 0
		.amdhsa_exception_fp_denorm_src 0
		.amdhsa_exception_fp_ieee_div_zero 0
		.amdhsa_exception_fp_ieee_overflow 0
		.amdhsa_exception_fp_ieee_underflow 0
		.amdhsa_exception_fp_ieee_inexact 0
		.amdhsa_exception_int_div_zero 0
	.end_amdhsa_kernel
	.section	.text._ZL28rocblas_dot_batched_4_kernelIiLi64ELi4ELb0EDF16_DF16_PKPKDF16_EviT5_lT_lS4_lS5_liPT4_,"axG",@progbits,_ZL28rocblas_dot_batched_4_kernelIiLi64ELi4ELb0EDF16_DF16_PKPKDF16_EviT5_lT_lS4_lS5_liPT4_,comdat
.Lfunc_end71:
	.size	_ZL28rocblas_dot_batched_4_kernelIiLi64ELi4ELb0EDF16_DF16_PKPKDF16_EviT5_lT_lS4_lS5_liPT4_, .Lfunc_end71-_ZL28rocblas_dot_batched_4_kernelIiLi64ELi4ELb0EDF16_DF16_PKPKDF16_EviT5_lT_lS4_lS5_liPT4_
                                        ; -- End function
	.set _ZL28rocblas_dot_batched_4_kernelIiLi64ELi4ELb0EDF16_DF16_PKPKDF16_EviT5_lT_lS4_lS5_liPT4_.num_vgpr, 14
	.set _ZL28rocblas_dot_batched_4_kernelIiLi64ELi4ELb0EDF16_DF16_PKPKDF16_EviT5_lT_lS4_lS5_liPT4_.num_agpr, 0
	.set _ZL28rocblas_dot_batched_4_kernelIiLi64ELi4ELb0EDF16_DF16_PKPKDF16_EviT5_lT_lS4_lS5_liPT4_.numbered_sgpr, 20
	.set _ZL28rocblas_dot_batched_4_kernelIiLi64ELi4ELb0EDF16_DF16_PKPKDF16_EviT5_lT_lS4_lS5_liPT4_.num_named_barrier, 0
	.set _ZL28rocblas_dot_batched_4_kernelIiLi64ELi4ELb0EDF16_DF16_PKPKDF16_EviT5_lT_lS4_lS5_liPT4_.private_seg_size, 0
	.set _ZL28rocblas_dot_batched_4_kernelIiLi64ELi4ELb0EDF16_DF16_PKPKDF16_EviT5_lT_lS4_lS5_liPT4_.uses_vcc, 1
	.set _ZL28rocblas_dot_batched_4_kernelIiLi64ELi4ELb0EDF16_DF16_PKPKDF16_EviT5_lT_lS4_lS5_liPT4_.uses_flat_scratch, 0
	.set _ZL28rocblas_dot_batched_4_kernelIiLi64ELi4ELb0EDF16_DF16_PKPKDF16_EviT5_lT_lS4_lS5_liPT4_.has_dyn_sized_stack, 0
	.set _ZL28rocblas_dot_batched_4_kernelIiLi64ELi4ELb0EDF16_DF16_PKPKDF16_EviT5_lT_lS4_lS5_liPT4_.has_recursion, 0
	.set _ZL28rocblas_dot_batched_4_kernelIiLi64ELi4ELb0EDF16_DF16_PKPKDF16_EviT5_lT_lS4_lS5_liPT4_.has_indirect_call, 0
	.section	.AMDGPU.csdata,"",@progbits
; Kernel info:
; codeLenInByte = 692
; TotalNumSgprs: 24
; NumVgprs: 14
; ScratchSize: 0
; MemoryBound: 0
; FloatMode: 240
; IeeeMode: 1
; LDSByteSize: 0 bytes/workgroup (compile time only)
; SGPRBlocks: 2
; VGPRBlocks: 3
; NumSGPRsForWavesPerEU: 24
; NumVGPRsForWavesPerEU: 14
; Occupancy: 10
; WaveLimiterHint : 0
; COMPUTE_PGM_RSRC2:SCRATCH_EN: 0
; COMPUTE_PGM_RSRC2:USER_SGPR: 6
; COMPUTE_PGM_RSRC2:TRAP_HANDLER: 0
; COMPUTE_PGM_RSRC2:TGID_X_EN: 1
; COMPUTE_PGM_RSRC2:TGID_Y_EN: 0
; COMPUTE_PGM_RSRC2:TGID_Z_EN: 0
; COMPUTE_PGM_RSRC2:TIDIG_COMP_CNT: 1
	.section	.text._ZL26rocblas_dot_kernel_inc1by2ILb1ELi1024ELi32ELb0EDF16_PKPKDF16_DF16_EviT4_llS4_lliPT5_PT3_,"axG",@progbits,_ZL26rocblas_dot_kernel_inc1by2ILb1ELi1024ELi32ELb0EDF16_PKPKDF16_DF16_EviT4_llS4_lliPT5_PT3_,comdat
	.globl	_ZL26rocblas_dot_kernel_inc1by2ILb1ELi1024ELi32ELb0EDF16_PKPKDF16_DF16_EviT4_llS4_lliPT5_PT3_ ; -- Begin function _ZL26rocblas_dot_kernel_inc1by2ILb1ELi1024ELi32ELb0EDF16_PKPKDF16_DF16_EviT4_llS4_lliPT5_PT3_
	.p2align	8
	.type	_ZL26rocblas_dot_kernel_inc1by2ILb1ELi1024ELi32ELb0EDF16_PKPKDF16_DF16_EviT4_llS4_lliPT5_PT3_,@function
_ZL26rocblas_dot_kernel_inc1by2ILb1ELi1024ELi32ELb0EDF16_PKPKDF16_DF16_EviT4_llS4_lliPT5_PT3_: ; @_ZL26rocblas_dot_kernel_inc1by2ILb1ELi1024ELi32ELb0EDF16_PKPKDF16_DF16_EviT4_llS4_lliPT5_PT3_
; %bb.0:
	s_load_dword s20, s[4:5], 0x0
	s_load_dwordx4 s[0:3], s[4:5], 0x8
	s_load_dwordx2 s[12:13], s[4:5], 0x48
	s_load_dwordx4 s[8:11], s[4:5], 0x20
	s_mov_b32 s6, s7
	s_mov_b32 s7, 0
	s_lshl_b64 s[14:15], s[6:7], 3
	s_waitcnt lgkmcnt(0)
	s_add_u32 s0, s0, s14
	s_addc_u32 s1, s1, s15
	s_load_dwordx2 s[4:5], s[0:1], 0x0
	s_add_u32 s0, s8, s14
	s_addc_u32 s1, s9, s15
	s_load_dwordx2 s[14:15], s[0:1], 0x0
	v_lshlrev_b32_e32 v6, 1, v0
	s_add_i32 s8, s20, -1
	v_cmp_gt_i32_e32 vcc, s8, v6
	v_mov_b32_e32 v5, 0
	s_and_saveexec_b64 s[16:17], vcc
	s_cbranch_execz .LBB72_4
; %bb.1:
	s_lshl_b64 s[0:1], s[10:11], 1
	s_waitcnt lgkmcnt(0)
	s_add_u32 s0, s14, s0
	v_lshlrev_b32_e32 v3, 2, v0
	s_addc_u32 s1, s15, s1
	v_mov_b32_e32 v2, s1
	v_add_co_u32_e32 v1, vcc, s0, v3
	s_lshl_b64 s[0:1], s[2:3], 1
	s_add_u32 s0, s4, s0
	v_addc_co_u32_e32 v2, vcc, 0, v2, vcc
	s_addc_u32 s1, s5, s1
	v_mov_b32_e32 v4, s1
	v_add_co_u32_e32 v3, vcc, s0, v3
	v_mov_b32_e32 v5, 0
	v_addc_co_u32_e32 v4, vcc, 0, v4, vcc
	s_mov_b64 s[18:19], 0
	s_mov_b32 s9, s7
.LBB72_2:                               ; =>This Inner Loop Header: Depth=1
	flat_load_dword v7, v[1:2]
	flat_load_dword v8, v[3:4]
	s_add_i32 s21, s9, 1
	v_add_u32_e32 v6, 0x800, v6
	s_cmp_gt_u32 s9, 30
	v_add_co_u32_e32 v1, vcc, 0x1000, v1
	v_cmp_le_i32_e64 s[0:1], s8, v6
	s_cselect_b64 s[22:23], -1, 0
	v_addc_co_u32_e32 v2, vcc, 0, v2, vcc
	s_or_b64 s[0:1], s[22:23], s[0:1]
	v_add_co_u32_e32 v3, vcc, 0x1000, v3
	s_and_b64 s[0:1], exec, s[0:1]
	s_mov_b32 s9, s21
	v_addc_co_u32_e32 v4, vcc, 0, v4, vcc
	s_or_b64 s[18:19], s[0:1], s[18:19]
	s_waitcnt vmcnt(0) lgkmcnt(0)
	v_pk_mul_f16 v7, v7, v8
	v_add_f16_e32 v5, v5, v7
	v_add_f16_sdwa v5, v5, v7 dst_sel:DWORD dst_unused:UNUSED_PAD src0_sel:DWORD src1_sel:WORD_1
	s_andn2_b64 exec, exec, s[18:19]
	s_cbranch_execnz .LBB72_2
; %bb.3:
	s_or_b64 exec, exec, s[18:19]
.LBB72_4:
	s_or_b64 exec, exec, s[16:17]
	s_bitcmp1_b32 s20, 0
	s_cselect_b64 s[0:1], -1, 0
	v_cmp_eq_u32_e32 vcc, s8, v6
	s_and_b64 s[16:17], s[0:1], vcc
	s_and_saveexec_b64 s[0:1], s[16:17]
	s_cbranch_execz .LBB72_6
; %bb.5:
	s_lshl_b64 s[2:3], s[2:3], 1
	s_waitcnt lgkmcnt(0)
	s_add_u32 s4, s4, s2
	s_addc_u32 s5, s5, s3
	s_lshl_b64 s[2:3], s[10:11], 1
	s_add_u32 s10, s14, s2
	s_mov_b32 s9, 0
	s_addc_u32 s11, s15, s3
	s_lshl_b64 s[2:3], s[8:9], 1
	s_add_u32 s4, s4, s2
	s_addc_u32 s5, s5, s3
	s_add_u32 s2, s10, s2
	s_addc_u32 s3, s11, s3
	v_mov_b32_e32 v1, s2
	v_mov_b32_e32 v2, s3
	flat_load_ushort v3, v[1:2]
	v_mov_b32_e32 v1, s4
	v_mov_b32_e32 v2, s5
	flat_load_ushort v1, v[1:2]
	s_waitcnt vmcnt(0) lgkmcnt(0)
	v_fma_f16 v5, v3, v1, v5
.LBB72_6:
	s_or_b64 exec, exec, s[0:1]
	v_and_b32_e32 v3, 63, v0
	v_cmp_gt_u32_e32 vcc, 64, v0
	v_lshlrev_b32_e32 v1, 1, v3
	s_and_saveexec_b64 s[0:1], vcc
; %bb.7:
	v_mov_b32_e32 v2, 0
	ds_write_b16 v1, v2
; %bb.8:
	s_or_b64 exec, exec, s[0:1]
	v_mbcnt_lo_u32_b32 v2, -1, 0
	v_mbcnt_hi_u32_b32 v6, -1, v2
	v_mov_b32_e32 v4, 0x80
	v_and_b32_e32 v2, 0xffff, v5
	v_lshl_or_b32 v4, v6, 2, v4
	ds_bpermute_b32 v2, v4, v2
	v_and_b32_e32 v7, 63, v6
	v_cmp_gt_u32_e64 s[0:1], 48, v7
	s_mov_b32 s2, 0xffff0000
	s_waitcnt lgkmcnt(0)
	v_add_f16_e32 v4, v5, v2
	v_cndmask_b32_e64 v5, 0, 16, s[0:1]
	v_and_or_b32 v2, v2, s2, v4
	v_add_lshl_u32 v5, v5, v6, 2
	ds_bpermute_b32 v2, v5, v2
	v_cmp_gt_u32_e64 s[0:1], 56, v7
	s_waitcnt lgkmcnt(0)
	s_barrier
	v_add_f16_e32 v4, v4, v2
	v_and_or_b32 v5, v2, s2, v4
	v_cndmask_b32_e64 v2, 0, 8, s[0:1]
	v_add_lshl_u32 v2, v2, v6, 2
	ds_bpermute_b32 v5, v2, v5
	v_cmp_gt_u32_e64 s[0:1], 60, v7
	v_cndmask_b32_e64 v8, 0, 4, s[0:1]
	v_cmp_gt_u32_e64 s[0:1], 62, v7
	s_waitcnt lgkmcnt(0)
	v_add_f16_e32 v9, v4, v5
	v_and_or_b32 v5, v5, s2, v9
	v_add_lshl_u32 v4, v8, v6, 2
	ds_bpermute_b32 v8, v4, v5
	v_cndmask_b32_e64 v5, 0, 2, s[0:1]
	v_add_lshl_u32 v5, v5, v6, 2
	v_cmp_ne_u32_e64 s[0:1], 63, v7
	v_addc_co_u32_e64 v6, s[0:1], 0, v6, s[0:1]
	s_waitcnt lgkmcnt(0)
	v_add_f16_e32 v9, v9, v8
	v_and_or_b32 v8, v8, s2, v9
	ds_bpermute_b32 v8, v5, v8
	v_lshlrev_b32_e32 v6, 2, v6
	v_cmp_eq_u32_e64 s[0:1], 0, v3
	s_waitcnt lgkmcnt(0)
	v_add_f16_e32 v7, v9, v8
	v_and_or_b32 v8, v8, s2, v7
	ds_bpermute_b32 v8, v6, v8
	s_and_saveexec_b64 s[2:3], s[0:1]
	s_cbranch_execz .LBB72_10
; %bb.9:
	s_waitcnt lgkmcnt(0)
	v_add_f16_e32 v3, v7, v8
	v_lshrrev_b32_e32 v7, 5, v0
	v_and_b32_e32 v7, 30, v7
	ds_write_b16 v7, v3
.LBB72_10:
	s_or_b64 exec, exec, s[2:3]
	v_cmp_gt_u32_e64 s[0:1], 16, v0
	v_mov_b32_e32 v3, 0
	s_waitcnt lgkmcnt(0)
	s_barrier
	s_and_saveexec_b64 s[2:3], s[0:1]
	s_cbranch_execnz .LBB72_14
; %bb.11:
	s_or_b64 exec, exec, s[2:3]
	s_and_saveexec_b64 s[0:1], vcc
	s_cbranch_execnz .LBB72_15
.LBB72_12:
	s_or_b64 exec, exec, s[0:1]
	v_cmp_eq_u32_e32 vcc, 0, v0
	s_and_saveexec_b64 s[0:1], vcc
	s_cbranch_execnz .LBB72_16
.LBB72_13:
	s_endpgm
.LBB72_14:
	ds_read_u16 v3, v1
	s_or_b64 exec, exec, s[2:3]
	s_and_saveexec_b64 s[0:1], vcc
	s_cbranch_execz .LBB72_12
.LBB72_15:
	s_waitcnt lgkmcnt(0)
	v_and_b32_e32 v1, 0xffff, v3
	ds_bpermute_b32 v1, v2, v1
	s_mov_b32 s2, 0xffff0000
	s_waitcnt lgkmcnt(0)
	v_add_f16_e32 v2, v3, v1
	v_and_or_b32 v1, v1, s2, v2
	ds_bpermute_b32 v1, v4, v1
	s_waitcnt lgkmcnt(0)
	v_add_f16_e32 v2, v2, v1
	v_and_or_b32 v1, v1, s2, v2
	ds_bpermute_b32 v1, v5, v1
	;; [unrolled: 4-line block ×3, first 2 shown]
	s_waitcnt lgkmcnt(0)
	v_add_f16_e32 v3, v2, v1
	s_or_b64 exec, exec, s[0:1]
	v_cmp_eq_u32_e32 vcc, 0, v0
	s_and_saveexec_b64 s[0:1], vcc
	s_cbranch_execz .LBB72_13
.LBB72_16:
	s_lshl_b64 s[0:1], s[6:7], 1
	s_add_u32 s0, s12, s0
	s_addc_u32 s1, s13, s1
	v_mov_b32_e32 v0, 0
	s_waitcnt lgkmcnt(0)
	global_store_short v0, v3, s[0:1]
	s_endpgm
	.section	.rodata,"a",@progbits
	.p2align	6, 0x0
	.amdhsa_kernel _ZL26rocblas_dot_kernel_inc1by2ILb1ELi1024ELi32ELb0EDF16_PKPKDF16_DF16_EviT4_llS4_lliPT5_PT3_
		.amdhsa_group_segment_fixed_size 128
		.amdhsa_private_segment_fixed_size 0
		.amdhsa_kernarg_size 80
		.amdhsa_user_sgpr_count 6
		.amdhsa_user_sgpr_private_segment_buffer 1
		.amdhsa_user_sgpr_dispatch_ptr 0
		.amdhsa_user_sgpr_queue_ptr 0
		.amdhsa_user_sgpr_kernarg_segment_ptr 1
		.amdhsa_user_sgpr_dispatch_id 0
		.amdhsa_user_sgpr_flat_scratch_init 0
		.amdhsa_user_sgpr_private_segment_size 0
		.amdhsa_uses_dynamic_stack 0
		.amdhsa_system_sgpr_private_segment_wavefront_offset 0
		.amdhsa_system_sgpr_workgroup_id_x 1
		.amdhsa_system_sgpr_workgroup_id_y 0
		.amdhsa_system_sgpr_workgroup_id_z 1
		.amdhsa_system_sgpr_workgroup_info 0
		.amdhsa_system_vgpr_workitem_id 0
		.amdhsa_next_free_vgpr 10
		.amdhsa_next_free_sgpr 24
		.amdhsa_reserve_vcc 1
		.amdhsa_reserve_flat_scratch 0
		.amdhsa_float_round_mode_32 0
		.amdhsa_float_round_mode_16_64 0
		.amdhsa_float_denorm_mode_32 3
		.amdhsa_float_denorm_mode_16_64 3
		.amdhsa_dx10_clamp 1
		.amdhsa_ieee_mode 1
		.amdhsa_fp16_overflow 0
		.amdhsa_exception_fp_ieee_invalid_op 0
		.amdhsa_exception_fp_denorm_src 0
		.amdhsa_exception_fp_ieee_div_zero 0
		.amdhsa_exception_fp_ieee_overflow 0
		.amdhsa_exception_fp_ieee_underflow 0
		.amdhsa_exception_fp_ieee_inexact 0
		.amdhsa_exception_int_div_zero 0
	.end_amdhsa_kernel
	.section	.text._ZL26rocblas_dot_kernel_inc1by2ILb1ELi1024ELi32ELb0EDF16_PKPKDF16_DF16_EviT4_llS4_lliPT5_PT3_,"axG",@progbits,_ZL26rocblas_dot_kernel_inc1by2ILb1ELi1024ELi32ELb0EDF16_PKPKDF16_DF16_EviT4_llS4_lliPT5_PT3_,comdat
.Lfunc_end72:
	.size	_ZL26rocblas_dot_kernel_inc1by2ILb1ELi1024ELi32ELb0EDF16_PKPKDF16_DF16_EviT4_llS4_lliPT5_PT3_, .Lfunc_end72-_ZL26rocblas_dot_kernel_inc1by2ILb1ELi1024ELi32ELb0EDF16_PKPKDF16_DF16_EviT4_llS4_lliPT5_PT3_
                                        ; -- End function
	.set _ZL26rocblas_dot_kernel_inc1by2ILb1ELi1024ELi32ELb0EDF16_PKPKDF16_DF16_EviT4_llS4_lliPT5_PT3_.num_vgpr, 10
	.set _ZL26rocblas_dot_kernel_inc1by2ILb1ELi1024ELi32ELb0EDF16_PKPKDF16_DF16_EviT4_llS4_lliPT5_PT3_.num_agpr, 0
	.set _ZL26rocblas_dot_kernel_inc1by2ILb1ELi1024ELi32ELb0EDF16_PKPKDF16_DF16_EviT4_llS4_lliPT5_PT3_.numbered_sgpr, 24
	.set _ZL26rocblas_dot_kernel_inc1by2ILb1ELi1024ELi32ELb0EDF16_PKPKDF16_DF16_EviT4_llS4_lliPT5_PT3_.num_named_barrier, 0
	.set _ZL26rocblas_dot_kernel_inc1by2ILb1ELi1024ELi32ELb0EDF16_PKPKDF16_DF16_EviT4_llS4_lliPT5_PT3_.private_seg_size, 0
	.set _ZL26rocblas_dot_kernel_inc1by2ILb1ELi1024ELi32ELb0EDF16_PKPKDF16_DF16_EviT4_llS4_lliPT5_PT3_.uses_vcc, 1
	.set _ZL26rocblas_dot_kernel_inc1by2ILb1ELi1024ELi32ELb0EDF16_PKPKDF16_DF16_EviT4_llS4_lliPT5_PT3_.uses_flat_scratch, 0
	.set _ZL26rocblas_dot_kernel_inc1by2ILb1ELi1024ELi32ELb0EDF16_PKPKDF16_DF16_EviT4_llS4_lliPT5_PT3_.has_dyn_sized_stack, 0
	.set _ZL26rocblas_dot_kernel_inc1by2ILb1ELi1024ELi32ELb0EDF16_PKPKDF16_DF16_EviT4_llS4_lliPT5_PT3_.has_recursion, 0
	.set _ZL26rocblas_dot_kernel_inc1by2ILb1ELi1024ELi32ELb0EDF16_PKPKDF16_DF16_EviT4_llS4_lliPT5_PT3_.has_indirect_call, 0
	.section	.AMDGPU.csdata,"",@progbits
; Kernel info:
; codeLenInByte = 1032
; TotalNumSgprs: 28
; NumVgprs: 10
; ScratchSize: 0
; MemoryBound: 0
; FloatMode: 240
; IeeeMode: 1
; LDSByteSize: 128 bytes/workgroup (compile time only)
; SGPRBlocks: 3
; VGPRBlocks: 2
; NumSGPRsForWavesPerEU: 28
; NumVGPRsForWavesPerEU: 10
; Occupancy: 10
; WaveLimiterHint : 1
; COMPUTE_PGM_RSRC2:SCRATCH_EN: 0
; COMPUTE_PGM_RSRC2:USER_SGPR: 6
; COMPUTE_PGM_RSRC2:TRAP_HANDLER: 0
; COMPUTE_PGM_RSRC2:TGID_X_EN: 1
; COMPUTE_PGM_RSRC2:TGID_Y_EN: 0
; COMPUTE_PGM_RSRC2:TGID_Z_EN: 1
; COMPUTE_PGM_RSRC2:TIDIG_COMP_CNT: 0
	.section	.text._ZL18rocblas_dot_kernelIiLb1ELi1024ELi32ELb0EDF16_PKPKDF16_DF16_EviT5_lT_lS4_lS5_liPT6_PT4_,"axG",@progbits,_ZL18rocblas_dot_kernelIiLb1ELi1024ELi32ELb0EDF16_PKPKDF16_DF16_EviT5_lT_lS4_lS5_liPT6_PT4_,comdat
	.globl	_ZL18rocblas_dot_kernelIiLb1ELi1024ELi32ELb0EDF16_PKPKDF16_DF16_EviT5_lT_lS4_lS5_liPT6_PT4_ ; -- Begin function _ZL18rocblas_dot_kernelIiLb1ELi1024ELi32ELb0EDF16_PKPKDF16_DF16_EviT5_lT_lS4_lS5_liPT6_PT4_
	.p2align	8
	.type	_ZL18rocblas_dot_kernelIiLb1ELi1024ELi32ELb0EDF16_PKPKDF16_DF16_EviT5_lT_lS4_lS5_liPT6_PT4_,@function
_ZL18rocblas_dot_kernelIiLb1ELi1024ELi32ELb0EDF16_PKPKDF16_DF16_EviT5_lT_lS4_lS5_liPT6_PT4_: ; @_ZL18rocblas_dot_kernelIiLb1ELi1024ELi32ELb0EDF16_PKPKDF16_DF16_EviT5_lT_lS4_lS5_liPT6_PT4_
; %bb.0:
	s_load_dword s14, s[4:5], 0x0
	s_load_dwordx2 s[8:9], s[4:5], 0x58
	s_mov_b32 s6, s7
	s_mov_b32 s7, 0
	v_mov_b32_e32 v5, 0
	s_waitcnt lgkmcnt(0)
	v_cmp_gt_i32_e32 vcc, s14, v0
	s_and_saveexec_b64 s[10:11], vcc
	s_cbranch_execz .LBB73_4
; %bb.1:
	s_load_dwordx4 s[16:19], s[4:5], 0x8
	s_load_dwordx4 s[0:3], s[4:5], 0x28
	s_load_dword s22, s[4:5], 0x18
	s_lshl_b64 s[12:13], s[6:7], 3
	s_waitcnt lgkmcnt(0)
	s_add_u32 s16, s16, s12
	s_addc_u32 s17, s17, s13
	s_load_dwordx2 s[20:21], s[16:17], 0x0
	s_load_dword s23, s[4:5], 0x38
	s_load_dword s15, s[4:5], 0x60
	v_mad_i64_i32 v[1:2], s[4:5], s22, v0, 0
	s_add_u32 s0, s0, s12
	s_addc_u32 s1, s1, s13
	s_waitcnt lgkmcnt(0)
	s_lshl_b32 s15, s15, 10
	s_lshl_b64 s[4:5], s[18:19], 1
	v_lshlrev_b64 v[1:2], 1, v[1:2]
	s_add_u32 s4, s20, s4
	s_addc_u32 s5, s21, s5
	s_load_dwordx2 s[0:1], s[0:1], 0x0
	v_mov_b32_e32 v3, s5
	v_add_co_u32_e32 v1, vcc, s4, v1
	v_addc_co_u32_e32 v2, vcc, v3, v2, vcc
	v_mad_i64_i32 v[3:4], s[4:5], s23, v0, 0
	s_mul_hi_i32 s5, s22, s15
	s_mul_i32 s4, s22, s15
	s_lshl_b64 s[4:5], s[4:5], 1
	s_lshl_b64 s[2:3], s[2:3], 1
	v_lshlrev_b64 v[3:4], 1, v[3:4]
	s_waitcnt lgkmcnt(0)
	s_add_u32 s0, s0, s2
	s_addc_u32 s1, s1, s3
	v_mov_b32_e32 v5, s1
	v_add_co_u32_e32 v3, vcc, s0, v3
	s_mul_hi_i32 s1, s23, s15
	s_mul_i32 s0, s23, s15
	s_lshl_b64 s[2:3], s[0:1], 1
	v_or_b32_e32 v6, s15, v0
	v_addc_co_u32_e32 v4, vcc, v5, v4, vcc
	v_mov_b32_e32 v5, 0
	s_mov_b64 s[12:13], 0
	v_mov_b32_e32 v7, s5
	v_mov_b32_e32 v8, s3
	s_mov_b32 s3, s7
.LBB73_2:                               ; =>This Inner Loop Header: Depth=1
	flat_load_ushort v9, v[3:4]
	flat_load_ushort v10, v[1:2]
	v_add_co_u32_e64 v1, s[0:1], s4, v1
	v_addc_co_u32_e64 v2, s[0:1], v2, v7, s[0:1]
	s_add_i32 s5, s3, 1
	v_add_co_u32_e64 v3, s[0:1], s2, v3
	v_addc_co_u32_e64 v4, s[0:1], v4, v8, s[0:1]
	s_cmp_gt_u32 s3, 30
	v_cmp_le_i32_e32 vcc, s14, v6
	s_cselect_b64 s[0:1], -1, 0
	s_or_b64 s[0:1], s[0:1], vcc
	s_and_b64 s[0:1], exec, s[0:1]
	v_add_u32_e32 v6, s15, v6
	s_mov_b32 s3, s5
	s_or_b64 s[12:13], s[0:1], s[12:13]
	s_waitcnt vmcnt(0) lgkmcnt(0)
	v_fma_f16 v5, v9, v10, v5
	s_andn2_b64 exec, exec, s[12:13]
	s_cbranch_execnz .LBB73_2
; %bb.3:
	s_or_b64 exec, exec, s[12:13]
.LBB73_4:
	s_or_b64 exec, exec, s[10:11]
	v_and_b32_e32 v3, 63, v0
	v_cmp_gt_u32_e32 vcc, 64, v0
	v_lshlrev_b32_e32 v1, 1, v3
	s_and_saveexec_b64 s[0:1], vcc
; %bb.5:
	v_mov_b32_e32 v2, 0
	ds_write_b16 v1, v2
; %bb.6:
	s_or_b64 exec, exec, s[0:1]
	v_mbcnt_lo_u32_b32 v2, -1, 0
	v_mbcnt_hi_u32_b32 v6, -1, v2
	v_mov_b32_e32 v4, 0x80
	v_and_b32_e32 v2, 0xffff, v5
	v_lshl_or_b32 v4, v6, 2, v4
	ds_bpermute_b32 v2, v4, v2
	v_and_b32_e32 v7, 63, v6
	v_cmp_gt_u32_e64 s[0:1], 48, v7
	s_mov_b32 s2, 0xffff0000
	s_waitcnt lgkmcnt(0)
	v_add_f16_e32 v4, v5, v2
	v_cndmask_b32_e64 v5, 0, 16, s[0:1]
	v_and_or_b32 v2, v2, s2, v4
	v_add_lshl_u32 v5, v5, v6, 2
	ds_bpermute_b32 v2, v5, v2
	v_cmp_gt_u32_e64 s[0:1], 56, v7
	s_waitcnt lgkmcnt(0)
	s_barrier
	v_add_f16_e32 v4, v4, v2
	v_and_or_b32 v5, v2, s2, v4
	v_cndmask_b32_e64 v2, 0, 8, s[0:1]
	v_add_lshl_u32 v2, v2, v6, 2
	ds_bpermute_b32 v5, v2, v5
	v_cmp_gt_u32_e64 s[0:1], 60, v7
	v_cndmask_b32_e64 v8, 0, 4, s[0:1]
	v_cmp_gt_u32_e64 s[0:1], 62, v7
	s_waitcnt lgkmcnt(0)
	v_add_f16_e32 v9, v4, v5
	v_and_or_b32 v5, v5, s2, v9
	v_add_lshl_u32 v4, v8, v6, 2
	ds_bpermute_b32 v8, v4, v5
	v_cndmask_b32_e64 v5, 0, 2, s[0:1]
	v_add_lshl_u32 v5, v5, v6, 2
	v_cmp_ne_u32_e64 s[0:1], 63, v7
	v_addc_co_u32_e64 v6, s[0:1], 0, v6, s[0:1]
	s_waitcnt lgkmcnt(0)
	v_add_f16_e32 v9, v9, v8
	v_and_or_b32 v8, v8, s2, v9
	ds_bpermute_b32 v8, v5, v8
	v_lshlrev_b32_e32 v6, 2, v6
	v_cmp_eq_u32_e64 s[0:1], 0, v3
	s_waitcnt lgkmcnt(0)
	v_add_f16_e32 v7, v9, v8
	v_and_or_b32 v8, v8, s2, v7
	ds_bpermute_b32 v8, v6, v8
	s_and_saveexec_b64 s[2:3], s[0:1]
	s_cbranch_execz .LBB73_8
; %bb.7:
	s_waitcnt lgkmcnt(0)
	v_add_f16_e32 v3, v7, v8
	v_lshrrev_b32_e32 v7, 5, v0
	v_and_b32_e32 v7, 30, v7
	ds_write_b16 v7, v3
.LBB73_8:
	s_or_b64 exec, exec, s[2:3]
	v_cmp_gt_u32_e64 s[0:1], 16, v0
	v_mov_b32_e32 v3, 0
	s_waitcnt lgkmcnt(0)
	s_barrier
	s_and_saveexec_b64 s[2:3], s[0:1]
	s_cbranch_execnz .LBB73_12
; %bb.9:
	s_or_b64 exec, exec, s[2:3]
	s_and_saveexec_b64 s[0:1], vcc
	s_cbranch_execnz .LBB73_13
.LBB73_10:
	s_or_b64 exec, exec, s[0:1]
	v_cmp_eq_u32_e32 vcc, 0, v0
	s_and_saveexec_b64 s[0:1], vcc
	s_cbranch_execnz .LBB73_14
.LBB73_11:
	s_endpgm
.LBB73_12:
	ds_read_u16 v3, v1
	s_or_b64 exec, exec, s[2:3]
	s_and_saveexec_b64 s[0:1], vcc
	s_cbranch_execz .LBB73_10
.LBB73_13:
	s_waitcnt lgkmcnt(0)
	v_and_b32_e32 v1, 0xffff, v3
	ds_bpermute_b32 v1, v2, v1
	s_mov_b32 s2, 0xffff0000
	s_waitcnt lgkmcnt(0)
	v_add_f16_e32 v2, v3, v1
	v_and_or_b32 v1, v1, s2, v2
	ds_bpermute_b32 v1, v4, v1
	s_waitcnt lgkmcnt(0)
	v_add_f16_e32 v2, v2, v1
	v_and_or_b32 v1, v1, s2, v2
	ds_bpermute_b32 v1, v5, v1
	;; [unrolled: 4-line block ×3, first 2 shown]
	s_waitcnt lgkmcnt(0)
	v_add_f16_e32 v3, v2, v1
	s_or_b64 exec, exec, s[0:1]
	v_cmp_eq_u32_e32 vcc, 0, v0
	s_and_saveexec_b64 s[0:1], vcc
	s_cbranch_execz .LBB73_11
.LBB73_14:
	s_lshl_b64 s[0:1], s[6:7], 1
	s_add_u32 s0, s8, s0
	s_addc_u32 s1, s9, s1
	v_mov_b32_e32 v0, 0
	s_waitcnt lgkmcnt(0)
	global_store_short v0, v3, s[0:1]
	s_endpgm
	.section	.rodata,"a",@progbits
	.p2align	6, 0x0
	.amdhsa_kernel _ZL18rocblas_dot_kernelIiLb1ELi1024ELi32ELb0EDF16_PKPKDF16_DF16_EviT5_lT_lS4_lS5_liPT6_PT4_
		.amdhsa_group_segment_fixed_size 128
		.amdhsa_private_segment_fixed_size 0
		.amdhsa_kernarg_size 352
		.amdhsa_user_sgpr_count 6
		.amdhsa_user_sgpr_private_segment_buffer 1
		.amdhsa_user_sgpr_dispatch_ptr 0
		.amdhsa_user_sgpr_queue_ptr 0
		.amdhsa_user_sgpr_kernarg_segment_ptr 1
		.amdhsa_user_sgpr_dispatch_id 0
		.amdhsa_user_sgpr_flat_scratch_init 0
		.amdhsa_user_sgpr_private_segment_size 0
		.amdhsa_uses_dynamic_stack 0
		.amdhsa_system_sgpr_private_segment_wavefront_offset 0
		.amdhsa_system_sgpr_workgroup_id_x 1
		.amdhsa_system_sgpr_workgroup_id_y 0
		.amdhsa_system_sgpr_workgroup_id_z 1
		.amdhsa_system_sgpr_workgroup_info 0
		.amdhsa_system_vgpr_workitem_id 0
		.amdhsa_next_free_vgpr 11
		.amdhsa_next_free_sgpr 24
		.amdhsa_reserve_vcc 1
		.amdhsa_reserve_flat_scratch 0
		.amdhsa_float_round_mode_32 0
		.amdhsa_float_round_mode_16_64 0
		.amdhsa_float_denorm_mode_32 3
		.amdhsa_float_denorm_mode_16_64 3
		.amdhsa_dx10_clamp 1
		.amdhsa_ieee_mode 1
		.amdhsa_fp16_overflow 0
		.amdhsa_exception_fp_ieee_invalid_op 0
		.amdhsa_exception_fp_denorm_src 0
		.amdhsa_exception_fp_ieee_div_zero 0
		.amdhsa_exception_fp_ieee_overflow 0
		.amdhsa_exception_fp_ieee_underflow 0
		.amdhsa_exception_fp_ieee_inexact 0
		.amdhsa_exception_int_div_zero 0
	.end_amdhsa_kernel
	.section	.text._ZL18rocblas_dot_kernelIiLb1ELi1024ELi32ELb0EDF16_PKPKDF16_DF16_EviT5_lT_lS4_lS5_liPT6_PT4_,"axG",@progbits,_ZL18rocblas_dot_kernelIiLb1ELi1024ELi32ELb0EDF16_PKPKDF16_DF16_EviT5_lT_lS4_lS5_liPT6_PT4_,comdat
.Lfunc_end73:
	.size	_ZL18rocblas_dot_kernelIiLb1ELi1024ELi32ELb0EDF16_PKPKDF16_DF16_EviT5_lT_lS4_lS5_liPT6_PT4_, .Lfunc_end73-_ZL18rocblas_dot_kernelIiLb1ELi1024ELi32ELb0EDF16_PKPKDF16_DF16_EviT5_lT_lS4_lS5_liPT6_PT4_
                                        ; -- End function
	.set _ZL18rocblas_dot_kernelIiLb1ELi1024ELi32ELb0EDF16_PKPKDF16_DF16_EviT5_lT_lS4_lS5_liPT6_PT4_.num_vgpr, 11
	.set _ZL18rocblas_dot_kernelIiLb1ELi1024ELi32ELb0EDF16_PKPKDF16_DF16_EviT5_lT_lS4_lS5_liPT6_PT4_.num_agpr, 0
	.set _ZL18rocblas_dot_kernelIiLb1ELi1024ELi32ELb0EDF16_PKPKDF16_DF16_EviT5_lT_lS4_lS5_liPT6_PT4_.numbered_sgpr, 24
	.set _ZL18rocblas_dot_kernelIiLb1ELi1024ELi32ELb0EDF16_PKPKDF16_DF16_EviT5_lT_lS4_lS5_liPT6_PT4_.num_named_barrier, 0
	.set _ZL18rocblas_dot_kernelIiLb1ELi1024ELi32ELb0EDF16_PKPKDF16_DF16_EviT5_lT_lS4_lS5_liPT6_PT4_.private_seg_size, 0
	.set _ZL18rocblas_dot_kernelIiLb1ELi1024ELi32ELb0EDF16_PKPKDF16_DF16_EviT5_lT_lS4_lS5_liPT6_PT4_.uses_vcc, 1
	.set _ZL18rocblas_dot_kernelIiLb1ELi1024ELi32ELb0EDF16_PKPKDF16_DF16_EviT5_lT_lS4_lS5_liPT6_PT4_.uses_flat_scratch, 0
	.set _ZL18rocblas_dot_kernelIiLb1ELi1024ELi32ELb0EDF16_PKPKDF16_DF16_EviT5_lT_lS4_lS5_liPT6_PT4_.has_dyn_sized_stack, 0
	.set _ZL18rocblas_dot_kernelIiLb1ELi1024ELi32ELb0EDF16_PKPKDF16_DF16_EviT5_lT_lS4_lS5_liPT6_PT4_.has_recursion, 0
	.set _ZL18rocblas_dot_kernelIiLb1ELi1024ELi32ELb0EDF16_PKPKDF16_DF16_EviT5_lT_lS4_lS5_liPT6_PT4_.has_indirect_call, 0
	.section	.AMDGPU.csdata,"",@progbits
; Kernel info:
; codeLenInByte = 988
; TotalNumSgprs: 28
; NumVgprs: 11
; ScratchSize: 0
; MemoryBound: 0
; FloatMode: 240
; IeeeMode: 1
; LDSByteSize: 128 bytes/workgroup (compile time only)
; SGPRBlocks: 3
; VGPRBlocks: 2
; NumSGPRsForWavesPerEU: 28
; NumVGPRsForWavesPerEU: 11
; Occupancy: 10
; WaveLimiterHint : 0
; COMPUTE_PGM_RSRC2:SCRATCH_EN: 0
; COMPUTE_PGM_RSRC2:USER_SGPR: 6
; COMPUTE_PGM_RSRC2:TRAP_HANDLER: 0
; COMPUTE_PGM_RSRC2:TGID_X_EN: 1
; COMPUTE_PGM_RSRC2:TGID_Y_EN: 0
; COMPUTE_PGM_RSRC2:TGID_Z_EN: 1
; COMPUTE_PGM_RSRC2:TIDIG_COMP_CNT: 0
	.section	.text._ZL24rocblas_dot_kernel_magsqIiLb1ELi1024ELi32ELb0EDF16_PKPKDF16_DF16_EviT5_lT_liPT6_PT4_,"axG",@progbits,_ZL24rocblas_dot_kernel_magsqIiLb1ELi1024ELi32ELb0EDF16_PKPKDF16_DF16_EviT5_lT_liPT6_PT4_,comdat
	.globl	_ZL24rocblas_dot_kernel_magsqIiLb1ELi1024ELi32ELb0EDF16_PKPKDF16_DF16_EviT5_lT_liPT6_PT4_ ; -- Begin function _ZL24rocblas_dot_kernel_magsqIiLb1ELi1024ELi32ELb0EDF16_PKPKDF16_DF16_EviT5_lT_liPT6_PT4_
	.p2align	8
	.type	_ZL24rocblas_dot_kernel_magsqIiLb1ELi1024ELi32ELb0EDF16_PKPKDF16_DF16_EviT5_lT_liPT6_PT4_,@function
_ZL24rocblas_dot_kernel_magsqIiLb1ELi1024ELi32ELb0EDF16_PKPKDF16_DF16_EviT5_lT_liPT6_PT4_: ; @_ZL24rocblas_dot_kernel_magsqIiLb1ELi1024ELi32ELb0EDF16_PKPKDF16_DF16_EviT5_lT_liPT6_PT4_
; %bb.0:
	s_mov_b32 s2, s7
	s_load_dword s12, s[4:5], 0x0
	s_load_dwordx2 s[6:7], s[4:5], 0x38
	s_mov_b32 s3, 0
	v_mov_b32_e32 v3, 0
	s_waitcnt lgkmcnt(0)
	v_cmp_gt_i32_e32 vcc, s12, v0
	s_and_saveexec_b64 s[8:9], vcc
	s_cbranch_execz .LBB74_4
; %bb.1:
	s_load_dwordx4 s[16:19], s[4:5], 0x8
	s_lshl_b64 s[0:1], s[2:3], 3
	s_load_dword s10, s[4:5], 0x18
	s_load_dword s11, s[4:5], 0x40
	s_waitcnt lgkmcnt(0)
	s_add_u32 s0, s16, s0
	s_addc_u32 s1, s17, s1
	s_load_dwordx2 s[0:1], s[0:1], 0x0
	v_mad_i64_i32 v[1:2], s[4:5], s10, v0, 0
	s_lshl_b32 s13, s11, 10
	s_lshl_b64 s[4:5], s[18:19], 1
	v_lshlrev_b64 v[1:2], 1, v[1:2]
	s_waitcnt lgkmcnt(0)
	s_add_u32 s0, s0, s4
	s_addc_u32 s1, s1, s5
	v_mov_b32_e32 v3, s1
	v_add_co_u32_e32 v1, vcc, s0, v1
	s_mul_hi_i32 s1, s10, s13
	s_mul_i32 s0, s10, s13
	s_lshl_b64 s[4:5], s[0:1], 1
	v_or_b32_e32 v4, s13, v0
	v_addc_co_u32_e32 v2, vcc, v3, v2, vcc
	v_mov_b32_e32 v3, 0
	s_mov_b64 s[10:11], 0
	v_mov_b32_e32 v5, s5
	s_mov_b32 s5, s3
.LBB74_2:                               ; =>This Inner Loop Header: Depth=1
	flat_load_ushort v6, v[1:2]
	s_add_i32 s14, s5, 1
	v_add_co_u32_e64 v1, s[0:1], s4, v1
	v_addc_co_u32_e64 v2, s[0:1], v2, v5, s[0:1]
	s_cmp_gt_u32 s5, 30
	v_cmp_le_i32_e32 vcc, s12, v4
	s_cselect_b64 s[0:1], -1, 0
	s_or_b64 s[0:1], s[0:1], vcc
	s_and_b64 s[0:1], exec, s[0:1]
	v_add_u32_e32 v4, s13, v4
	s_mov_b32 s5, s14
	s_or_b64 s[10:11], s[0:1], s[10:11]
	s_waitcnt vmcnt(0) lgkmcnt(0)
	v_fma_f16 v3, v6, v6, v3
	s_andn2_b64 exec, exec, s[10:11]
	s_cbranch_execnz .LBB74_2
; %bb.3:
	s_or_b64 exec, exec, s[10:11]
.LBB74_4:
	s_or_b64 exec, exec, s[8:9]
	v_and_b32_e32 v4, 63, v0
	v_cmp_gt_u32_e32 vcc, 64, v0
	v_lshlrev_b32_e32 v1, 1, v4
	s_and_saveexec_b64 s[0:1], vcc
; %bb.5:
	v_mov_b32_e32 v2, 0
	ds_write_b16 v1, v2
; %bb.6:
	s_or_b64 exec, exec, s[0:1]
	v_mbcnt_lo_u32_b32 v2, -1, 0
	v_mbcnt_hi_u32_b32 v6, -1, v2
	v_mov_b32_e32 v5, 0x80
	v_and_b32_e32 v2, 0xffff, v3
	v_lshl_or_b32 v5, v6, 2, v5
	ds_bpermute_b32 v2, v5, v2
	v_and_b32_e32 v7, 63, v6
	v_cmp_gt_u32_e64 s[0:1], 48, v7
	s_mov_b32 s4, 0xffff0000
	v_cndmask_b32_e64 v5, 0, 16, s[0:1]
	s_waitcnt lgkmcnt(0)
	v_add_f16_e32 v3, v3, v2
	v_and_or_b32 v2, v2, s4, v3
	v_add_lshl_u32 v5, v5, v6, 2
	ds_bpermute_b32 v2, v5, v2
	v_cmp_gt_u32_e64 s[0:1], 56, v7
	s_waitcnt lgkmcnt(0)
	s_barrier
	v_add_f16_e32 v3, v3, v2
	v_and_or_b32 v5, v2, s4, v3
	v_cndmask_b32_e64 v2, 0, 8, s[0:1]
	v_add_lshl_u32 v2, v2, v6, 2
	ds_bpermute_b32 v5, v2, v5
	v_cmp_gt_u32_e64 s[0:1], 60, v7
	v_cndmask_b32_e64 v8, 0, 4, s[0:1]
	v_cmp_gt_u32_e64 s[0:1], 62, v7
	s_waitcnt lgkmcnt(0)
	v_add_f16_e32 v9, v3, v5
	v_and_or_b32 v5, v5, s4, v9
	v_add_lshl_u32 v3, v8, v6, 2
	ds_bpermute_b32 v8, v3, v5
	v_cndmask_b32_e64 v5, 0, 2, s[0:1]
	v_add_lshl_u32 v5, v5, v6, 2
	v_cmp_ne_u32_e64 s[0:1], 63, v7
	v_addc_co_u32_e64 v6, s[0:1], 0, v6, s[0:1]
	s_waitcnt lgkmcnt(0)
	v_add_f16_e32 v9, v9, v8
	v_and_or_b32 v8, v8, s4, v9
	ds_bpermute_b32 v8, v5, v8
	v_lshlrev_b32_e32 v6, 2, v6
	v_cmp_eq_u32_e64 s[0:1], 0, v4
	s_waitcnt lgkmcnt(0)
	v_add_f16_e32 v7, v9, v8
	v_and_or_b32 v8, v8, s4, v7
	ds_bpermute_b32 v8, v6, v8
	s_and_saveexec_b64 s[4:5], s[0:1]
	s_cbranch_execz .LBB74_8
; %bb.7:
	s_waitcnt lgkmcnt(0)
	v_add_f16_e32 v4, v7, v8
	v_lshrrev_b32_e32 v7, 5, v0
	v_and_b32_e32 v7, 30, v7
	ds_write_b16 v7, v4
.LBB74_8:
	s_or_b64 exec, exec, s[4:5]
	v_cmp_gt_u32_e64 s[0:1], 16, v0
	v_mov_b32_e32 v4, 0
	s_waitcnt lgkmcnt(0)
	s_barrier
	s_and_saveexec_b64 s[4:5], s[0:1]
	s_cbranch_execnz .LBB74_12
; %bb.9:
	s_or_b64 exec, exec, s[4:5]
	s_and_saveexec_b64 s[0:1], vcc
	s_cbranch_execnz .LBB74_13
.LBB74_10:
	s_or_b64 exec, exec, s[0:1]
	v_cmp_eq_u32_e32 vcc, 0, v0
	s_and_saveexec_b64 s[0:1], vcc
	s_cbranch_execnz .LBB74_14
.LBB74_11:
	s_endpgm
.LBB74_12:
	ds_read_u16 v4, v1
	s_or_b64 exec, exec, s[4:5]
	s_and_saveexec_b64 s[0:1], vcc
	s_cbranch_execz .LBB74_10
.LBB74_13:
	s_waitcnt lgkmcnt(0)
	v_and_b32_e32 v1, 0xffff, v4
	ds_bpermute_b32 v1, v2, v1
	s_mov_b32 s4, 0xffff0000
	s_waitcnt lgkmcnt(0)
	v_add_f16_e32 v2, v4, v1
	v_and_or_b32 v1, v1, s4, v2
	ds_bpermute_b32 v1, v3, v1
	s_waitcnt lgkmcnt(0)
	v_add_f16_e32 v2, v2, v1
	v_and_or_b32 v1, v1, s4, v2
	ds_bpermute_b32 v1, v5, v1
	;; [unrolled: 4-line block ×3, first 2 shown]
	s_waitcnt lgkmcnt(0)
	v_add_f16_e32 v4, v2, v1
	s_or_b64 exec, exec, s[0:1]
	v_cmp_eq_u32_e32 vcc, 0, v0
	s_and_saveexec_b64 s[0:1], vcc
	s_cbranch_execz .LBB74_11
.LBB74_14:
	s_lshl_b64 s[0:1], s[2:3], 1
	s_add_u32 s0, s6, s0
	s_addc_u32 s1, s7, s1
	v_mov_b32_e32 v0, 0
	s_waitcnt lgkmcnt(0)
	global_store_short v0, v4, s[0:1]
	s_endpgm
	.section	.rodata,"a",@progbits
	.p2align	6, 0x0
	.amdhsa_kernel _ZL24rocblas_dot_kernel_magsqIiLb1ELi1024ELi32ELb0EDF16_PKPKDF16_DF16_EviT5_lT_liPT6_PT4_
		.amdhsa_group_segment_fixed_size 128
		.amdhsa_private_segment_fixed_size 0
		.amdhsa_kernarg_size 320
		.amdhsa_user_sgpr_count 6
		.amdhsa_user_sgpr_private_segment_buffer 1
		.amdhsa_user_sgpr_dispatch_ptr 0
		.amdhsa_user_sgpr_queue_ptr 0
		.amdhsa_user_sgpr_kernarg_segment_ptr 1
		.amdhsa_user_sgpr_dispatch_id 0
		.amdhsa_user_sgpr_flat_scratch_init 0
		.amdhsa_user_sgpr_private_segment_size 0
		.amdhsa_uses_dynamic_stack 0
		.amdhsa_system_sgpr_private_segment_wavefront_offset 0
		.amdhsa_system_sgpr_workgroup_id_x 1
		.amdhsa_system_sgpr_workgroup_id_y 0
		.amdhsa_system_sgpr_workgroup_id_z 1
		.amdhsa_system_sgpr_workgroup_info 0
		.amdhsa_system_vgpr_workitem_id 0
		.amdhsa_next_free_vgpr 10
		.amdhsa_next_free_sgpr 20
		.amdhsa_reserve_vcc 1
		.amdhsa_reserve_flat_scratch 0
		.amdhsa_float_round_mode_32 0
		.amdhsa_float_round_mode_16_64 0
		.amdhsa_float_denorm_mode_32 3
		.amdhsa_float_denorm_mode_16_64 3
		.amdhsa_dx10_clamp 1
		.amdhsa_ieee_mode 1
		.amdhsa_fp16_overflow 0
		.amdhsa_exception_fp_ieee_invalid_op 0
		.amdhsa_exception_fp_denorm_src 0
		.amdhsa_exception_fp_ieee_div_zero 0
		.amdhsa_exception_fp_ieee_overflow 0
		.amdhsa_exception_fp_ieee_underflow 0
		.amdhsa_exception_fp_ieee_inexact 0
		.amdhsa_exception_int_div_zero 0
	.end_amdhsa_kernel
	.section	.text._ZL24rocblas_dot_kernel_magsqIiLb1ELi1024ELi32ELb0EDF16_PKPKDF16_DF16_EviT5_lT_liPT6_PT4_,"axG",@progbits,_ZL24rocblas_dot_kernel_magsqIiLb1ELi1024ELi32ELb0EDF16_PKPKDF16_DF16_EviT5_lT_liPT6_PT4_,comdat
.Lfunc_end74:
	.size	_ZL24rocblas_dot_kernel_magsqIiLb1ELi1024ELi32ELb0EDF16_PKPKDF16_DF16_EviT5_lT_liPT6_PT4_, .Lfunc_end74-_ZL24rocblas_dot_kernel_magsqIiLb1ELi1024ELi32ELb0EDF16_PKPKDF16_DF16_EviT5_lT_liPT6_PT4_
                                        ; -- End function
	.set _ZL24rocblas_dot_kernel_magsqIiLb1ELi1024ELi32ELb0EDF16_PKPKDF16_DF16_EviT5_lT_liPT6_PT4_.num_vgpr, 10
	.set _ZL24rocblas_dot_kernel_magsqIiLb1ELi1024ELi32ELb0EDF16_PKPKDF16_DF16_EviT5_lT_liPT6_PT4_.num_agpr, 0
	.set _ZL24rocblas_dot_kernel_magsqIiLb1ELi1024ELi32ELb0EDF16_PKPKDF16_DF16_EviT5_lT_liPT6_PT4_.numbered_sgpr, 20
	.set _ZL24rocblas_dot_kernel_magsqIiLb1ELi1024ELi32ELb0EDF16_PKPKDF16_DF16_EviT5_lT_liPT6_PT4_.num_named_barrier, 0
	.set _ZL24rocblas_dot_kernel_magsqIiLb1ELi1024ELi32ELb0EDF16_PKPKDF16_DF16_EviT5_lT_liPT6_PT4_.private_seg_size, 0
	.set _ZL24rocblas_dot_kernel_magsqIiLb1ELi1024ELi32ELb0EDF16_PKPKDF16_DF16_EviT5_lT_liPT6_PT4_.uses_vcc, 1
	.set _ZL24rocblas_dot_kernel_magsqIiLb1ELi1024ELi32ELb0EDF16_PKPKDF16_DF16_EviT5_lT_liPT6_PT4_.uses_flat_scratch, 0
	.set _ZL24rocblas_dot_kernel_magsqIiLb1ELi1024ELi32ELb0EDF16_PKPKDF16_DF16_EviT5_lT_liPT6_PT4_.has_dyn_sized_stack, 0
	.set _ZL24rocblas_dot_kernel_magsqIiLb1ELi1024ELi32ELb0EDF16_PKPKDF16_DF16_EviT5_lT_liPT6_PT4_.has_recursion, 0
	.set _ZL24rocblas_dot_kernel_magsqIiLb1ELi1024ELi32ELb0EDF16_PKPKDF16_DF16_EviT5_lT_liPT6_PT4_.has_indirect_call, 0
	.section	.AMDGPU.csdata,"",@progbits
; Kernel info:
; codeLenInByte = 872
; TotalNumSgprs: 24
; NumVgprs: 10
; ScratchSize: 0
; MemoryBound: 0
; FloatMode: 240
; IeeeMode: 1
; LDSByteSize: 128 bytes/workgroup (compile time only)
; SGPRBlocks: 2
; VGPRBlocks: 2
; NumSGPRsForWavesPerEU: 24
; NumVGPRsForWavesPerEU: 10
; Occupancy: 10
; WaveLimiterHint : 0
; COMPUTE_PGM_RSRC2:SCRATCH_EN: 0
; COMPUTE_PGM_RSRC2:USER_SGPR: 6
; COMPUTE_PGM_RSRC2:TRAP_HANDLER: 0
; COMPUTE_PGM_RSRC2:TGID_X_EN: 1
; COMPUTE_PGM_RSRC2:TGID_Y_EN: 0
; COMPUTE_PGM_RSRC2:TGID_Z_EN: 1
; COMPUTE_PGM_RSRC2:TIDIG_COMP_CNT: 0
	.section	.text._ZL23rocblas_dot_kernel_inc1ILb0ELi512ELi8ELb0EDF16_PKPKDF16_DF16_EviT4_llS4_lliPT5_PT3_,"axG",@progbits,_ZL23rocblas_dot_kernel_inc1ILb0ELi512ELi8ELb0EDF16_PKPKDF16_DF16_EviT4_llS4_lliPT5_PT3_,comdat
	.globl	_ZL23rocblas_dot_kernel_inc1ILb0ELi512ELi8ELb0EDF16_PKPKDF16_DF16_EviT4_llS4_lliPT5_PT3_ ; -- Begin function _ZL23rocblas_dot_kernel_inc1ILb0ELi512ELi8ELb0EDF16_PKPKDF16_DF16_EviT4_llS4_lliPT5_PT3_
	.p2align	8
	.type	_ZL23rocblas_dot_kernel_inc1ILb0ELi512ELi8ELb0EDF16_PKPKDF16_DF16_EviT4_llS4_lliPT5_PT3_,@function
_ZL23rocblas_dot_kernel_inc1ILb0ELi512ELi8ELb0EDF16_PKPKDF16_DF16_EviT4_llS4_lliPT5_PT3_: ; @_ZL23rocblas_dot_kernel_inc1ILb0ELi512ELi8ELb0EDF16_PKPKDF16_DF16_EviT4_llS4_lliPT5_PT3_
; %bb.0:
	s_mov_b32 s2, s7
	s_load_dword s18, s[4:5], 0x50
	s_load_dword s7, s[4:5], 0x0
	s_load_dwordx4 s[8:11], s[4:5], 0x40
	v_lshl_or_b32 v3, s6, 9, v0
	s_mov_b32 s3, 0
	v_mov_b32_e32 v5, 0
	s_waitcnt lgkmcnt(0)
	v_cmp_gt_i32_e32 vcc, s7, v3
	s_and_saveexec_b64 s[12:13], vcc
	s_cbranch_execz .LBB75_4
; %bb.1:
	s_load_dwordx4 s[20:23], s[4:5], 0x8
	s_load_dwordx4 s[24:27], s[4:5], 0x20
	s_lshl_b64 s[0:1], s[2:3], 3
	v_ashrrev_i32_e32 v4, 31, v3
	v_lshlrev_b64 v[1:2], 1, v[3:4]
	s_waitcnt lgkmcnt(0)
	s_add_u32 s4, s20, s0
	s_addc_u32 s5, s21, s1
	s_load_dwordx2 s[4:5], s[4:5], 0x0
	s_lshl_b64 s[14:15], s[22:23], 1
	v_mov_b32_e32 v5, 0
	s_waitcnt lgkmcnt(0)
	s_add_u32 s19, s4, s14
	s_addc_u32 s14, s5, s15
	s_add_u32 s0, s24, s0
	s_addc_u32 s1, s25, s1
	s_load_dwordx2 s[0:1], s[0:1], 0x0
	v_mov_b32_e32 v4, s14
	s_lshl_b64 s[14:15], s[26:27], 1
	s_mov_b64 s[4:5], 0
	s_waitcnt lgkmcnt(0)
	s_add_u32 s20, s0, s14
	s_addc_u32 s0, s1, s15
	s_lshl_b32 s14, s18, 9
	s_ashr_i32 s15, s14, 31
	s_lshl_b64 s[16:17], s[14:15], 1
	v_add_u32_e32 v3, s14, v3
	v_mov_b32_e32 v6, s0
	v_mov_b32_e32 v7, s17
	s_mov_b32 s15, s3
.LBB75_2:                               ; =>This Inner Loop Header: Depth=1
	v_add_co_u32_e32 v8, vcc, s20, v1
	v_addc_co_u32_e32 v9, vcc, v6, v2, vcc
	v_add_co_u32_e32 v10, vcc, s19, v1
	v_addc_co_u32_e32 v11, vcc, v4, v2, vcc
	flat_load_ushort v12, v[8:9]
	flat_load_ushort v13, v[10:11]
	s_add_i32 s17, s15, 1
	v_add_co_u32_e64 v1, s[0:1], s16, v1
	v_addc_co_u32_e64 v2, s[0:1], v2, v7, s[0:1]
	s_cmp_gt_u32 s15, 6
	v_cmp_le_i32_e32 vcc, s7, v3
	s_cselect_b64 s[0:1], -1, 0
	s_or_b64 s[0:1], s[0:1], vcc
	s_and_b64 s[0:1], exec, s[0:1]
	v_add_u32_e32 v3, s14, v3
	s_mov_b32 s15, s17
	s_or_b64 s[4:5], s[0:1], s[4:5]
	s_waitcnt vmcnt(0) lgkmcnt(0)
	v_fma_f16 v5, v12, v13, v5
	s_andn2_b64 exec, exec, s[4:5]
	s_cbranch_execnz .LBB75_2
; %bb.3:
	s_or_b64 exec, exec, s[4:5]
.LBB75_4:
	s_or_b64 exec, exec, s[12:13]
	v_and_b32_e32 v2, 63, v0
	v_cmp_gt_u32_e32 vcc, 64, v0
	v_lshlrev_b32_e32 v1, 1, v2
	s_and_saveexec_b64 s[0:1], vcc
; %bb.5:
	v_mov_b32_e32 v3, 0
	ds_write_b16 v1, v3
; %bb.6:
	s_or_b64 exec, exec, s[0:1]
	v_mbcnt_lo_u32_b32 v3, -1, 0
	v_mbcnt_hi_u32_b32 v6, -1, v3
	v_mov_b32_e32 v4, 0x80
	v_and_b32_e32 v3, 0xffff, v5
	v_lshl_or_b32 v4, v6, 2, v4
	ds_bpermute_b32 v3, v4, v3
	v_and_b32_e32 v7, 63, v6
	v_cmp_gt_u32_e64 s[0:1], 48, v7
	s_mov_b32 s4, 0xffff0000
	s_waitcnt lgkmcnt(0)
	v_add_f16_e32 v4, v5, v3
	v_cndmask_b32_e64 v5, 0, 16, s[0:1]
	v_and_or_b32 v3, v3, s4, v4
	v_add_lshl_u32 v5, v5, v6, 2
	ds_bpermute_b32 v3, v5, v3
	v_cmp_gt_u32_e64 s[0:1], 56, v7
	v_cndmask_b32_e64 v5, 0, 8, s[0:1]
	v_add_lshl_u32 v5, v5, v6, 2
	v_cmp_gt_u32_e64 s[0:1], 60, v7
	s_waitcnt lgkmcnt(0)
	v_add_f16_e32 v4, v4, v3
	v_and_or_b32 v3, v3, s4, v4
	ds_bpermute_b32 v3, v5, v3
	v_cndmask_b32_e64 v5, 0, 4, s[0:1]
	v_cmp_gt_u32_e64 s[0:1], 62, v7
	s_waitcnt lgkmcnt(0)
	s_barrier
	v_add_f16_e32 v8, v4, v3
	v_and_or_b32 v4, v3, s4, v8
	v_add_lshl_u32 v3, v5, v6, 2
	ds_bpermute_b32 v5, v3, v4
	v_cndmask_b32_e64 v4, 0, 2, s[0:1]
	v_add_lshl_u32 v4, v4, v6, 2
	v_cmp_ne_u32_e64 s[0:1], 63, v7
	v_addc_co_u32_e64 v7, s[0:1], 0, v6, s[0:1]
	s_waitcnt lgkmcnt(0)
	v_add_f16_e32 v8, v8, v5
	v_and_or_b32 v5, v5, s4, v8
	ds_bpermute_b32 v5, v4, v5
	v_cmp_eq_u32_e64 s[0:1], 0, v2
	s_waitcnt lgkmcnt(0)
	v_add_f16_e32 v6, v8, v5
	v_and_or_b32 v8, v5, s4, v6
	v_lshlrev_b32_e32 v5, 2, v7
	ds_bpermute_b32 v7, v5, v8
	s_and_saveexec_b64 s[4:5], s[0:1]
	s_cbranch_execz .LBB75_8
; %bb.7:
	s_waitcnt lgkmcnt(0)
	v_add_f16_e32 v2, v6, v7
	v_lshrrev_b32_e32 v6, 5, v0
	v_and_b32_e32 v6, 14, v6
	ds_write_b16 v6, v2
.LBB75_8:
	s_or_b64 exec, exec, s[4:5]
	v_cmp_gt_u32_e64 s[0:1], 8, v0
	v_mov_b32_e32 v2, 0
	s_waitcnt lgkmcnt(0)
	s_barrier
	s_and_saveexec_b64 s[4:5], s[0:1]
	s_cbranch_execnz .LBB75_12
; %bb.9:
	s_or_b64 exec, exec, s[4:5]
	s_and_saveexec_b64 s[0:1], vcc
	s_cbranch_execnz .LBB75_13
.LBB75_10:
	s_or_b64 exec, exec, s[0:1]
	v_cmp_eq_u32_e32 vcc, 0, v0
	s_and_saveexec_b64 s[0:1], vcc
	s_cbranch_execnz .LBB75_14
.LBB75_11:
	s_endpgm
.LBB75_12:
	ds_read_u16 v2, v1
	s_or_b64 exec, exec, s[4:5]
	s_and_saveexec_b64 s[0:1], vcc
	s_cbranch_execz .LBB75_10
.LBB75_13:
	s_waitcnt lgkmcnt(0)
	v_and_b32_e32 v1, 0xffff, v2
	ds_bpermute_b32 v1, v3, v1
	s_mov_b32 s4, 0xffff0000
	s_waitcnt lgkmcnt(0)
	v_add_f16_e32 v2, v2, v1
	v_and_or_b32 v1, v1, s4, v2
	ds_bpermute_b32 v1, v4, v1
	s_waitcnt lgkmcnt(0)
	v_add_f16_e32 v2, v2, v1
	v_and_or_b32 v1, v1, s4, v2
	ds_bpermute_b32 v1, v5, v1
	s_waitcnt lgkmcnt(0)
	v_add_f16_e32 v2, v2, v1
	s_or_b64 exec, exec, s[0:1]
	v_cmp_eq_u32_e32 vcc, 0, v0
	s_and_saveexec_b64 s[0:1], vcc
	s_cbranch_execz .LBB75_11
.LBB75_14:
	s_cmp_lg_u32 s18, 1
	s_mov_b64 s[0:1], -1
	s_cbranch_scc0 .LBB75_16
; %bb.15:
	s_mul_hi_u32 s1, s18, s2
	s_mul_i32 s0, s18, s2
	s_lshl_b64 s[0:1], s[0:1], 1
	s_mov_b32 s7, 0
	s_add_u32 s4, s8, s0
	s_addc_u32 s5, s9, s1
	s_lshl_b64 s[0:1], s[6:7], 1
	s_add_u32 s0, s4, s0
	s_addc_u32 s1, s5, s1
	v_mov_b32_e32 v0, 0
	s_waitcnt lgkmcnt(0)
	global_store_short v0, v2, s[0:1]
	s_mov_b64 s[0:1], 0
.LBB75_16:
	s_andn2_b64 vcc, exec, s[0:1]
	s_cbranch_vccnz .LBB75_11
; %bb.17:
	s_lshl_b64 s[0:1], s[2:3], 1
	s_add_u32 s0, s10, s0
	s_addc_u32 s1, s11, s1
	v_mov_b32_e32 v0, 0
	s_waitcnt lgkmcnt(0)
	global_store_short v0, v2, s[0:1]
	s_endpgm
	.section	.rodata,"a",@progbits
	.p2align	6, 0x0
	.amdhsa_kernel _ZL23rocblas_dot_kernel_inc1ILb0ELi512ELi8ELb0EDF16_PKPKDF16_DF16_EviT4_llS4_lliPT5_PT3_
		.amdhsa_group_segment_fixed_size 128
		.amdhsa_private_segment_fixed_size 0
		.amdhsa_kernarg_size 336
		.amdhsa_user_sgpr_count 6
		.amdhsa_user_sgpr_private_segment_buffer 1
		.amdhsa_user_sgpr_dispatch_ptr 0
		.amdhsa_user_sgpr_queue_ptr 0
		.amdhsa_user_sgpr_kernarg_segment_ptr 1
		.amdhsa_user_sgpr_dispatch_id 0
		.amdhsa_user_sgpr_flat_scratch_init 0
		.amdhsa_user_sgpr_private_segment_size 0
		.amdhsa_uses_dynamic_stack 0
		.amdhsa_system_sgpr_private_segment_wavefront_offset 0
		.amdhsa_system_sgpr_workgroup_id_x 1
		.amdhsa_system_sgpr_workgroup_id_y 0
		.amdhsa_system_sgpr_workgroup_id_z 1
		.amdhsa_system_sgpr_workgroup_info 0
		.amdhsa_system_vgpr_workitem_id 0
		.amdhsa_next_free_vgpr 14
		.amdhsa_next_free_sgpr 28
		.amdhsa_reserve_vcc 1
		.amdhsa_reserve_flat_scratch 0
		.amdhsa_float_round_mode_32 0
		.amdhsa_float_round_mode_16_64 0
		.amdhsa_float_denorm_mode_32 3
		.amdhsa_float_denorm_mode_16_64 3
		.amdhsa_dx10_clamp 1
		.amdhsa_ieee_mode 1
		.amdhsa_fp16_overflow 0
		.amdhsa_exception_fp_ieee_invalid_op 0
		.amdhsa_exception_fp_denorm_src 0
		.amdhsa_exception_fp_ieee_div_zero 0
		.amdhsa_exception_fp_ieee_overflow 0
		.amdhsa_exception_fp_ieee_underflow 0
		.amdhsa_exception_fp_ieee_inexact 0
		.amdhsa_exception_int_div_zero 0
	.end_amdhsa_kernel
	.section	.text._ZL23rocblas_dot_kernel_inc1ILb0ELi512ELi8ELb0EDF16_PKPKDF16_DF16_EviT4_llS4_lliPT5_PT3_,"axG",@progbits,_ZL23rocblas_dot_kernel_inc1ILb0ELi512ELi8ELb0EDF16_PKPKDF16_DF16_EviT4_llS4_lliPT5_PT3_,comdat
.Lfunc_end75:
	.size	_ZL23rocblas_dot_kernel_inc1ILb0ELi512ELi8ELb0EDF16_PKPKDF16_DF16_EviT4_llS4_lliPT5_PT3_, .Lfunc_end75-_ZL23rocblas_dot_kernel_inc1ILb0ELi512ELi8ELb0EDF16_PKPKDF16_DF16_EviT4_llS4_lliPT5_PT3_
                                        ; -- End function
	.set _ZL23rocblas_dot_kernel_inc1ILb0ELi512ELi8ELb0EDF16_PKPKDF16_DF16_EviT4_llS4_lliPT5_PT3_.num_vgpr, 14
	.set _ZL23rocblas_dot_kernel_inc1ILb0ELi512ELi8ELb0EDF16_PKPKDF16_DF16_EviT4_llS4_lliPT5_PT3_.num_agpr, 0
	.set _ZL23rocblas_dot_kernel_inc1ILb0ELi512ELi8ELb0EDF16_PKPKDF16_DF16_EviT4_llS4_lliPT5_PT3_.numbered_sgpr, 28
	.set _ZL23rocblas_dot_kernel_inc1ILb0ELi512ELi8ELb0EDF16_PKPKDF16_DF16_EviT4_llS4_lliPT5_PT3_.num_named_barrier, 0
	.set _ZL23rocblas_dot_kernel_inc1ILb0ELi512ELi8ELb0EDF16_PKPKDF16_DF16_EviT4_llS4_lliPT5_PT3_.private_seg_size, 0
	.set _ZL23rocblas_dot_kernel_inc1ILb0ELi512ELi8ELb0EDF16_PKPKDF16_DF16_EviT4_llS4_lliPT5_PT3_.uses_vcc, 1
	.set _ZL23rocblas_dot_kernel_inc1ILb0ELi512ELi8ELb0EDF16_PKPKDF16_DF16_EviT4_llS4_lliPT5_PT3_.uses_flat_scratch, 0
	.set _ZL23rocblas_dot_kernel_inc1ILb0ELi512ELi8ELb0EDF16_PKPKDF16_DF16_EviT4_llS4_lliPT5_PT3_.has_dyn_sized_stack, 0
	.set _ZL23rocblas_dot_kernel_inc1ILb0ELi512ELi8ELb0EDF16_PKPKDF16_DF16_EviT4_llS4_lliPT5_PT3_.has_recursion, 0
	.set _ZL23rocblas_dot_kernel_inc1ILb0ELi512ELi8ELb0EDF16_PKPKDF16_DF16_EviT4_llS4_lliPT5_PT3_.has_indirect_call, 0
	.section	.AMDGPU.csdata,"",@progbits
; Kernel info:
; codeLenInByte = 976
; TotalNumSgprs: 32
; NumVgprs: 14
; ScratchSize: 0
; MemoryBound: 0
; FloatMode: 240
; IeeeMode: 1
; LDSByteSize: 128 bytes/workgroup (compile time only)
; SGPRBlocks: 3
; VGPRBlocks: 3
; NumSGPRsForWavesPerEU: 32
; NumVGPRsForWavesPerEU: 14
; Occupancy: 10
; WaveLimiterHint : 1
; COMPUTE_PGM_RSRC2:SCRATCH_EN: 0
; COMPUTE_PGM_RSRC2:USER_SGPR: 6
; COMPUTE_PGM_RSRC2:TRAP_HANDLER: 0
; COMPUTE_PGM_RSRC2:TGID_X_EN: 1
; COMPUTE_PGM_RSRC2:TGID_Y_EN: 0
; COMPUTE_PGM_RSRC2:TGID_Z_EN: 1
; COMPUTE_PGM_RSRC2:TIDIG_COMP_CNT: 0
	.section	.text._ZL18rocblas_dot_kernelIiLb0ELi512ELi8ELb0EDF16_PKPKDF16_DF16_EviT5_lT_lS4_lS5_liPT6_PT4_,"axG",@progbits,_ZL18rocblas_dot_kernelIiLb0ELi512ELi8ELb0EDF16_PKPKDF16_DF16_EviT5_lT_lS4_lS5_liPT6_PT4_,comdat
	.globl	_ZL18rocblas_dot_kernelIiLb0ELi512ELi8ELb0EDF16_PKPKDF16_DF16_EviT5_lT_lS4_lS5_liPT6_PT4_ ; -- Begin function _ZL18rocblas_dot_kernelIiLb0ELi512ELi8ELb0EDF16_PKPKDF16_DF16_EviT5_lT_lS4_lS5_liPT6_PT4_
	.p2align	8
	.type	_ZL18rocblas_dot_kernelIiLb0ELi512ELi8ELb0EDF16_PKPKDF16_DF16_EviT5_lT_lS4_lS5_liPT6_PT4_,@function
_ZL18rocblas_dot_kernelIiLb0ELi512ELi8ELb0EDF16_PKPKDF16_DF16_EviT5_lT_lS4_lS5_liPT6_PT4_: ; @_ZL18rocblas_dot_kernelIiLb0ELi512ELi8ELb0EDF16_PKPKDF16_DF16_EviT5_lT_lS4_lS5_liPT6_PT4_
; %bb.0:
	s_mov_b32 s2, s7
	s_load_dword s18, s[4:5], 0x60
	s_load_dword s7, s[4:5], 0x0
	s_load_dwordx4 s[8:11], s[4:5], 0x50
	v_lshl_or_b32 v3, s6, 9, v0
	s_mov_b32 s3, 0
	v_mov_b32_e32 v5, 0
	s_waitcnt lgkmcnt(0)
	v_cmp_gt_i32_e32 vcc, s7, v3
	s_and_saveexec_b64 s[12:13], vcc
	s_cbranch_execz .LBB76_4
; %bb.1:
	s_load_dwordx4 s[20:23], s[4:5], 0x8
	s_load_dword s16, s[4:5], 0x18
	s_load_dwordx4 s[24:27], s[4:5], 0x28
	s_load_dword s17, s[4:5], 0x38
	s_lshl_b64 s[0:1], s[2:3], 3
	s_waitcnt lgkmcnt(0)
	s_add_u32 s4, s20, s0
	s_addc_u32 s5, s21, s1
	s_load_dwordx2 s[4:5], s[4:5], 0x0
	v_mad_i64_i32 v[1:2], s[14:15], s16, v3, 0
	s_add_u32 s0, s24, s0
	s_addc_u32 s1, s25, s1
	s_lshl_b32 s19, s18, 9
	s_lshl_b64 s[14:15], s[22:23], 1
	v_lshlrev_b64 v[1:2], 1, v[1:2]
	s_waitcnt lgkmcnt(0)
	s_add_u32 s4, s4, s14
	s_addc_u32 s5, s5, s15
	s_load_dwordx2 s[0:1], s[0:1], 0x0
	v_mov_b32_e32 v4, s5
	v_add_co_u32_e32 v1, vcc, s4, v1
	v_add_u32_e32 v6, s19, v3
	v_addc_co_u32_e32 v2, vcc, v4, v2, vcc
	v_mad_i64_i32 v[3:4], s[4:5], s17, v3, 0
	s_mul_hi_i32 s5, s16, s19
	s_mul_i32 s4, s16, s19
	s_lshl_b64 s[4:5], s[4:5], 1
	s_lshl_b64 s[14:15], s[26:27], 1
	v_lshlrev_b64 v[3:4], 1, v[3:4]
	s_waitcnt lgkmcnt(0)
	s_add_u32 s0, s0, s14
	s_addc_u32 s1, s1, s15
	v_mov_b32_e32 v5, s1
	v_add_co_u32_e32 v3, vcc, s0, v3
	s_mul_hi_i32 s1, s17, s19
	s_mul_i32 s0, s17, s19
	s_lshl_b64 s[14:15], s[0:1], 1
	v_addc_co_u32_e32 v4, vcc, v5, v4, vcc
	v_mov_b32_e32 v5, 0
	s_mov_b64 s[16:17], 0
	v_mov_b32_e32 v7, s5
	v_mov_b32_e32 v8, s15
	s_mov_b32 s5, s3
.LBB76_2:                               ; =>This Inner Loop Header: Depth=1
	flat_load_ushort v9, v[3:4]
	flat_load_ushort v10, v[1:2]
	v_add_co_u32_e64 v1, s[0:1], s4, v1
	v_addc_co_u32_e64 v2, s[0:1], v2, v7, s[0:1]
	s_add_i32 s15, s5, 1
	v_add_co_u32_e64 v3, s[0:1], s14, v3
	v_addc_co_u32_e64 v4, s[0:1], v4, v8, s[0:1]
	s_cmp_gt_u32 s5, 6
	v_cmp_le_i32_e32 vcc, s7, v6
	s_cselect_b64 s[0:1], -1, 0
	s_or_b64 s[0:1], s[0:1], vcc
	s_and_b64 s[0:1], exec, s[0:1]
	v_add_u32_e32 v6, s19, v6
	s_mov_b32 s5, s15
	s_or_b64 s[16:17], s[0:1], s[16:17]
	s_waitcnt vmcnt(0) lgkmcnt(0)
	v_fma_f16 v5, v9, v10, v5
	s_andn2_b64 exec, exec, s[16:17]
	s_cbranch_execnz .LBB76_2
; %bb.3:
	s_or_b64 exec, exec, s[16:17]
.LBB76_4:
	s_or_b64 exec, exec, s[12:13]
	v_and_b32_e32 v2, 63, v0
	v_cmp_gt_u32_e32 vcc, 64, v0
	v_lshlrev_b32_e32 v1, 1, v2
	s_and_saveexec_b64 s[0:1], vcc
; %bb.5:
	v_mov_b32_e32 v3, 0
	ds_write_b16 v1, v3
; %bb.6:
	s_or_b64 exec, exec, s[0:1]
	v_mbcnt_lo_u32_b32 v3, -1, 0
	v_mbcnt_hi_u32_b32 v6, -1, v3
	v_mov_b32_e32 v4, 0x80
	v_and_b32_e32 v3, 0xffff, v5
	v_lshl_or_b32 v4, v6, 2, v4
	ds_bpermute_b32 v3, v4, v3
	v_and_b32_e32 v7, 63, v6
	v_cmp_gt_u32_e64 s[0:1], 48, v7
	s_mov_b32 s4, 0xffff0000
	s_waitcnt lgkmcnt(0)
	v_add_f16_e32 v4, v5, v3
	v_cndmask_b32_e64 v5, 0, 16, s[0:1]
	v_and_or_b32 v3, v3, s4, v4
	v_add_lshl_u32 v5, v5, v6, 2
	ds_bpermute_b32 v3, v5, v3
	v_cmp_gt_u32_e64 s[0:1], 56, v7
	v_cndmask_b32_e64 v5, 0, 8, s[0:1]
	v_add_lshl_u32 v5, v5, v6, 2
	v_cmp_gt_u32_e64 s[0:1], 60, v7
	s_waitcnt lgkmcnt(0)
	v_add_f16_e32 v4, v4, v3
	v_and_or_b32 v3, v3, s4, v4
	ds_bpermute_b32 v3, v5, v3
	v_cndmask_b32_e64 v5, 0, 4, s[0:1]
	v_cmp_gt_u32_e64 s[0:1], 62, v7
	s_waitcnt lgkmcnt(0)
	s_barrier
	v_add_f16_e32 v8, v4, v3
	v_and_or_b32 v4, v3, s4, v8
	v_add_lshl_u32 v3, v5, v6, 2
	ds_bpermute_b32 v5, v3, v4
	v_cndmask_b32_e64 v4, 0, 2, s[0:1]
	v_add_lshl_u32 v4, v4, v6, 2
	v_cmp_ne_u32_e64 s[0:1], 63, v7
	v_addc_co_u32_e64 v7, s[0:1], 0, v6, s[0:1]
	s_waitcnt lgkmcnt(0)
	v_add_f16_e32 v8, v8, v5
	v_and_or_b32 v5, v5, s4, v8
	ds_bpermute_b32 v5, v4, v5
	v_cmp_eq_u32_e64 s[0:1], 0, v2
	s_waitcnt lgkmcnt(0)
	v_add_f16_e32 v6, v8, v5
	v_and_or_b32 v8, v5, s4, v6
	v_lshlrev_b32_e32 v5, 2, v7
	ds_bpermute_b32 v7, v5, v8
	s_and_saveexec_b64 s[4:5], s[0:1]
	s_cbranch_execz .LBB76_8
; %bb.7:
	s_waitcnt lgkmcnt(0)
	v_add_f16_e32 v2, v6, v7
	v_lshrrev_b32_e32 v6, 5, v0
	v_and_b32_e32 v6, 14, v6
	ds_write_b16 v6, v2
.LBB76_8:
	s_or_b64 exec, exec, s[4:5]
	v_cmp_gt_u32_e64 s[0:1], 8, v0
	v_mov_b32_e32 v2, 0
	s_waitcnt lgkmcnt(0)
	s_barrier
	s_and_saveexec_b64 s[4:5], s[0:1]
	s_cbranch_execnz .LBB76_12
; %bb.9:
	s_or_b64 exec, exec, s[4:5]
	s_and_saveexec_b64 s[0:1], vcc
	s_cbranch_execnz .LBB76_13
.LBB76_10:
	s_or_b64 exec, exec, s[0:1]
	v_cmp_eq_u32_e32 vcc, 0, v0
	s_and_saveexec_b64 s[0:1], vcc
	s_cbranch_execnz .LBB76_14
.LBB76_11:
	s_endpgm
.LBB76_12:
	ds_read_u16 v2, v1
	s_or_b64 exec, exec, s[4:5]
	s_and_saveexec_b64 s[0:1], vcc
	s_cbranch_execz .LBB76_10
.LBB76_13:
	s_waitcnt lgkmcnt(0)
	v_and_b32_e32 v1, 0xffff, v2
	ds_bpermute_b32 v1, v3, v1
	s_mov_b32 s4, 0xffff0000
	s_waitcnt lgkmcnt(0)
	v_add_f16_e32 v2, v2, v1
	v_and_or_b32 v1, v1, s4, v2
	ds_bpermute_b32 v1, v4, v1
	s_waitcnt lgkmcnt(0)
	v_add_f16_e32 v2, v2, v1
	v_and_or_b32 v1, v1, s4, v2
	ds_bpermute_b32 v1, v5, v1
	s_waitcnt lgkmcnt(0)
	v_add_f16_e32 v2, v2, v1
	s_or_b64 exec, exec, s[0:1]
	v_cmp_eq_u32_e32 vcc, 0, v0
	s_and_saveexec_b64 s[0:1], vcc
	s_cbranch_execz .LBB76_11
.LBB76_14:
	s_cmp_lg_u32 s18, 1
	s_mov_b64 s[0:1], -1
	s_cbranch_scc0 .LBB76_16
; %bb.15:
	s_mul_hi_u32 s1, s18, s2
	s_mul_i32 s0, s18, s2
	s_lshl_b64 s[0:1], s[0:1], 1
	s_mov_b32 s7, 0
	s_add_u32 s4, s8, s0
	s_addc_u32 s5, s9, s1
	s_lshl_b64 s[0:1], s[6:7], 1
	s_add_u32 s0, s4, s0
	s_addc_u32 s1, s5, s1
	v_mov_b32_e32 v0, 0
	s_waitcnt lgkmcnt(0)
	global_store_short v0, v2, s[0:1]
	s_mov_b64 s[0:1], 0
.LBB76_16:
	s_andn2_b64 vcc, exec, s[0:1]
	s_cbranch_vccnz .LBB76_11
; %bb.17:
	s_lshl_b64 s[0:1], s[2:3], 1
	s_add_u32 s0, s10, s0
	s_addc_u32 s1, s11, s1
	v_mov_b32_e32 v0, 0
	s_waitcnt lgkmcnt(0)
	global_store_short v0, v2, s[0:1]
	s_endpgm
	.section	.rodata,"a",@progbits
	.p2align	6, 0x0
	.amdhsa_kernel _ZL18rocblas_dot_kernelIiLb0ELi512ELi8ELb0EDF16_PKPKDF16_DF16_EviT5_lT_lS4_lS5_liPT6_PT4_
		.amdhsa_group_segment_fixed_size 128
		.amdhsa_private_segment_fixed_size 0
		.amdhsa_kernarg_size 352
		.amdhsa_user_sgpr_count 6
		.amdhsa_user_sgpr_private_segment_buffer 1
		.amdhsa_user_sgpr_dispatch_ptr 0
		.amdhsa_user_sgpr_queue_ptr 0
		.amdhsa_user_sgpr_kernarg_segment_ptr 1
		.amdhsa_user_sgpr_dispatch_id 0
		.amdhsa_user_sgpr_flat_scratch_init 0
		.amdhsa_user_sgpr_private_segment_size 0
		.amdhsa_uses_dynamic_stack 0
		.amdhsa_system_sgpr_private_segment_wavefront_offset 0
		.amdhsa_system_sgpr_workgroup_id_x 1
		.amdhsa_system_sgpr_workgroup_id_y 0
		.amdhsa_system_sgpr_workgroup_id_z 1
		.amdhsa_system_sgpr_workgroup_info 0
		.amdhsa_system_vgpr_workitem_id 0
		.amdhsa_next_free_vgpr 11
		.amdhsa_next_free_sgpr 28
		.amdhsa_reserve_vcc 1
		.amdhsa_reserve_flat_scratch 0
		.amdhsa_float_round_mode_32 0
		.amdhsa_float_round_mode_16_64 0
		.amdhsa_float_denorm_mode_32 3
		.amdhsa_float_denorm_mode_16_64 3
		.amdhsa_dx10_clamp 1
		.amdhsa_ieee_mode 1
		.amdhsa_fp16_overflow 0
		.amdhsa_exception_fp_ieee_invalid_op 0
		.amdhsa_exception_fp_denorm_src 0
		.amdhsa_exception_fp_ieee_div_zero 0
		.amdhsa_exception_fp_ieee_overflow 0
		.amdhsa_exception_fp_ieee_underflow 0
		.amdhsa_exception_fp_ieee_inexact 0
		.amdhsa_exception_int_div_zero 0
	.end_amdhsa_kernel
	.section	.text._ZL18rocblas_dot_kernelIiLb0ELi512ELi8ELb0EDF16_PKPKDF16_DF16_EviT5_lT_lS4_lS5_liPT6_PT4_,"axG",@progbits,_ZL18rocblas_dot_kernelIiLb0ELi512ELi8ELb0EDF16_PKPKDF16_DF16_EviT5_lT_lS4_lS5_liPT6_PT4_,comdat
.Lfunc_end76:
	.size	_ZL18rocblas_dot_kernelIiLb0ELi512ELi8ELb0EDF16_PKPKDF16_DF16_EviT5_lT_lS4_lS5_liPT6_PT4_, .Lfunc_end76-_ZL18rocblas_dot_kernelIiLb0ELi512ELi8ELb0EDF16_PKPKDF16_DF16_EviT5_lT_lS4_lS5_liPT6_PT4_
                                        ; -- End function
	.set _ZL18rocblas_dot_kernelIiLb0ELi512ELi8ELb0EDF16_PKPKDF16_DF16_EviT5_lT_lS4_lS5_liPT6_PT4_.num_vgpr, 11
	.set _ZL18rocblas_dot_kernelIiLb0ELi512ELi8ELb0EDF16_PKPKDF16_DF16_EviT5_lT_lS4_lS5_liPT6_PT4_.num_agpr, 0
	.set _ZL18rocblas_dot_kernelIiLb0ELi512ELi8ELb0EDF16_PKPKDF16_DF16_EviT5_lT_lS4_lS5_liPT6_PT4_.numbered_sgpr, 28
	.set _ZL18rocblas_dot_kernelIiLb0ELi512ELi8ELb0EDF16_PKPKDF16_DF16_EviT5_lT_lS4_lS5_liPT6_PT4_.num_named_barrier, 0
	.set _ZL18rocblas_dot_kernelIiLb0ELi512ELi8ELb0EDF16_PKPKDF16_DF16_EviT5_lT_lS4_lS5_liPT6_PT4_.private_seg_size, 0
	.set _ZL18rocblas_dot_kernelIiLb0ELi512ELi8ELb0EDF16_PKPKDF16_DF16_EviT5_lT_lS4_lS5_liPT6_PT4_.uses_vcc, 1
	.set _ZL18rocblas_dot_kernelIiLb0ELi512ELi8ELb0EDF16_PKPKDF16_DF16_EviT5_lT_lS4_lS5_liPT6_PT4_.uses_flat_scratch, 0
	.set _ZL18rocblas_dot_kernelIiLb0ELi512ELi8ELb0EDF16_PKPKDF16_DF16_EviT5_lT_lS4_lS5_liPT6_PT4_.has_dyn_sized_stack, 0
	.set _ZL18rocblas_dot_kernelIiLb0ELi512ELi8ELb0EDF16_PKPKDF16_DF16_EviT5_lT_lS4_lS5_liPT6_PT4_.has_recursion, 0
	.set _ZL18rocblas_dot_kernelIiLb0ELi512ELi8ELb0EDF16_PKPKDF16_DF16_EviT5_lT_lS4_lS5_liPT6_PT4_.has_indirect_call, 0
	.section	.AMDGPU.csdata,"",@progbits
; Kernel info:
; codeLenInByte = 1048
; TotalNumSgprs: 32
; NumVgprs: 11
; ScratchSize: 0
; MemoryBound: 0
; FloatMode: 240
; IeeeMode: 1
; LDSByteSize: 128 bytes/workgroup (compile time only)
; SGPRBlocks: 3
; VGPRBlocks: 2
; NumSGPRsForWavesPerEU: 32
; NumVGPRsForWavesPerEU: 11
; Occupancy: 10
; WaveLimiterHint : 0
; COMPUTE_PGM_RSRC2:SCRATCH_EN: 0
; COMPUTE_PGM_RSRC2:USER_SGPR: 6
; COMPUTE_PGM_RSRC2:TRAP_HANDLER: 0
; COMPUTE_PGM_RSRC2:TGID_X_EN: 1
; COMPUTE_PGM_RSRC2:TGID_Y_EN: 0
; COMPUTE_PGM_RSRC2:TGID_Z_EN: 1
; COMPUTE_PGM_RSRC2:TIDIG_COMP_CNT: 0
	.section	.text._ZL24rocblas_dot_kernel_magsqIiLb0ELi512ELi8ELb0EDF16_PKPKDF16_DF16_EviT5_lT_liPT6_PT4_,"axG",@progbits,_ZL24rocblas_dot_kernel_magsqIiLb0ELi512ELi8ELb0EDF16_PKPKDF16_DF16_EviT5_lT_liPT6_PT4_,comdat
	.globl	_ZL24rocblas_dot_kernel_magsqIiLb0ELi512ELi8ELb0EDF16_PKPKDF16_DF16_EviT5_lT_liPT6_PT4_ ; -- Begin function _ZL24rocblas_dot_kernel_magsqIiLb0ELi512ELi8ELb0EDF16_PKPKDF16_DF16_EviT5_lT_liPT6_PT4_
	.p2align	8
	.type	_ZL24rocblas_dot_kernel_magsqIiLb0ELi512ELi8ELb0EDF16_PKPKDF16_DF16_EviT5_lT_liPT6_PT4_,@function
_ZL24rocblas_dot_kernel_magsqIiLb0ELi512ELi8ELb0EDF16_PKPKDF16_DF16_EviT5_lT_liPT6_PT4_: ; @_ZL24rocblas_dot_kernel_magsqIiLb0ELi512ELi8ELb0EDF16_PKPKDF16_DF16_EviT5_lT_liPT6_PT4_
; %bb.0:
	s_mov_b32 s2, s7
	s_load_dword s7, s[4:5], 0x0
	s_load_dwordx4 s[8:11], s[4:5], 0x30
	s_load_dword s16, s[4:5], 0x40
	v_lshl_or_b32 v1, s6, 9, v0
	s_mov_b32 s3, 0
	s_waitcnt lgkmcnt(0)
	v_cmp_gt_i32_e32 vcc, s7, v1
	v_mov_b32_e32 v3, 0
	s_and_saveexec_b64 s[12:13], vcc
	s_cbranch_execz .LBB77_4
; %bb.1:
	s_load_dwordx4 s[20:23], s[4:5], 0x8
	s_load_dword s14, s[4:5], 0x18
	s_lshl_b64 s[0:1], s[2:3], 3
	s_waitcnt lgkmcnt(0)
	s_add_u32 s0, s20, s0
	s_addc_u32 s1, s21, s1
	s_load_dwordx2 s[0:1], s[0:1], 0x0
	v_mad_i64_i32 v[2:3], s[4:5], s14, v1, 0
	s_lshl_b32 s17, s16, 9
	s_lshl_b64 s[4:5], s[22:23], 1
	v_add_u32_e32 v4, s17, v1
	v_lshlrev_b64 v[1:2], 1, v[2:3]
	s_waitcnt lgkmcnt(0)
	s_add_u32 s0, s0, s4
	s_addc_u32 s1, s1, s5
	v_mov_b32_e32 v3, s1
	v_add_co_u32_e32 v1, vcc, s0, v1
	s_mul_hi_i32 s1, s14, s17
	s_mul_i32 s0, s14, s17
	s_lshl_b64 s[4:5], s[0:1], 1
	v_addc_co_u32_e32 v2, vcc, v3, v2, vcc
	v_mov_b32_e32 v3, 0
	s_mov_b64 s[14:15], 0
	v_mov_b32_e32 v5, s5
	s_mov_b32 s5, s3
.LBB77_2:                               ; =>This Inner Loop Header: Depth=1
	flat_load_ushort v6, v[1:2]
	s_add_i32 s18, s5, 1
	v_add_co_u32_e64 v1, s[0:1], s4, v1
	v_addc_co_u32_e64 v2, s[0:1], v2, v5, s[0:1]
	s_cmp_gt_u32 s5, 6
	v_cmp_le_i32_e32 vcc, s7, v4
	s_cselect_b64 s[0:1], -1, 0
	s_or_b64 s[0:1], s[0:1], vcc
	s_and_b64 s[0:1], exec, s[0:1]
	v_add_u32_e32 v4, s17, v4
	s_mov_b32 s5, s18
	s_or_b64 s[14:15], s[0:1], s[14:15]
	s_waitcnt vmcnt(0) lgkmcnt(0)
	v_fma_f16 v3, v6, v6, v3
	s_andn2_b64 exec, exec, s[14:15]
	s_cbranch_execnz .LBB77_2
; %bb.3:
	s_or_b64 exec, exec, s[14:15]
.LBB77_4:
	s_or_b64 exec, exec, s[12:13]
	v_and_b32_e32 v2, 63, v0
	v_cmp_gt_u32_e32 vcc, 64, v0
	v_lshlrev_b32_e32 v1, 1, v2
	s_and_saveexec_b64 s[0:1], vcc
; %bb.5:
	v_mov_b32_e32 v4, 0
	ds_write_b16 v1, v4
; %bb.6:
	s_or_b64 exec, exec, s[0:1]
	v_mbcnt_lo_u32_b32 v4, -1, 0
	v_mbcnt_hi_u32_b32 v5, -1, v4
	v_mov_b32_e32 v6, 0x80
	v_and_b32_e32 v4, 0xffff, v3
	v_lshl_or_b32 v6, v5, 2, v6
	ds_bpermute_b32 v4, v6, v4
	v_and_b32_e32 v6, 63, v5
	v_cmp_gt_u32_e64 s[0:1], 48, v6
	s_mov_b32 s4, 0xffff0000
	v_cndmask_b32_e64 v7, 0, 16, s[0:1]
	s_waitcnt lgkmcnt(0)
	v_add_f16_e32 v3, v3, v4
	v_and_or_b32 v4, v4, s4, v3
	v_add_lshl_u32 v7, v7, v5, 2
	ds_bpermute_b32 v4, v7, v4
	v_cmp_gt_u32_e64 s[0:1], 56, v6
	v_cndmask_b32_e64 v7, 0, 8, s[0:1]
	v_add_lshl_u32 v7, v7, v5, 2
	v_cmp_gt_u32_e64 s[0:1], 60, v6
	s_waitcnt lgkmcnt(0)
	v_add_f16_e32 v3, v3, v4
	v_and_or_b32 v4, v4, s4, v3
	ds_bpermute_b32 v4, v7, v4
	v_cndmask_b32_e64 v7, 0, 4, s[0:1]
	v_cmp_gt_u32_e64 s[0:1], 62, v6
	s_waitcnt lgkmcnt(0)
	s_barrier
	v_add_f16_e32 v8, v3, v4
	v_and_or_b32 v4, v4, s4, v8
	v_add_lshl_u32 v3, v7, v5, 2
	ds_bpermute_b32 v7, v3, v4
	v_cndmask_b32_e64 v4, 0, 2, s[0:1]
	v_add_lshl_u32 v4, v4, v5, 2
	v_cmp_ne_u32_e64 s[0:1], 63, v6
	v_addc_co_u32_e64 v5, s[0:1], 0, v5, s[0:1]
	s_waitcnt lgkmcnt(0)
	v_add_f16_e32 v8, v8, v7
	v_and_or_b32 v7, v7, s4, v8
	ds_bpermute_b32 v7, v4, v7
	v_lshlrev_b32_e32 v5, 2, v5
	v_cmp_eq_u32_e64 s[0:1], 0, v2
	s_waitcnt lgkmcnt(0)
	v_add_f16_e32 v6, v8, v7
	v_and_or_b32 v7, v7, s4, v6
	ds_bpermute_b32 v7, v5, v7
	s_and_saveexec_b64 s[4:5], s[0:1]
	s_cbranch_execz .LBB77_8
; %bb.7:
	s_waitcnt lgkmcnt(0)
	v_add_f16_e32 v2, v6, v7
	v_lshrrev_b32_e32 v6, 5, v0
	v_and_b32_e32 v6, 14, v6
	ds_write_b16 v6, v2
.LBB77_8:
	s_or_b64 exec, exec, s[4:5]
	v_cmp_gt_u32_e64 s[0:1], 8, v0
	v_mov_b32_e32 v2, 0
	s_waitcnt lgkmcnt(0)
	s_barrier
	s_and_saveexec_b64 s[4:5], s[0:1]
	s_cbranch_execnz .LBB77_12
; %bb.9:
	s_or_b64 exec, exec, s[4:5]
	s_and_saveexec_b64 s[0:1], vcc
	s_cbranch_execnz .LBB77_13
.LBB77_10:
	s_or_b64 exec, exec, s[0:1]
	v_cmp_eq_u32_e32 vcc, 0, v0
	s_and_saveexec_b64 s[0:1], vcc
	s_cbranch_execnz .LBB77_14
.LBB77_11:
	s_endpgm
.LBB77_12:
	ds_read_u16 v2, v1
	s_or_b64 exec, exec, s[4:5]
	s_and_saveexec_b64 s[0:1], vcc
	s_cbranch_execz .LBB77_10
.LBB77_13:
	s_waitcnt lgkmcnt(0)
	v_and_b32_e32 v1, 0xffff, v2
	ds_bpermute_b32 v1, v3, v1
	s_mov_b32 s4, 0xffff0000
	s_waitcnt lgkmcnt(0)
	v_add_f16_e32 v2, v2, v1
	v_and_or_b32 v1, v1, s4, v2
	ds_bpermute_b32 v1, v4, v1
	s_waitcnt lgkmcnt(0)
	v_add_f16_e32 v2, v2, v1
	v_and_or_b32 v1, v1, s4, v2
	ds_bpermute_b32 v1, v5, v1
	s_waitcnt lgkmcnt(0)
	v_add_f16_e32 v2, v2, v1
	s_or_b64 exec, exec, s[0:1]
	v_cmp_eq_u32_e32 vcc, 0, v0
	s_and_saveexec_b64 s[0:1], vcc
	s_cbranch_execz .LBB77_11
.LBB77_14:
	s_cmp_lg_u32 s16, 1
	s_mov_b64 s[0:1], -1
	s_cbranch_scc0 .LBB77_16
; %bb.15:
	s_mul_hi_u32 s1, s16, s2
	s_mul_i32 s0, s16, s2
	s_lshl_b64 s[0:1], s[0:1], 1
	s_mov_b32 s7, 0
	s_add_u32 s4, s8, s0
	s_addc_u32 s5, s9, s1
	s_lshl_b64 s[0:1], s[6:7], 1
	s_add_u32 s0, s4, s0
	s_addc_u32 s1, s5, s1
	v_mov_b32_e32 v0, 0
	s_waitcnt lgkmcnt(0)
	global_store_short v0, v2, s[0:1]
	s_mov_b64 s[0:1], 0
.LBB77_16:
	s_andn2_b64 vcc, exec, s[0:1]
	s_cbranch_vccnz .LBB77_11
; %bb.17:
	s_lshl_b64 s[0:1], s[2:3], 1
	s_add_u32 s0, s10, s0
	s_addc_u32 s1, s11, s1
	v_mov_b32_e32 v0, 0
	s_waitcnt lgkmcnt(0)
	global_store_short v0, v2, s[0:1]
	s_endpgm
	.section	.rodata,"a",@progbits
	.p2align	6, 0x0
	.amdhsa_kernel _ZL24rocblas_dot_kernel_magsqIiLb0ELi512ELi8ELb0EDF16_PKPKDF16_DF16_EviT5_lT_liPT6_PT4_
		.amdhsa_group_segment_fixed_size 128
		.amdhsa_private_segment_fixed_size 0
		.amdhsa_kernarg_size 320
		.amdhsa_user_sgpr_count 6
		.amdhsa_user_sgpr_private_segment_buffer 1
		.amdhsa_user_sgpr_dispatch_ptr 0
		.amdhsa_user_sgpr_queue_ptr 0
		.amdhsa_user_sgpr_kernarg_segment_ptr 1
		.amdhsa_user_sgpr_dispatch_id 0
		.amdhsa_user_sgpr_flat_scratch_init 0
		.amdhsa_user_sgpr_private_segment_size 0
		.amdhsa_uses_dynamic_stack 0
		.amdhsa_system_sgpr_private_segment_wavefront_offset 0
		.amdhsa_system_sgpr_workgroup_id_x 1
		.amdhsa_system_sgpr_workgroup_id_y 0
		.amdhsa_system_sgpr_workgroup_id_z 1
		.amdhsa_system_sgpr_workgroup_info 0
		.amdhsa_system_vgpr_workitem_id 0
		.amdhsa_next_free_vgpr 9
		.amdhsa_next_free_sgpr 24
		.amdhsa_reserve_vcc 1
		.amdhsa_reserve_flat_scratch 0
		.amdhsa_float_round_mode_32 0
		.amdhsa_float_round_mode_16_64 0
		.amdhsa_float_denorm_mode_32 3
		.amdhsa_float_denorm_mode_16_64 3
		.amdhsa_dx10_clamp 1
		.amdhsa_ieee_mode 1
		.amdhsa_fp16_overflow 0
		.amdhsa_exception_fp_ieee_invalid_op 0
		.amdhsa_exception_fp_denorm_src 0
		.amdhsa_exception_fp_ieee_div_zero 0
		.amdhsa_exception_fp_ieee_overflow 0
		.amdhsa_exception_fp_ieee_underflow 0
		.amdhsa_exception_fp_ieee_inexact 0
		.amdhsa_exception_int_div_zero 0
	.end_amdhsa_kernel
	.section	.text._ZL24rocblas_dot_kernel_magsqIiLb0ELi512ELi8ELb0EDF16_PKPKDF16_DF16_EviT5_lT_liPT6_PT4_,"axG",@progbits,_ZL24rocblas_dot_kernel_magsqIiLb0ELi512ELi8ELb0EDF16_PKPKDF16_DF16_EviT5_lT_liPT6_PT4_,comdat
.Lfunc_end77:
	.size	_ZL24rocblas_dot_kernel_magsqIiLb0ELi512ELi8ELb0EDF16_PKPKDF16_DF16_EviT5_lT_liPT6_PT4_, .Lfunc_end77-_ZL24rocblas_dot_kernel_magsqIiLb0ELi512ELi8ELb0EDF16_PKPKDF16_DF16_EviT5_lT_liPT6_PT4_
                                        ; -- End function
	.set _ZL24rocblas_dot_kernel_magsqIiLb0ELi512ELi8ELb0EDF16_PKPKDF16_DF16_EviT5_lT_liPT6_PT4_.num_vgpr, 9
	.set _ZL24rocblas_dot_kernel_magsqIiLb0ELi512ELi8ELb0EDF16_PKPKDF16_DF16_EviT5_lT_liPT6_PT4_.num_agpr, 0
	.set _ZL24rocblas_dot_kernel_magsqIiLb0ELi512ELi8ELb0EDF16_PKPKDF16_DF16_EviT5_lT_liPT6_PT4_.numbered_sgpr, 24
	.set _ZL24rocblas_dot_kernel_magsqIiLb0ELi512ELi8ELb0EDF16_PKPKDF16_DF16_EviT5_lT_liPT6_PT4_.num_named_barrier, 0
	.set _ZL24rocblas_dot_kernel_magsqIiLb0ELi512ELi8ELb0EDF16_PKPKDF16_DF16_EviT5_lT_liPT6_PT4_.private_seg_size, 0
	.set _ZL24rocblas_dot_kernel_magsqIiLb0ELi512ELi8ELb0EDF16_PKPKDF16_DF16_EviT5_lT_liPT6_PT4_.uses_vcc, 1
	.set _ZL24rocblas_dot_kernel_magsqIiLb0ELi512ELi8ELb0EDF16_PKPKDF16_DF16_EviT5_lT_liPT6_PT4_.uses_flat_scratch, 0
	.set _ZL24rocblas_dot_kernel_magsqIiLb0ELi512ELi8ELb0EDF16_PKPKDF16_DF16_EviT5_lT_liPT6_PT4_.has_dyn_sized_stack, 0
	.set _ZL24rocblas_dot_kernel_magsqIiLb0ELi512ELi8ELb0EDF16_PKPKDF16_DF16_EviT5_lT_liPT6_PT4_.has_recursion, 0
	.set _ZL24rocblas_dot_kernel_magsqIiLb0ELi512ELi8ELb0EDF16_PKPKDF16_DF16_EviT5_lT_liPT6_PT4_.has_indirect_call, 0
	.section	.AMDGPU.csdata,"",@progbits
; Kernel info:
; codeLenInByte = 932
; TotalNumSgprs: 28
; NumVgprs: 9
; ScratchSize: 0
; MemoryBound: 0
; FloatMode: 240
; IeeeMode: 1
; LDSByteSize: 128 bytes/workgroup (compile time only)
; SGPRBlocks: 3
; VGPRBlocks: 2
; NumSGPRsForWavesPerEU: 28
; NumVGPRsForWavesPerEU: 9
; Occupancy: 10
; WaveLimiterHint : 0
; COMPUTE_PGM_RSRC2:SCRATCH_EN: 0
; COMPUTE_PGM_RSRC2:USER_SGPR: 6
; COMPUTE_PGM_RSRC2:TRAP_HANDLER: 0
; COMPUTE_PGM_RSRC2:TGID_X_EN: 1
; COMPUTE_PGM_RSRC2:TGID_Y_EN: 0
; COMPUTE_PGM_RSRC2:TGID_Z_EN: 1
; COMPUTE_PGM_RSRC2:TIDIG_COMP_CNT: 0
	.section	.text._ZL28rocblas_dot_batched_4_kernelIiLi32ELi4ELb0Ef16rocblas_bfloat16PKPKS0_EviT5_lT_lS5_lS6_liPT4_,"axG",@progbits,_ZL28rocblas_dot_batched_4_kernelIiLi32ELi4ELb0Ef16rocblas_bfloat16PKPKS0_EviT5_lT_lS5_lS6_liPT4_,comdat
	.globl	_ZL28rocblas_dot_batched_4_kernelIiLi32ELi4ELb0Ef16rocblas_bfloat16PKPKS0_EviT5_lT_lS5_lS6_liPT4_ ; -- Begin function _ZL28rocblas_dot_batched_4_kernelIiLi32ELi4ELb0Ef16rocblas_bfloat16PKPKS0_EviT5_lT_lS5_lS6_liPT4_
	.p2align	8
	.type	_ZL28rocblas_dot_batched_4_kernelIiLi32ELi4ELb0Ef16rocblas_bfloat16PKPKS0_EviT5_lT_lS5_lS6_liPT4_,@function
_ZL28rocblas_dot_batched_4_kernelIiLi32ELi4ELb0Ef16rocblas_bfloat16PKPKS0_EviT5_lT_lS5_lS6_liPT4_: ; @_ZL28rocblas_dot_batched_4_kernelIiLi32ELi4ELb0Ef16rocblas_bfloat16PKPKS0_EviT5_lT_lS5_lS6_liPT4_
; %bb.0:
	s_load_dword s0, s[4:5], 0x48
	v_lshl_add_u32 v1, s6, 2, v1
	s_waitcnt lgkmcnt(0)
	v_cmp_gt_u32_e32 vcc, s0, v1
	s_and_saveexec_b64 s[0:1], vcc
	s_cbranch_execz .LBB78_11
; %bb.1:
	s_load_dword s14, s[4:5], 0x0
	s_load_dwordx2 s[6:7], s[4:5], 0x50
	v_mov_b32_e32 v2, 0
	v_mov_b32_e32 v7, v2
	s_waitcnt lgkmcnt(0)
	v_cmp_gt_i32_e32 vcc, s14, v0
	s_and_saveexec_b64 s[12:13], vcc
	s_cbranch_execz .LBB78_5
; %bb.2:
	s_load_dwordx4 s[0:3], s[4:5], 0x8
	s_load_dwordx4 s[8:11], s[4:5], 0x28
	v_lshlrev_b64 v[3:4], 3, v[1:2]
	s_load_dword s16, s[4:5], 0x18
	s_waitcnt lgkmcnt(0)
	v_mov_b32_e32 v6, s1
	v_add_co_u32_e32 v5, vcc, s0, v3
	v_addc_co_u32_e32 v6, vcc, v6, v4, vcc
	global_load_dwordx2 v[5:6], v[5:6], off
	v_mov_b32_e32 v7, s9
	v_add_co_u32_e32 v3, vcc, s8, v3
	v_addc_co_u32_e32 v4, vcc, v7, v4, vcc
	global_load_dwordx2 v[10:11], v[3:4], off
	s_load_dword s4, s[4:5], 0x38
	v_mad_i64_i32 v[3:4], s[8:9], s16, v0, 0
	s_lshl_b64 s[8:9], s[2:3], 1
	v_mov_b32_e32 v14, s9
	s_waitcnt lgkmcnt(0)
	v_mad_i64_i32 v[12:13], s[2:3], s4, v0, 0
	v_lshlrev_b64 v[3:4], 1, v[3:4]
	s_lshl_b64 s[10:11], s[10:11], 1
	v_lshlrev_b64 v[12:13], 1, v[12:13]
	v_add_co_u32_e32 v3, vcc, s8, v3
	v_addc_co_u32_e32 v4, vcc, v4, v14, vcc
	v_mov_b32_e32 v15, s11
	v_add_co_u32_e32 v12, vcc, s10, v12
	v_addc_co_u32_e32 v13, vcc, v13, v15, vcc
	s_ashr_i32 s17, s16, 31
	s_ashr_i32 s5, s4, 31
	s_lshl_b64 s[2:3], s[16:17], 6
	s_lshl_b64 s[4:5], s[4:5], 6
	v_mov_b32_e32 v7, 0
	s_mov_b64 s[0:1], 0
	v_mov_b32_e32 v8, s3
	v_mov_b32_e32 v9, s5
	s_waitcnt vmcnt(1)
	v_add_co_u32_e32 v3, vcc, v5, v3
	v_addc_co_u32_e32 v4, vcc, v6, v4, vcc
	s_waitcnt vmcnt(0)
	v_add_co_u32_e32 v5, vcc, v10, v12
	v_addc_co_u32_e32 v6, vcc, v11, v13, vcc
	v_mov_b32_e32 v10, v0
.LBB78_3:                               ; =>This Inner Loop Header: Depth=1
	flat_load_ushort v11, v[5:6]
	flat_load_ushort v12, v[3:4]
	v_add_co_u32_e32 v3, vcc, s2, v3
	v_addc_co_u32_e32 v4, vcc, v4, v8, vcc
	v_add_co_u32_e32 v5, vcc, s4, v5
	v_add_u32_e32 v10, 32, v10
	v_addc_co_u32_e32 v6, vcc, v6, v9, vcc
	v_cmp_le_i32_e32 vcc, s14, v10
	s_or_b64 s[0:1], vcc, s[0:1]
	s_waitcnt vmcnt(0) lgkmcnt(0)
	v_lshlrev_b32_e32 v11, 16, v11
	v_lshlrev_b32_e32 v12, 16, v12
	v_fmac_f32_e32 v7, v12, v11
	s_andn2_b64 exec, exec, s[0:1]
	s_cbranch_execnz .LBB78_3
; %bb.4:
	s_or_b64 exec, exec, s[0:1]
.LBB78_5:
	s_or_b64 exec, exec, s[12:13]
	v_mbcnt_lo_u32_b32 v3, -1, 0
	v_mbcnt_hi_u32_b32 v3, -1, v3
	v_and_b32_e32 v4, 63, v3
	v_cmp_gt_u32_e32 vcc, 48, v4
	v_cndmask_b32_e64 v5, 0, 16, vcc
	v_add_lshl_u32 v5, v5, v3, 2
	ds_bpermute_b32 v5, v5, v7
	v_cmp_gt_u32_e32 vcc, 56, v4
	v_cndmask_b32_e64 v6, 0, 8, vcc
	v_add_lshl_u32 v6, v6, v3, 2
	v_cmp_gt_u32_e32 vcc, 60, v4
	s_waitcnt lgkmcnt(0)
	v_add_f32_e32 v5, v7, v5
	ds_bpermute_b32 v6, v6, v5
	v_cndmask_b32_e64 v7, 0, 4, vcc
	v_add_lshl_u32 v7, v7, v3, 2
	v_cmp_gt_u32_e32 vcc, 62, v4
	s_waitcnt lgkmcnt(0)
	v_add_f32_e32 v5, v5, v6
	ds_bpermute_b32 v6, v7, v5
	v_cndmask_b32_e64 v7, 0, 2, vcc
	v_add_lshl_u32 v7, v7, v3, 2
	v_cmp_ne_u32_e32 vcc, 63, v4
	v_addc_co_u32_e32 v4, vcc, 0, v3, vcc
	s_waitcnt lgkmcnt(0)
	v_add_f32_e32 v5, v5, v6
	ds_bpermute_b32 v6, v7, v5
	v_lshlrev_b32_e32 v4, 2, v4
	v_cmp_eq_u32_e32 vcc, 0, v0
	s_waitcnt lgkmcnt(0)
	s_barrier
	v_add_f32_e32 v3, v5, v6
	ds_bpermute_b32 v4, v4, v3
	s_and_b64 exec, exec, vcc
	s_cbranch_execz .LBB78_11
; %bb.6:
	s_waitcnt lgkmcnt(0)
	v_add_f32_e32 v3, v3, v4
	s_mov_b32 s0, 0x7f800000
	v_and_b32_e32 v0, 0x7f800000, v3
	v_cmp_ne_u32_e32 vcc, s0, v0
                                        ; implicit-def: $vgpr0
	s_and_saveexec_b64 s[0:1], vcc
	s_xor_b64 s[0:1], exec, s[0:1]
; %bb.7:
	v_bfe_u32 v0, v3, 16, 1
	s_movk_i32 s2, 0x7fff
	v_add3_u32 v0, v3, v0, s2
                                        ; implicit-def: $vgpr3
; %bb.8:
	s_andn2_saveexec_b64 s[0:1], s[0:1]
; %bb.9:
	v_mov_b32_e32 v0, 0
	v_or_b32_e32 v4, 0x10000, v3
	v_cmp_eq_u32_sdwa vcc, v3, v0 src0_sel:WORD_0 src1_sel:DWORD
	v_cndmask_b32_e32 v0, v4, v3, vcc
; %bb.10:
	s_or_b64 exec, exec, s[0:1]
	v_lshlrev_b64 v[1:2], 1, v[1:2]
	v_mov_b32_e32 v3, s7
	v_add_co_u32_e32 v1, vcc, s6, v1
	v_addc_co_u32_e32 v2, vcc, v3, v2, vcc
	global_store_short_d16_hi v[1:2], v0, off
.LBB78_11:
	s_endpgm
	.section	.rodata,"a",@progbits
	.p2align	6, 0x0
	.amdhsa_kernel _ZL28rocblas_dot_batched_4_kernelIiLi32ELi4ELb0Ef16rocblas_bfloat16PKPKS0_EviT5_lT_lS5_lS6_liPT4_
		.amdhsa_group_segment_fixed_size 0
		.amdhsa_private_segment_fixed_size 0
		.amdhsa_kernarg_size 88
		.amdhsa_user_sgpr_count 6
		.amdhsa_user_sgpr_private_segment_buffer 1
		.amdhsa_user_sgpr_dispatch_ptr 0
		.amdhsa_user_sgpr_queue_ptr 0
		.amdhsa_user_sgpr_kernarg_segment_ptr 1
		.amdhsa_user_sgpr_dispatch_id 0
		.amdhsa_user_sgpr_flat_scratch_init 0
		.amdhsa_user_sgpr_private_segment_size 0
		.amdhsa_uses_dynamic_stack 0
		.amdhsa_system_sgpr_private_segment_wavefront_offset 0
		.amdhsa_system_sgpr_workgroup_id_x 1
		.amdhsa_system_sgpr_workgroup_id_y 0
		.amdhsa_system_sgpr_workgroup_id_z 0
		.amdhsa_system_sgpr_workgroup_info 0
		.amdhsa_system_vgpr_workitem_id 1
		.amdhsa_next_free_vgpr 16
		.amdhsa_next_free_sgpr 18
		.amdhsa_reserve_vcc 1
		.amdhsa_reserve_flat_scratch 0
		.amdhsa_float_round_mode_32 0
		.amdhsa_float_round_mode_16_64 0
		.amdhsa_float_denorm_mode_32 3
		.amdhsa_float_denorm_mode_16_64 3
		.amdhsa_dx10_clamp 1
		.amdhsa_ieee_mode 1
		.amdhsa_fp16_overflow 0
		.amdhsa_exception_fp_ieee_invalid_op 0
		.amdhsa_exception_fp_denorm_src 0
		.amdhsa_exception_fp_ieee_div_zero 0
		.amdhsa_exception_fp_ieee_overflow 0
		.amdhsa_exception_fp_ieee_underflow 0
		.amdhsa_exception_fp_ieee_inexact 0
		.amdhsa_exception_int_div_zero 0
	.end_amdhsa_kernel
	.section	.text._ZL28rocblas_dot_batched_4_kernelIiLi32ELi4ELb0Ef16rocblas_bfloat16PKPKS0_EviT5_lT_lS5_lS6_liPT4_,"axG",@progbits,_ZL28rocblas_dot_batched_4_kernelIiLi32ELi4ELb0Ef16rocblas_bfloat16PKPKS0_EviT5_lT_lS5_lS6_liPT4_,comdat
.Lfunc_end78:
	.size	_ZL28rocblas_dot_batched_4_kernelIiLi32ELi4ELb0Ef16rocblas_bfloat16PKPKS0_EviT5_lT_lS5_lS6_liPT4_, .Lfunc_end78-_ZL28rocblas_dot_batched_4_kernelIiLi32ELi4ELb0Ef16rocblas_bfloat16PKPKS0_EviT5_lT_lS5_lS6_liPT4_
                                        ; -- End function
	.set _ZL28rocblas_dot_batched_4_kernelIiLi32ELi4ELb0Ef16rocblas_bfloat16PKPKS0_EviT5_lT_lS5_lS6_liPT4_.num_vgpr, 16
	.set _ZL28rocblas_dot_batched_4_kernelIiLi32ELi4ELb0Ef16rocblas_bfloat16PKPKS0_EviT5_lT_lS5_lS6_liPT4_.num_agpr, 0
	.set _ZL28rocblas_dot_batched_4_kernelIiLi32ELi4ELb0Ef16rocblas_bfloat16PKPKS0_EviT5_lT_lS5_lS6_liPT4_.numbered_sgpr, 18
	.set _ZL28rocblas_dot_batched_4_kernelIiLi32ELi4ELb0Ef16rocblas_bfloat16PKPKS0_EviT5_lT_lS5_lS6_liPT4_.num_named_barrier, 0
	.set _ZL28rocblas_dot_batched_4_kernelIiLi32ELi4ELb0Ef16rocblas_bfloat16PKPKS0_EviT5_lT_lS5_lS6_liPT4_.private_seg_size, 0
	.set _ZL28rocblas_dot_batched_4_kernelIiLi32ELi4ELb0Ef16rocblas_bfloat16PKPKS0_EviT5_lT_lS5_lS6_liPT4_.uses_vcc, 1
	.set _ZL28rocblas_dot_batched_4_kernelIiLi32ELi4ELb0Ef16rocblas_bfloat16PKPKS0_EviT5_lT_lS5_lS6_liPT4_.uses_flat_scratch, 0
	.set _ZL28rocblas_dot_batched_4_kernelIiLi32ELi4ELb0Ef16rocblas_bfloat16PKPKS0_EviT5_lT_lS5_lS6_liPT4_.has_dyn_sized_stack, 0
	.set _ZL28rocblas_dot_batched_4_kernelIiLi32ELi4ELb0Ef16rocblas_bfloat16PKPKS0_EviT5_lT_lS5_lS6_liPT4_.has_recursion, 0
	.set _ZL28rocblas_dot_batched_4_kernelIiLi32ELi4ELb0Ef16rocblas_bfloat16PKPKS0_EviT5_lT_lS5_lS6_liPT4_.has_indirect_call, 0
	.section	.AMDGPU.csdata,"",@progbits
; Kernel info:
; codeLenInByte = 680
; TotalNumSgprs: 22
; NumVgprs: 16
; ScratchSize: 0
; MemoryBound: 0
; FloatMode: 240
; IeeeMode: 1
; LDSByteSize: 0 bytes/workgroup (compile time only)
; SGPRBlocks: 2
; VGPRBlocks: 3
; NumSGPRsForWavesPerEU: 22
; NumVGPRsForWavesPerEU: 16
; Occupancy: 10
; WaveLimiterHint : 0
; COMPUTE_PGM_RSRC2:SCRATCH_EN: 0
; COMPUTE_PGM_RSRC2:USER_SGPR: 6
; COMPUTE_PGM_RSRC2:TRAP_HANDLER: 0
; COMPUTE_PGM_RSRC2:TGID_X_EN: 1
; COMPUTE_PGM_RSRC2:TGID_Y_EN: 0
; COMPUTE_PGM_RSRC2:TGID_Z_EN: 0
; COMPUTE_PGM_RSRC2:TIDIG_COMP_CNT: 1
	.section	.text._ZL28rocblas_dot_batched_4_kernelIiLi64ELi4ELb0Ef16rocblas_bfloat16PKPKS0_EviT5_lT_lS5_lS6_liPT4_,"axG",@progbits,_ZL28rocblas_dot_batched_4_kernelIiLi64ELi4ELb0Ef16rocblas_bfloat16PKPKS0_EviT5_lT_lS5_lS6_liPT4_,comdat
	.globl	_ZL28rocblas_dot_batched_4_kernelIiLi64ELi4ELb0Ef16rocblas_bfloat16PKPKS0_EviT5_lT_lS5_lS6_liPT4_ ; -- Begin function _ZL28rocblas_dot_batched_4_kernelIiLi64ELi4ELb0Ef16rocblas_bfloat16PKPKS0_EviT5_lT_lS5_lS6_liPT4_
	.p2align	8
	.type	_ZL28rocblas_dot_batched_4_kernelIiLi64ELi4ELb0Ef16rocblas_bfloat16PKPKS0_EviT5_lT_lS5_lS6_liPT4_,@function
_ZL28rocblas_dot_batched_4_kernelIiLi64ELi4ELb0Ef16rocblas_bfloat16PKPKS0_EviT5_lT_lS5_lS6_liPT4_: ; @_ZL28rocblas_dot_batched_4_kernelIiLi64ELi4ELb0Ef16rocblas_bfloat16PKPKS0_EviT5_lT_lS5_lS6_liPT4_
; %bb.0:
	s_load_dword s0, s[4:5], 0x48
	v_lshl_add_u32 v1, s6, 2, v1
	s_waitcnt lgkmcnt(0)
	v_cmp_gt_u32_e32 vcc, s0, v1
	s_and_saveexec_b64 s[0:1], vcc
	s_cbranch_execz .LBB79_11
; %bb.1:
	s_load_dword s14, s[4:5], 0x0
	s_load_dwordx2 s[6:7], s[4:5], 0x50
	v_mov_b32_e32 v2, 0
	v_mov_b32_e32 v7, v2
	s_waitcnt lgkmcnt(0)
	v_cmp_gt_i32_e32 vcc, s14, v0
	s_and_saveexec_b64 s[12:13], vcc
	s_cbranch_execz .LBB79_5
; %bb.2:
	s_load_dwordx4 s[0:3], s[4:5], 0x8
	s_load_dwordx4 s[8:11], s[4:5], 0x28
	v_lshlrev_b64 v[3:4], 3, v[1:2]
	s_load_dword s16, s[4:5], 0x18
	s_waitcnt lgkmcnt(0)
	v_mov_b32_e32 v6, s1
	v_add_co_u32_e32 v5, vcc, s0, v3
	v_addc_co_u32_e32 v6, vcc, v6, v4, vcc
	global_load_dwordx2 v[5:6], v[5:6], off
	v_mov_b32_e32 v7, s9
	v_add_co_u32_e32 v3, vcc, s8, v3
	v_addc_co_u32_e32 v4, vcc, v7, v4, vcc
	global_load_dwordx2 v[8:9], v[3:4], off
	s_load_dword s0, s[4:5], 0x38
	v_mad_i64_i32 v[3:4], s[8:9], s16, v0, 0
	s_lshl_b64 s[18:19], s[2:3], 1
	v_mov_b32_e32 v12, s19
	s_waitcnt lgkmcnt(0)
	v_mad_i64_i32 v[10:11], s[2:3], s0, v0, 0
	v_lshlrev_b64 v[3:4], 1, v[3:4]
	s_lshl_b64 s[10:11], s[10:11], 1
	v_lshlrev_b64 v[10:11], 1, v[10:11]
	v_add_co_u32_e32 v3, vcc, s18, v3
	v_addc_co_u32_e32 v4, vcc, v4, v12, vcc
	v_mov_b32_e32 v13, s11
	v_add_co_u32_e32 v10, vcc, s10, v10
	v_addc_co_u32_e32 v11, vcc, v11, v13, vcc
	s_ashr_i32 s17, s16, 31
	s_ashr_i32 s1, s0, 31
	v_mov_b32_e32 v7, 0
	s_mov_b64 s[4:5], 0
	s_lshl_b64 s[2:3], s[16:17], 7
	s_lshl_b64 s[8:9], s[0:1], 7
	s_waitcnt vmcnt(1)
	v_add_co_u32_e32 v3, vcc, v5, v3
	v_addc_co_u32_e32 v4, vcc, v6, v4, vcc
	s_waitcnt vmcnt(0)
	v_add_co_u32_e32 v5, vcc, v8, v10
	v_addc_co_u32_e32 v6, vcc, v9, v11, vcc
	v_mov_b32_e32 v8, v0
.LBB79_3:                               ; =>This Inner Loop Header: Depth=1
	flat_load_ushort v9, v[5:6]
	flat_load_ushort v10, v[3:4]
	v_mov_b32_e32 v12, s9
	v_add_co_u32_e32 v5, vcc, s8, v5
	v_add_u32_e32 v8, 64, v8
	v_addc_co_u32_e32 v6, vcc, v6, v12, vcc
	v_mov_b32_e32 v11, s3
	v_add_co_u32_e64 v3, s[0:1], s2, v3
	v_cmp_le_i32_e32 vcc, s14, v8
	v_addc_co_u32_e64 v4, s[0:1], v4, v11, s[0:1]
	s_or_b64 s[4:5], vcc, s[4:5]
	s_waitcnt vmcnt(0) lgkmcnt(0)
	v_lshlrev_b32_e32 v9, 16, v9
	v_lshlrev_b32_e32 v10, 16, v10
	v_fmac_f32_e32 v7, v10, v9
	s_andn2_b64 exec, exec, s[4:5]
	s_cbranch_execnz .LBB79_3
; %bb.4:
	s_or_b64 exec, exec, s[4:5]
.LBB79_5:
	s_or_b64 exec, exec, s[12:13]
	v_mbcnt_lo_u32_b32 v3, -1, 0
	v_mbcnt_hi_u32_b32 v3, -1, v3
	v_mov_b32_e32 v4, 0x80
	v_lshl_or_b32 v4, v3, 2, v4
	ds_bpermute_b32 v4, v4, v7
	v_and_b32_e32 v5, 63, v3
	v_cmp_gt_u32_e32 vcc, 48, v5
	v_cndmask_b32_e64 v6, 0, 16, vcc
	v_add_lshl_u32 v6, v6, v3, 2
	s_waitcnt lgkmcnt(0)
	v_add_f32_e32 v4, v7, v4
	ds_bpermute_b32 v6, v6, v4
	v_cmp_gt_u32_e32 vcc, 56, v5
	v_cndmask_b32_e64 v7, 0, 8, vcc
	v_add_lshl_u32 v7, v7, v3, 2
	v_cmp_gt_u32_e32 vcc, 60, v5
	s_waitcnt lgkmcnt(0)
	v_add_f32_e32 v4, v4, v6
	ds_bpermute_b32 v6, v7, v4
	v_cndmask_b32_e64 v7, 0, 4, vcc
	v_add_lshl_u32 v7, v7, v3, 2
	v_cmp_gt_u32_e32 vcc, 62, v5
	s_waitcnt lgkmcnt(0)
	v_add_f32_e32 v4, v4, v6
	ds_bpermute_b32 v6, v7, v4
	v_cndmask_b32_e64 v7, 0, 2, vcc
	v_add_lshl_u32 v7, v7, v3, 2
	v_cmp_ne_u32_e32 vcc, 63, v5
	v_addc_co_u32_e32 v5, vcc, 0, v3, vcc
	s_waitcnt lgkmcnt(0)
	v_add_f32_e32 v4, v4, v6
	ds_bpermute_b32 v6, v7, v4
	v_cmp_eq_u32_e32 vcc, 0, v0
	s_waitcnt lgkmcnt(0)
	s_barrier
	v_add_f32_e32 v3, v4, v6
	v_lshlrev_b32_e32 v4, 2, v5
	ds_bpermute_b32 v4, v4, v3
	s_and_b64 exec, exec, vcc
	s_cbranch_execz .LBB79_11
; %bb.6:
	s_waitcnt lgkmcnt(0)
	v_add_f32_e32 v3, v3, v4
	s_mov_b32 s0, 0x7f800000
	v_and_b32_e32 v0, 0x7f800000, v3
	v_cmp_ne_u32_e32 vcc, s0, v0
                                        ; implicit-def: $vgpr0
	s_and_saveexec_b64 s[0:1], vcc
	s_xor_b64 s[0:1], exec, s[0:1]
; %bb.7:
	v_bfe_u32 v0, v3, 16, 1
	s_movk_i32 s2, 0x7fff
	v_add3_u32 v0, v3, v0, s2
                                        ; implicit-def: $vgpr3
; %bb.8:
	s_andn2_saveexec_b64 s[0:1], s[0:1]
; %bb.9:
	v_mov_b32_e32 v0, 0
	v_or_b32_e32 v4, 0x10000, v3
	v_cmp_eq_u32_sdwa vcc, v3, v0 src0_sel:WORD_0 src1_sel:DWORD
	v_cndmask_b32_e32 v0, v4, v3, vcc
; %bb.10:
	s_or_b64 exec, exec, s[0:1]
	v_lshlrev_b64 v[1:2], 1, v[1:2]
	v_mov_b32_e32 v3, s7
	v_add_co_u32_e32 v1, vcc, s6, v1
	v_addc_co_u32_e32 v2, vcc, v3, v2, vcc
	global_store_short_d16_hi v[1:2], v0, off
.LBB79_11:
	s_endpgm
	.section	.rodata,"a",@progbits
	.p2align	6, 0x0
	.amdhsa_kernel _ZL28rocblas_dot_batched_4_kernelIiLi64ELi4ELb0Ef16rocblas_bfloat16PKPKS0_EviT5_lT_lS5_lS6_liPT4_
		.amdhsa_group_segment_fixed_size 0
		.amdhsa_private_segment_fixed_size 0
		.amdhsa_kernarg_size 88
		.amdhsa_user_sgpr_count 6
		.amdhsa_user_sgpr_private_segment_buffer 1
		.amdhsa_user_sgpr_dispatch_ptr 0
		.amdhsa_user_sgpr_queue_ptr 0
		.amdhsa_user_sgpr_kernarg_segment_ptr 1
		.amdhsa_user_sgpr_dispatch_id 0
		.amdhsa_user_sgpr_flat_scratch_init 0
		.amdhsa_user_sgpr_private_segment_size 0
		.amdhsa_uses_dynamic_stack 0
		.amdhsa_system_sgpr_private_segment_wavefront_offset 0
		.amdhsa_system_sgpr_workgroup_id_x 1
		.amdhsa_system_sgpr_workgroup_id_y 0
		.amdhsa_system_sgpr_workgroup_id_z 0
		.amdhsa_system_sgpr_workgroup_info 0
		.amdhsa_system_vgpr_workitem_id 1
		.amdhsa_next_free_vgpr 14
		.amdhsa_next_free_sgpr 20
		.amdhsa_reserve_vcc 1
		.amdhsa_reserve_flat_scratch 0
		.amdhsa_float_round_mode_32 0
		.amdhsa_float_round_mode_16_64 0
		.amdhsa_float_denorm_mode_32 3
		.amdhsa_float_denorm_mode_16_64 3
		.amdhsa_dx10_clamp 1
		.amdhsa_ieee_mode 1
		.amdhsa_fp16_overflow 0
		.amdhsa_exception_fp_ieee_invalid_op 0
		.amdhsa_exception_fp_denorm_src 0
		.amdhsa_exception_fp_ieee_div_zero 0
		.amdhsa_exception_fp_ieee_overflow 0
		.amdhsa_exception_fp_ieee_underflow 0
		.amdhsa_exception_fp_ieee_inexact 0
		.amdhsa_exception_int_div_zero 0
	.end_amdhsa_kernel
	.section	.text._ZL28rocblas_dot_batched_4_kernelIiLi64ELi4ELb0Ef16rocblas_bfloat16PKPKS0_EviT5_lT_lS5_lS6_liPT4_,"axG",@progbits,_ZL28rocblas_dot_batched_4_kernelIiLi64ELi4ELb0Ef16rocblas_bfloat16PKPKS0_EviT5_lT_lS5_lS6_liPT4_,comdat
.Lfunc_end79:
	.size	_ZL28rocblas_dot_batched_4_kernelIiLi64ELi4ELb0Ef16rocblas_bfloat16PKPKS0_EviT5_lT_lS5_lS6_liPT4_, .Lfunc_end79-_ZL28rocblas_dot_batched_4_kernelIiLi64ELi4ELb0Ef16rocblas_bfloat16PKPKS0_EviT5_lT_lS5_lS6_liPT4_
                                        ; -- End function
	.set _ZL28rocblas_dot_batched_4_kernelIiLi64ELi4ELb0Ef16rocblas_bfloat16PKPKS0_EviT5_lT_lS5_lS6_liPT4_.num_vgpr, 14
	.set _ZL28rocblas_dot_batched_4_kernelIiLi64ELi4ELb0Ef16rocblas_bfloat16PKPKS0_EviT5_lT_lS5_lS6_liPT4_.num_agpr, 0
	.set _ZL28rocblas_dot_batched_4_kernelIiLi64ELi4ELb0Ef16rocblas_bfloat16PKPKS0_EviT5_lT_lS5_lS6_liPT4_.numbered_sgpr, 20
	.set _ZL28rocblas_dot_batched_4_kernelIiLi64ELi4ELb0Ef16rocblas_bfloat16PKPKS0_EviT5_lT_lS5_lS6_liPT4_.num_named_barrier, 0
	.set _ZL28rocblas_dot_batched_4_kernelIiLi64ELi4ELb0Ef16rocblas_bfloat16PKPKS0_EviT5_lT_lS5_lS6_liPT4_.private_seg_size, 0
	.set _ZL28rocblas_dot_batched_4_kernelIiLi64ELi4ELb0Ef16rocblas_bfloat16PKPKS0_EviT5_lT_lS5_lS6_liPT4_.uses_vcc, 1
	.set _ZL28rocblas_dot_batched_4_kernelIiLi64ELi4ELb0Ef16rocblas_bfloat16PKPKS0_EviT5_lT_lS5_lS6_liPT4_.uses_flat_scratch, 0
	.set _ZL28rocblas_dot_batched_4_kernelIiLi64ELi4ELb0Ef16rocblas_bfloat16PKPKS0_EviT5_lT_lS5_lS6_liPT4_.has_dyn_sized_stack, 0
	.set _ZL28rocblas_dot_batched_4_kernelIiLi64ELi4ELb0Ef16rocblas_bfloat16PKPKS0_EviT5_lT_lS5_lS6_liPT4_.has_recursion, 0
	.set _ZL28rocblas_dot_batched_4_kernelIiLi64ELi4ELb0Ef16rocblas_bfloat16PKPKS0_EviT5_lT_lS5_lS6_liPT4_.has_indirect_call, 0
	.section	.AMDGPU.csdata,"",@progbits
; Kernel info:
; codeLenInByte = 720
; TotalNumSgprs: 24
; NumVgprs: 14
; ScratchSize: 0
; MemoryBound: 0
; FloatMode: 240
; IeeeMode: 1
; LDSByteSize: 0 bytes/workgroup (compile time only)
; SGPRBlocks: 2
; VGPRBlocks: 3
; NumSGPRsForWavesPerEU: 24
; NumVGPRsForWavesPerEU: 14
; Occupancy: 10
; WaveLimiterHint : 0
; COMPUTE_PGM_RSRC2:SCRATCH_EN: 0
; COMPUTE_PGM_RSRC2:USER_SGPR: 6
; COMPUTE_PGM_RSRC2:TRAP_HANDLER: 0
; COMPUTE_PGM_RSRC2:TGID_X_EN: 1
; COMPUTE_PGM_RSRC2:TGID_Y_EN: 0
; COMPUTE_PGM_RSRC2:TGID_Z_EN: 0
; COMPUTE_PGM_RSRC2:TIDIG_COMP_CNT: 1
	.section	.text._ZL26rocblas_dot_kernel_inc1by2ILb1ELi1024ELi32ELb0E16rocblas_bfloat16PKPKS0_fEviT4_llS5_lliPT5_PT3_,"axG",@progbits,_ZL26rocblas_dot_kernel_inc1by2ILb1ELi1024ELi32ELb0E16rocblas_bfloat16PKPKS0_fEviT4_llS5_lliPT5_PT3_,comdat
	.globl	_ZL26rocblas_dot_kernel_inc1by2ILb1ELi1024ELi32ELb0E16rocblas_bfloat16PKPKS0_fEviT4_llS5_lliPT5_PT3_ ; -- Begin function _ZL26rocblas_dot_kernel_inc1by2ILb1ELi1024ELi32ELb0E16rocblas_bfloat16PKPKS0_fEviT4_llS5_lliPT5_PT3_
	.p2align	8
	.type	_ZL26rocblas_dot_kernel_inc1by2ILb1ELi1024ELi32ELb0E16rocblas_bfloat16PKPKS0_fEviT4_llS5_lliPT5_PT3_,@function
_ZL26rocblas_dot_kernel_inc1by2ILb1ELi1024ELi32ELb0E16rocblas_bfloat16PKPKS0_fEviT4_llS5_lliPT5_PT3_: ; @_ZL26rocblas_dot_kernel_inc1by2ILb1ELi1024ELi32ELb0E16rocblas_bfloat16PKPKS0_fEviT4_llS5_lliPT5_PT3_
; %bb.0:
	s_load_dword s20, s[4:5], 0x0
	s_load_dwordx4 s[0:3], s[4:5], 0x8
	s_load_dwordx2 s[12:13], s[4:5], 0x48
	s_load_dwordx4 s[8:11], s[4:5], 0x20
	s_mov_b32 s6, s7
	s_mov_b32 s7, 0
	s_lshl_b64 s[14:15], s[6:7], 3
	s_waitcnt lgkmcnt(0)
	s_add_u32 s0, s0, s14
	s_addc_u32 s1, s1, s15
	s_load_dwordx2 s[4:5], s[0:1], 0x0
	s_add_u32 s0, s8, s14
	s_addc_u32 s1, s9, s15
	s_load_dwordx2 s[14:15], s[0:1], 0x0
	v_lshlrev_b32_e32 v6, 1, v0
	s_add_i32 s8, s20, -1
	v_cmp_gt_i32_e32 vcc, s8, v6
	v_mov_b32_e32 v5, 0
	s_and_saveexec_b64 s[16:17], vcc
	s_cbranch_execz .LBB80_4
; %bb.1:
	s_lshl_b64 s[0:1], s[10:11], 1
	s_waitcnt lgkmcnt(0)
	s_add_u32 s0, s14, s0
	v_lshlrev_b32_e32 v3, 2, v0
	s_addc_u32 s1, s15, s1
	v_mov_b32_e32 v2, s1
	v_add_co_u32_e32 v1, vcc, s0, v3
	s_lshl_b64 s[0:1], s[2:3], 1
	s_add_u32 s0, s4, s0
	v_addc_co_u32_e32 v2, vcc, 0, v2, vcc
	s_addc_u32 s1, s5, s1
	v_mov_b32_e32 v4, s1
	v_add_co_u32_e32 v3, vcc, s0, v3
	v_mov_b32_e32 v5, 0
	v_addc_co_u32_e32 v4, vcc, 0, v4, vcc
	s_mov_b64 s[18:19], 0
	s_mov_b32 s9, s7
.LBB80_2:                               ; =>This Inner Loop Header: Depth=1
	flat_load_dword v7, v[1:2]
	flat_load_dword v8, v[3:4]
	s_add_i32 s21, s9, 1
	v_add_u32_e32 v6, 0x800, v6
	s_cmp_gt_u32 s9, 30
	v_add_co_u32_e32 v1, vcc, 0x1000, v1
	v_cmp_le_i32_e64 s[0:1], s8, v6
	s_cselect_b64 s[22:23], -1, 0
	v_addc_co_u32_e32 v2, vcc, 0, v2, vcc
	s_or_b64 s[0:1], s[22:23], s[0:1]
	v_add_co_u32_e32 v3, vcc, 0x1000, v3
	s_and_b64 s[0:1], exec, s[0:1]
	s_mov_b32 s9, s21
	v_addc_co_u32_e32 v4, vcc, 0, v4, vcc
	s_or_b64 s[18:19], s[0:1], s[18:19]
	s_waitcnt vmcnt(0) lgkmcnt(0)
	v_and_b32_e32 v9, 0xffff0000, v7
	v_lshlrev_b32_e32 v7, 16, v7
	v_and_b32_e32 v10, 0xffff0000, v8
	v_lshlrev_b32_e32 v8, 16, v8
	v_fmac_f32_e32 v5, v7, v8
	v_fmac_f32_e32 v5, v9, v10
	s_andn2_b64 exec, exec, s[18:19]
	s_cbranch_execnz .LBB80_2
; %bb.3:
	s_or_b64 exec, exec, s[18:19]
.LBB80_4:
	s_or_b64 exec, exec, s[16:17]
	s_bitcmp1_b32 s20, 0
	s_cselect_b64 s[0:1], -1, 0
	v_cmp_eq_u32_e32 vcc, s8, v6
	s_and_b64 s[16:17], s[0:1], vcc
	s_and_saveexec_b64 s[0:1], s[16:17]
	s_cbranch_execz .LBB80_6
; %bb.5:
	s_lshl_b64 s[2:3], s[2:3], 1
	s_waitcnt lgkmcnt(0)
	s_add_u32 s16, s4, s2
	s_addc_u32 s17, s5, s3
	s_lshl_b64 s[2:3], s[10:11], 1
	s_add_u32 s4, s14, s2
	s_mov_b32 s9, 0
	s_addc_u32 s5, s15, s3
	s_lshl_b64 s[2:3], s[8:9], 1
	s_add_u32 s4, s4, s2
	s_addc_u32 s5, s5, s3
	s_add_u32 s2, s16, s2
	s_addc_u32 s3, s17, s3
	v_mov_b32_e32 v4, s3
	v_mov_b32_e32 v1, s4
	;; [unrolled: 1-line block ×4, first 2 shown]
	flat_load_ushort v6, v[3:4]
	flat_load_ushort v7, v[1:2]
	s_waitcnt vmcnt(0) lgkmcnt(0)
	v_lshlrev_b32_e32 v1, 16, v6
	v_lshlrev_b32_e32 v2, 16, v7
	v_fmac_f32_e32 v5, v2, v1
.LBB80_6:
	s_or_b64 exec, exec, s[0:1]
	v_and_b32_e32 v3, 63, v0
	v_cmp_gt_u32_e32 vcc, 64, v0
	v_lshlrev_b32_e32 v1, 2, v3
	s_and_saveexec_b64 s[0:1], vcc
; %bb.7:
	v_mov_b32_e32 v2, 0
	ds_write_b32 v1, v2
; %bb.8:
	s_or_b64 exec, exec, s[0:1]
	v_mbcnt_lo_u32_b32 v2, -1, 0
	v_mbcnt_hi_u32_b32 v6, -1, v2
	v_mov_b32_e32 v2, 0x80
	v_lshl_or_b32 v2, v6, 2, v2
	ds_bpermute_b32 v2, v2, v5
	v_and_b32_e32 v7, 63, v6
	v_cmp_gt_u32_e64 s[0:1], 48, v7
	v_cndmask_b32_e64 v4, 0, 16, s[0:1]
	v_cmp_gt_u32_e64 s[0:1], 56, v7
	s_waitcnt lgkmcnt(0)
	v_add_f32_e32 v5, v5, v2
	v_add_lshl_u32 v2, v4, v6, 2
	ds_bpermute_b32 v4, v2, v5
	v_cndmask_b32_e64 v2, 0, 8, s[0:1]
	v_add_lshl_u32 v2, v2, v6, 2
	v_cmp_gt_u32_e64 s[0:1], 60, v7
	s_waitcnt lgkmcnt(0)
	v_add_f32_e32 v5, v5, v4
	ds_bpermute_b32 v8, v2, v5
	v_cndmask_b32_e64 v4, 0, 4, s[0:1]
	v_add_lshl_u32 v4, v4, v6, 2
	v_cmp_gt_u32_e64 s[0:1], 62, v7
	s_waitcnt lgkmcnt(0)
	s_barrier
	v_add_f32_e32 v8, v5, v8
	ds_bpermute_b32 v9, v4, v8
	v_cndmask_b32_e64 v5, 0, 2, s[0:1]
	v_add_lshl_u32 v5, v5, v6, 2
	v_cmp_ne_u32_e64 s[0:1], 63, v7
	v_addc_co_u32_e64 v6, s[0:1], 0, v6, s[0:1]
	s_waitcnt lgkmcnt(0)
	v_add_f32_e32 v8, v8, v9
	ds_bpermute_b32 v9, v5, v8
	v_lshlrev_b32_e32 v6, 2, v6
	v_cmp_eq_u32_e64 s[0:1], 0, v3
	s_waitcnt lgkmcnt(0)
	v_add_f32_e32 v7, v8, v9
	ds_bpermute_b32 v8, v6, v7
	s_and_saveexec_b64 s[2:3], s[0:1]
	s_cbranch_execz .LBB80_10
; %bb.9:
	s_waitcnt lgkmcnt(0)
	v_add_f32_e32 v3, v7, v8
	v_lshrrev_b32_e32 v7, 4, v0
	v_and_b32_e32 v7, 60, v7
	ds_write_b32 v7, v3
.LBB80_10:
	s_or_b64 exec, exec, s[2:3]
	v_cmp_gt_u32_e64 s[0:1], 16, v0
	v_mov_b32_e32 v3, 0
	s_waitcnt lgkmcnt(0)
	s_barrier
	s_and_saveexec_b64 s[2:3], s[0:1]
	s_cbranch_execnz .LBB80_14
; %bb.11:
	s_or_b64 exec, exec, s[2:3]
	s_and_saveexec_b64 s[0:1], vcc
	s_cbranch_execnz .LBB80_15
.LBB80_12:
	s_or_b64 exec, exec, s[0:1]
	v_cmp_eq_u32_e32 vcc, 0, v0
	s_and_saveexec_b64 s[0:1], vcc
	s_cbranch_execnz .LBB80_16
.LBB80_13:
	s_endpgm
.LBB80_14:
	ds_read_b32 v3, v1
	s_or_b64 exec, exec, s[2:3]
	s_and_saveexec_b64 s[0:1], vcc
	s_cbranch_execz .LBB80_12
.LBB80_15:
	s_waitcnt lgkmcnt(0)
	ds_bpermute_b32 v1, v2, v3
	s_waitcnt lgkmcnt(0)
	v_add_f32_e32 v1, v3, v1
	ds_bpermute_b32 v2, v4, v1
	s_waitcnt lgkmcnt(0)
	v_add_f32_e32 v1, v1, v2
	;; [unrolled: 3-line block ×4, first 2 shown]
	s_or_b64 exec, exec, s[0:1]
	v_cmp_eq_u32_e32 vcc, 0, v0
	s_and_saveexec_b64 s[0:1], vcc
	s_cbranch_execz .LBB80_13
.LBB80_16:
	s_mov_b32 s0, 0x7f800000
	s_waitcnt lgkmcnt(0)
	v_and_b32_e32 v0, 0x7f800000, v3
	v_cmp_ne_u32_e32 vcc, s0, v0
                                        ; implicit-def: $vgpr0
	s_and_saveexec_b64 s[0:1], vcc
	s_xor_b64 s[0:1], exec, s[0:1]
; %bb.17:
	v_bfe_u32 v0, v3, 16, 1
	s_movk_i32 s2, 0x7fff
	v_add3_u32 v0, v3, v0, s2
                                        ; implicit-def: $vgpr3
; %bb.18:
	s_andn2_saveexec_b64 s[0:1], s[0:1]
; %bb.19:
	v_mov_b32_e32 v0, 0
	v_or_b32_e32 v1, 0x10000, v3
	v_cmp_eq_u32_sdwa vcc, v3, v0 src0_sel:WORD_0 src1_sel:DWORD
	v_cndmask_b32_e32 v0, v1, v3, vcc
; %bb.20:
	s_or_b64 exec, exec, s[0:1]
	s_lshl_b64 s[0:1], s[6:7], 1
	s_add_u32 s0, s12, s0
	s_addc_u32 s1, s13, s1
	v_mov_b32_e32 v1, 0
	global_store_short_d16_hi v1, v0, s[0:1]
	s_endpgm
	.section	.rodata,"a",@progbits
	.p2align	6, 0x0
	.amdhsa_kernel _ZL26rocblas_dot_kernel_inc1by2ILb1ELi1024ELi32ELb0E16rocblas_bfloat16PKPKS0_fEviT4_llS5_lliPT5_PT3_
		.amdhsa_group_segment_fixed_size 256
		.amdhsa_private_segment_fixed_size 0
		.amdhsa_kernarg_size 80
		.amdhsa_user_sgpr_count 6
		.amdhsa_user_sgpr_private_segment_buffer 1
		.amdhsa_user_sgpr_dispatch_ptr 0
		.amdhsa_user_sgpr_queue_ptr 0
		.amdhsa_user_sgpr_kernarg_segment_ptr 1
		.amdhsa_user_sgpr_dispatch_id 0
		.amdhsa_user_sgpr_flat_scratch_init 0
		.amdhsa_user_sgpr_private_segment_size 0
		.amdhsa_uses_dynamic_stack 0
		.amdhsa_system_sgpr_private_segment_wavefront_offset 0
		.amdhsa_system_sgpr_workgroup_id_x 1
		.amdhsa_system_sgpr_workgroup_id_y 0
		.amdhsa_system_sgpr_workgroup_id_z 1
		.amdhsa_system_sgpr_workgroup_info 0
		.amdhsa_system_vgpr_workitem_id 0
		.amdhsa_next_free_vgpr 11
		.amdhsa_next_free_sgpr 24
		.amdhsa_reserve_vcc 1
		.amdhsa_reserve_flat_scratch 0
		.amdhsa_float_round_mode_32 0
		.amdhsa_float_round_mode_16_64 0
		.amdhsa_float_denorm_mode_32 3
		.amdhsa_float_denorm_mode_16_64 3
		.amdhsa_dx10_clamp 1
		.amdhsa_ieee_mode 1
		.amdhsa_fp16_overflow 0
		.amdhsa_exception_fp_ieee_invalid_op 0
		.amdhsa_exception_fp_denorm_src 0
		.amdhsa_exception_fp_ieee_div_zero 0
		.amdhsa_exception_fp_ieee_overflow 0
		.amdhsa_exception_fp_ieee_underflow 0
		.amdhsa_exception_fp_ieee_inexact 0
		.amdhsa_exception_int_div_zero 0
	.end_amdhsa_kernel
	.section	.text._ZL26rocblas_dot_kernel_inc1by2ILb1ELi1024ELi32ELb0E16rocblas_bfloat16PKPKS0_fEviT4_llS5_lliPT5_PT3_,"axG",@progbits,_ZL26rocblas_dot_kernel_inc1by2ILb1ELi1024ELi32ELb0E16rocblas_bfloat16PKPKS0_fEviT4_llS5_lliPT5_PT3_,comdat
.Lfunc_end80:
	.size	_ZL26rocblas_dot_kernel_inc1by2ILb1ELi1024ELi32ELb0E16rocblas_bfloat16PKPKS0_fEviT4_llS5_lliPT5_PT3_, .Lfunc_end80-_ZL26rocblas_dot_kernel_inc1by2ILb1ELi1024ELi32ELb0E16rocblas_bfloat16PKPKS0_fEviT4_llS5_lliPT5_PT3_
                                        ; -- End function
	.set _ZL26rocblas_dot_kernel_inc1by2ILb1ELi1024ELi32ELb0E16rocblas_bfloat16PKPKS0_fEviT4_llS5_lliPT5_PT3_.num_vgpr, 11
	.set _ZL26rocblas_dot_kernel_inc1by2ILb1ELi1024ELi32ELb0E16rocblas_bfloat16PKPKS0_fEviT4_llS5_lliPT5_PT3_.num_agpr, 0
	.set _ZL26rocblas_dot_kernel_inc1by2ILb1ELi1024ELi32ELb0E16rocblas_bfloat16PKPKS0_fEviT4_llS5_lliPT5_PT3_.numbered_sgpr, 24
	.set _ZL26rocblas_dot_kernel_inc1by2ILb1ELi1024ELi32ELb0E16rocblas_bfloat16PKPKS0_fEviT4_llS5_lliPT5_PT3_.num_named_barrier, 0
	.set _ZL26rocblas_dot_kernel_inc1by2ILb1ELi1024ELi32ELb0E16rocblas_bfloat16PKPKS0_fEviT4_llS5_lliPT5_PT3_.private_seg_size, 0
	.set _ZL26rocblas_dot_kernel_inc1by2ILb1ELi1024ELi32ELb0E16rocblas_bfloat16PKPKS0_fEviT4_llS5_lliPT5_PT3_.uses_vcc, 1
	.set _ZL26rocblas_dot_kernel_inc1by2ILb1ELi1024ELi32ELb0E16rocblas_bfloat16PKPKS0_fEviT4_llS5_lliPT5_PT3_.uses_flat_scratch, 0
	.set _ZL26rocblas_dot_kernel_inc1by2ILb1ELi1024ELi32ELb0E16rocblas_bfloat16PKPKS0_fEviT4_llS5_lliPT5_PT3_.has_dyn_sized_stack, 0
	.set _ZL26rocblas_dot_kernel_inc1by2ILb1ELi1024ELi32ELb0E16rocblas_bfloat16PKPKS0_fEviT4_llS5_lliPT5_PT3_.has_recursion, 0
	.set _ZL26rocblas_dot_kernel_inc1by2ILb1ELi1024ELi32ELb0E16rocblas_bfloat16PKPKS0_fEviT4_llS5_lliPT5_PT3_.has_indirect_call, 0
	.section	.AMDGPU.csdata,"",@progbits
; Kernel info:
; codeLenInByte = 1032
; TotalNumSgprs: 28
; NumVgprs: 11
; ScratchSize: 0
; MemoryBound: 0
; FloatMode: 240
; IeeeMode: 1
; LDSByteSize: 256 bytes/workgroup (compile time only)
; SGPRBlocks: 3
; VGPRBlocks: 2
; NumSGPRsForWavesPerEU: 28
; NumVGPRsForWavesPerEU: 11
; Occupancy: 10
; WaveLimiterHint : 1
; COMPUTE_PGM_RSRC2:SCRATCH_EN: 0
; COMPUTE_PGM_RSRC2:USER_SGPR: 6
; COMPUTE_PGM_RSRC2:TRAP_HANDLER: 0
; COMPUTE_PGM_RSRC2:TGID_X_EN: 1
; COMPUTE_PGM_RSRC2:TGID_Y_EN: 0
; COMPUTE_PGM_RSRC2:TGID_Z_EN: 1
; COMPUTE_PGM_RSRC2:TIDIG_COMP_CNT: 0
	.section	.text._ZL18rocblas_dot_kernelIiLb1ELi1024ELi32ELb0E16rocblas_bfloat16PKPKS0_fEviT5_lT_lS5_lS6_liPT6_PT4_,"axG",@progbits,_ZL18rocblas_dot_kernelIiLb1ELi1024ELi32ELb0E16rocblas_bfloat16PKPKS0_fEviT5_lT_lS5_lS6_liPT6_PT4_,comdat
	.globl	_ZL18rocblas_dot_kernelIiLb1ELi1024ELi32ELb0E16rocblas_bfloat16PKPKS0_fEviT5_lT_lS5_lS6_liPT6_PT4_ ; -- Begin function _ZL18rocblas_dot_kernelIiLb1ELi1024ELi32ELb0E16rocblas_bfloat16PKPKS0_fEviT5_lT_lS5_lS6_liPT6_PT4_
	.p2align	8
	.type	_ZL18rocblas_dot_kernelIiLb1ELi1024ELi32ELb0E16rocblas_bfloat16PKPKS0_fEviT5_lT_lS5_lS6_liPT6_PT4_,@function
_ZL18rocblas_dot_kernelIiLb1ELi1024ELi32ELb0E16rocblas_bfloat16PKPKS0_fEviT5_lT_lS5_lS6_liPT6_PT4_: ; @_ZL18rocblas_dot_kernelIiLb1ELi1024ELi32ELb0E16rocblas_bfloat16PKPKS0_fEviT5_lT_lS5_lS6_liPT6_PT4_
; %bb.0:
	s_load_dword s14, s[4:5], 0x0
	s_load_dwordx2 s[8:9], s[4:5], 0x58
	s_mov_b32 s6, s7
	s_mov_b32 s7, 0
	v_mov_b32_e32 v5, 0
	s_waitcnt lgkmcnt(0)
	v_cmp_gt_i32_e32 vcc, s14, v0
	s_and_saveexec_b64 s[10:11], vcc
	s_cbranch_execz .LBB81_4
; %bb.1:
	s_load_dwordx4 s[16:19], s[4:5], 0x8
	s_load_dwordx4 s[0:3], s[4:5], 0x28
	s_load_dword s22, s[4:5], 0x18
	s_lshl_b64 s[12:13], s[6:7], 3
	s_waitcnt lgkmcnt(0)
	s_add_u32 s16, s16, s12
	s_addc_u32 s17, s17, s13
	s_load_dwordx2 s[20:21], s[16:17], 0x0
	s_load_dword s23, s[4:5], 0x38
	s_load_dword s15, s[4:5], 0x60
	v_mad_i64_i32 v[1:2], s[4:5], s22, v0, 0
	s_add_u32 s0, s0, s12
	s_addc_u32 s1, s1, s13
	s_waitcnt lgkmcnt(0)
	s_lshl_b32 s15, s15, 10
	s_lshl_b64 s[4:5], s[18:19], 1
	v_lshlrev_b64 v[1:2], 1, v[1:2]
	s_add_u32 s4, s20, s4
	s_addc_u32 s5, s21, s5
	s_load_dwordx2 s[0:1], s[0:1], 0x0
	v_mov_b32_e32 v3, s5
	v_add_co_u32_e32 v1, vcc, s4, v1
	v_addc_co_u32_e32 v2, vcc, v3, v2, vcc
	v_mad_i64_i32 v[3:4], s[4:5], s23, v0, 0
	s_mul_hi_i32 s5, s22, s15
	s_mul_i32 s4, s22, s15
	s_lshl_b64 s[4:5], s[4:5], 1
	s_lshl_b64 s[2:3], s[2:3], 1
	v_lshlrev_b64 v[3:4], 1, v[3:4]
	s_waitcnt lgkmcnt(0)
	s_add_u32 s0, s0, s2
	s_addc_u32 s1, s1, s3
	v_mov_b32_e32 v5, s1
	v_add_co_u32_e32 v3, vcc, s0, v3
	s_mul_hi_i32 s1, s23, s15
	s_mul_i32 s0, s23, s15
	s_lshl_b64 s[2:3], s[0:1], 1
	v_or_b32_e32 v6, s15, v0
	v_addc_co_u32_e32 v4, vcc, v5, v4, vcc
	v_mov_b32_e32 v5, 0
	s_mov_b64 s[12:13], 0
	v_mov_b32_e32 v7, s5
	v_mov_b32_e32 v8, s3
	s_mov_b32 s3, s7
.LBB81_2:                               ; =>This Inner Loop Header: Depth=1
	flat_load_ushort v9, v[1:2]
	flat_load_ushort v10, v[3:4]
	v_add_co_u32_e64 v1, s[0:1], s4, v1
	v_addc_co_u32_e64 v2, s[0:1], v2, v7, s[0:1]
	s_add_i32 s5, s3, 1
	v_add_co_u32_e64 v3, s[0:1], s2, v3
	v_addc_co_u32_e64 v4, s[0:1], v4, v8, s[0:1]
	s_cmp_gt_u32 s3, 30
	v_cmp_le_i32_e32 vcc, s14, v6
	s_cselect_b64 s[0:1], -1, 0
	s_or_b64 s[0:1], s[0:1], vcc
	s_and_b64 s[0:1], exec, s[0:1]
	v_add_u32_e32 v6, s15, v6
	s_mov_b32 s3, s5
	s_or_b64 s[12:13], s[0:1], s[12:13]
	s_waitcnt vmcnt(0) lgkmcnt(0)
	v_lshlrev_b32_e32 v9, 16, v9
	v_lshlrev_b32_e32 v10, 16, v10
	v_fmac_f32_e32 v5, v10, v9
	s_andn2_b64 exec, exec, s[12:13]
	s_cbranch_execnz .LBB81_2
; %bb.3:
	s_or_b64 exec, exec, s[12:13]
.LBB81_4:
	s_or_b64 exec, exec, s[10:11]
	v_and_b32_e32 v3, 63, v0
	v_cmp_gt_u32_e32 vcc, 64, v0
	v_lshlrev_b32_e32 v1, 2, v3
	s_and_saveexec_b64 s[0:1], vcc
; %bb.5:
	v_mov_b32_e32 v2, 0
	ds_write_b32 v1, v2
; %bb.6:
	s_or_b64 exec, exec, s[0:1]
	v_mbcnt_lo_u32_b32 v2, -1, 0
	v_mbcnt_hi_u32_b32 v6, -1, v2
	v_mov_b32_e32 v2, 0x80
	v_lshl_or_b32 v2, v6, 2, v2
	ds_bpermute_b32 v2, v2, v5
	v_and_b32_e32 v7, 63, v6
	v_cmp_gt_u32_e64 s[0:1], 48, v7
	v_cndmask_b32_e64 v4, 0, 16, s[0:1]
	v_cmp_gt_u32_e64 s[0:1], 56, v7
	s_waitcnt lgkmcnt(0)
	v_add_f32_e32 v5, v5, v2
	v_add_lshl_u32 v2, v4, v6, 2
	ds_bpermute_b32 v4, v2, v5
	v_cndmask_b32_e64 v2, 0, 8, s[0:1]
	v_add_lshl_u32 v2, v2, v6, 2
	v_cmp_gt_u32_e64 s[0:1], 60, v7
	s_waitcnt lgkmcnt(0)
	v_add_f32_e32 v5, v5, v4
	ds_bpermute_b32 v8, v2, v5
	v_cndmask_b32_e64 v4, 0, 4, s[0:1]
	v_add_lshl_u32 v4, v4, v6, 2
	v_cmp_gt_u32_e64 s[0:1], 62, v7
	s_waitcnt lgkmcnt(0)
	s_barrier
	v_add_f32_e32 v8, v5, v8
	ds_bpermute_b32 v9, v4, v8
	v_cndmask_b32_e64 v5, 0, 2, s[0:1]
	v_add_lshl_u32 v5, v5, v6, 2
	v_cmp_ne_u32_e64 s[0:1], 63, v7
	v_addc_co_u32_e64 v6, s[0:1], 0, v6, s[0:1]
	s_waitcnt lgkmcnt(0)
	v_add_f32_e32 v8, v8, v9
	ds_bpermute_b32 v9, v5, v8
	v_lshlrev_b32_e32 v6, 2, v6
	v_cmp_eq_u32_e64 s[0:1], 0, v3
	s_waitcnt lgkmcnt(0)
	v_add_f32_e32 v7, v8, v9
	ds_bpermute_b32 v8, v6, v7
	s_and_saveexec_b64 s[2:3], s[0:1]
	s_cbranch_execz .LBB81_8
; %bb.7:
	s_waitcnt lgkmcnt(0)
	v_add_f32_e32 v3, v7, v8
	v_lshrrev_b32_e32 v7, 4, v0
	v_and_b32_e32 v7, 60, v7
	ds_write_b32 v7, v3
.LBB81_8:
	s_or_b64 exec, exec, s[2:3]
	v_cmp_gt_u32_e64 s[0:1], 16, v0
	v_mov_b32_e32 v3, 0
	s_waitcnt lgkmcnt(0)
	s_barrier
	s_and_saveexec_b64 s[2:3], s[0:1]
	s_cbranch_execnz .LBB81_12
; %bb.9:
	s_or_b64 exec, exec, s[2:3]
	s_and_saveexec_b64 s[0:1], vcc
	s_cbranch_execnz .LBB81_13
.LBB81_10:
	s_or_b64 exec, exec, s[0:1]
	v_cmp_eq_u32_e32 vcc, 0, v0
	s_and_saveexec_b64 s[0:1], vcc
	s_cbranch_execnz .LBB81_14
.LBB81_11:
	s_endpgm
.LBB81_12:
	ds_read_b32 v3, v1
	s_or_b64 exec, exec, s[2:3]
	s_and_saveexec_b64 s[0:1], vcc
	s_cbranch_execz .LBB81_10
.LBB81_13:
	s_waitcnt lgkmcnt(0)
	ds_bpermute_b32 v1, v2, v3
	s_waitcnt lgkmcnt(0)
	v_add_f32_e32 v1, v3, v1
	ds_bpermute_b32 v2, v4, v1
	s_waitcnt lgkmcnt(0)
	v_add_f32_e32 v1, v1, v2
	;; [unrolled: 3-line block ×4, first 2 shown]
	s_or_b64 exec, exec, s[0:1]
	v_cmp_eq_u32_e32 vcc, 0, v0
	s_and_saveexec_b64 s[0:1], vcc
	s_cbranch_execz .LBB81_11
.LBB81_14:
	s_mov_b32 s0, 0x7f800000
	s_waitcnt lgkmcnt(0)
	v_and_b32_e32 v0, 0x7f800000, v3
	v_cmp_ne_u32_e32 vcc, s0, v0
                                        ; implicit-def: $vgpr0
	s_and_saveexec_b64 s[0:1], vcc
	s_xor_b64 s[0:1], exec, s[0:1]
; %bb.15:
	v_bfe_u32 v0, v3, 16, 1
	s_movk_i32 s2, 0x7fff
	v_add3_u32 v0, v3, v0, s2
                                        ; implicit-def: $vgpr3
; %bb.16:
	s_andn2_saveexec_b64 s[0:1], s[0:1]
; %bb.17:
	v_mov_b32_e32 v0, 0
	v_or_b32_e32 v1, 0x10000, v3
	v_cmp_eq_u32_sdwa vcc, v3, v0 src0_sel:WORD_0 src1_sel:DWORD
	v_cndmask_b32_e32 v0, v1, v3, vcc
; %bb.18:
	s_or_b64 exec, exec, s[0:1]
	s_lshl_b64 s[0:1], s[6:7], 1
	s_add_u32 s0, s8, s0
	s_addc_u32 s1, s9, s1
	v_mov_b32_e32 v1, 0
	global_store_short_d16_hi v1, v0, s[0:1]
	s_endpgm
	.section	.rodata,"a",@progbits
	.p2align	6, 0x0
	.amdhsa_kernel _ZL18rocblas_dot_kernelIiLb1ELi1024ELi32ELb0E16rocblas_bfloat16PKPKS0_fEviT5_lT_lS5_lS6_liPT6_PT4_
		.amdhsa_group_segment_fixed_size 256
		.amdhsa_private_segment_fixed_size 0
		.amdhsa_kernarg_size 352
		.amdhsa_user_sgpr_count 6
		.amdhsa_user_sgpr_private_segment_buffer 1
		.amdhsa_user_sgpr_dispatch_ptr 0
		.amdhsa_user_sgpr_queue_ptr 0
		.amdhsa_user_sgpr_kernarg_segment_ptr 1
		.amdhsa_user_sgpr_dispatch_id 0
		.amdhsa_user_sgpr_flat_scratch_init 0
		.amdhsa_user_sgpr_private_segment_size 0
		.amdhsa_uses_dynamic_stack 0
		.amdhsa_system_sgpr_private_segment_wavefront_offset 0
		.amdhsa_system_sgpr_workgroup_id_x 1
		.amdhsa_system_sgpr_workgroup_id_y 0
		.amdhsa_system_sgpr_workgroup_id_z 1
		.amdhsa_system_sgpr_workgroup_info 0
		.amdhsa_system_vgpr_workitem_id 0
		.amdhsa_next_free_vgpr 11
		.amdhsa_next_free_sgpr 24
		.amdhsa_reserve_vcc 1
		.amdhsa_reserve_flat_scratch 0
		.amdhsa_float_round_mode_32 0
		.amdhsa_float_round_mode_16_64 0
		.amdhsa_float_denorm_mode_32 3
		.amdhsa_float_denorm_mode_16_64 3
		.amdhsa_dx10_clamp 1
		.amdhsa_ieee_mode 1
		.amdhsa_fp16_overflow 0
		.amdhsa_exception_fp_ieee_invalid_op 0
		.amdhsa_exception_fp_denorm_src 0
		.amdhsa_exception_fp_ieee_div_zero 0
		.amdhsa_exception_fp_ieee_overflow 0
		.amdhsa_exception_fp_ieee_underflow 0
		.amdhsa_exception_fp_ieee_inexact 0
		.amdhsa_exception_int_div_zero 0
	.end_amdhsa_kernel
	.section	.text._ZL18rocblas_dot_kernelIiLb1ELi1024ELi32ELb0E16rocblas_bfloat16PKPKS0_fEviT5_lT_lS5_lS6_liPT6_PT4_,"axG",@progbits,_ZL18rocblas_dot_kernelIiLb1ELi1024ELi32ELb0E16rocblas_bfloat16PKPKS0_fEviT5_lT_lS5_lS6_liPT6_PT4_,comdat
.Lfunc_end81:
	.size	_ZL18rocblas_dot_kernelIiLb1ELi1024ELi32ELb0E16rocblas_bfloat16PKPKS0_fEviT5_lT_lS5_lS6_liPT6_PT4_, .Lfunc_end81-_ZL18rocblas_dot_kernelIiLb1ELi1024ELi32ELb0E16rocblas_bfloat16PKPKS0_fEviT5_lT_lS5_lS6_liPT6_PT4_
                                        ; -- End function
	.set _ZL18rocblas_dot_kernelIiLb1ELi1024ELi32ELb0E16rocblas_bfloat16PKPKS0_fEviT5_lT_lS5_lS6_liPT6_PT4_.num_vgpr, 11
	.set _ZL18rocblas_dot_kernelIiLb1ELi1024ELi32ELb0E16rocblas_bfloat16PKPKS0_fEviT5_lT_lS5_lS6_liPT6_PT4_.num_agpr, 0
	.set _ZL18rocblas_dot_kernelIiLb1ELi1024ELi32ELb0E16rocblas_bfloat16PKPKS0_fEviT5_lT_lS5_lS6_liPT6_PT4_.numbered_sgpr, 24
	.set _ZL18rocblas_dot_kernelIiLb1ELi1024ELi32ELb0E16rocblas_bfloat16PKPKS0_fEviT5_lT_lS5_lS6_liPT6_PT4_.num_named_barrier, 0
	.set _ZL18rocblas_dot_kernelIiLb1ELi1024ELi32ELb0E16rocblas_bfloat16PKPKS0_fEviT5_lT_lS5_lS6_liPT6_PT4_.private_seg_size, 0
	.set _ZL18rocblas_dot_kernelIiLb1ELi1024ELi32ELb0E16rocblas_bfloat16PKPKS0_fEviT5_lT_lS5_lS6_liPT6_PT4_.uses_vcc, 1
	.set _ZL18rocblas_dot_kernelIiLb1ELi1024ELi32ELb0E16rocblas_bfloat16PKPKS0_fEviT5_lT_lS5_lS6_liPT6_PT4_.uses_flat_scratch, 0
	.set _ZL18rocblas_dot_kernelIiLb1ELi1024ELi32ELb0E16rocblas_bfloat16PKPKS0_fEviT5_lT_lS5_lS6_liPT6_PT4_.has_dyn_sized_stack, 0
	.set _ZL18rocblas_dot_kernelIiLb1ELi1024ELi32ELb0E16rocblas_bfloat16PKPKS0_fEviT5_lT_lS5_lS6_liPT6_PT4_.has_recursion, 0
	.set _ZL18rocblas_dot_kernelIiLb1ELi1024ELi32ELb0E16rocblas_bfloat16PKPKS0_fEviT5_lT_lS5_lS6_liPT6_PT4_.has_indirect_call, 0
	.section	.AMDGPU.csdata,"",@progbits
; Kernel info:
; codeLenInByte = 976
; TotalNumSgprs: 28
; NumVgprs: 11
; ScratchSize: 0
; MemoryBound: 0
; FloatMode: 240
; IeeeMode: 1
; LDSByteSize: 256 bytes/workgroup (compile time only)
; SGPRBlocks: 3
; VGPRBlocks: 2
; NumSGPRsForWavesPerEU: 28
; NumVGPRsForWavesPerEU: 11
; Occupancy: 10
; WaveLimiterHint : 0
; COMPUTE_PGM_RSRC2:SCRATCH_EN: 0
; COMPUTE_PGM_RSRC2:USER_SGPR: 6
; COMPUTE_PGM_RSRC2:TRAP_HANDLER: 0
; COMPUTE_PGM_RSRC2:TGID_X_EN: 1
; COMPUTE_PGM_RSRC2:TGID_Y_EN: 0
; COMPUTE_PGM_RSRC2:TGID_Z_EN: 1
; COMPUTE_PGM_RSRC2:TIDIG_COMP_CNT: 0
	.section	.text._ZL24rocblas_dot_kernel_magsqIiLb1ELi1024ELi32ELb0E16rocblas_bfloat16PKPKS0_fEviT5_lT_liPT6_PT4_,"axG",@progbits,_ZL24rocblas_dot_kernel_magsqIiLb1ELi1024ELi32ELb0E16rocblas_bfloat16PKPKS0_fEviT5_lT_liPT6_PT4_,comdat
	.globl	_ZL24rocblas_dot_kernel_magsqIiLb1ELi1024ELi32ELb0E16rocblas_bfloat16PKPKS0_fEviT5_lT_liPT6_PT4_ ; -- Begin function _ZL24rocblas_dot_kernel_magsqIiLb1ELi1024ELi32ELb0E16rocblas_bfloat16PKPKS0_fEviT5_lT_liPT6_PT4_
	.p2align	8
	.type	_ZL24rocblas_dot_kernel_magsqIiLb1ELi1024ELi32ELb0E16rocblas_bfloat16PKPKS0_fEviT5_lT_liPT6_PT4_,@function
_ZL24rocblas_dot_kernel_magsqIiLb1ELi1024ELi32ELb0E16rocblas_bfloat16PKPKS0_fEviT5_lT_liPT6_PT4_: ; @_ZL24rocblas_dot_kernel_magsqIiLb1ELi1024ELi32ELb0E16rocblas_bfloat16PKPKS0_fEviT5_lT_liPT6_PT4_
; %bb.0:
	s_mov_b32 s2, s7
	s_load_dword s12, s[4:5], 0x0
	s_load_dwordx2 s[6:7], s[4:5], 0x38
	s_mov_b32 s3, 0
	v_mov_b32_e32 v3, 0
	s_waitcnt lgkmcnt(0)
	v_cmp_gt_i32_e32 vcc, s12, v0
	s_and_saveexec_b64 s[8:9], vcc
	s_cbranch_execz .LBB82_4
; %bb.1:
	s_load_dwordx4 s[16:19], s[4:5], 0x8
	s_lshl_b64 s[0:1], s[2:3], 3
	s_load_dword s10, s[4:5], 0x18
	s_load_dword s11, s[4:5], 0x40
	s_waitcnt lgkmcnt(0)
	s_add_u32 s0, s16, s0
	s_addc_u32 s1, s17, s1
	s_load_dwordx2 s[0:1], s[0:1], 0x0
	v_mad_i64_i32 v[1:2], s[4:5], s10, v0, 0
	s_lshl_b32 s13, s11, 10
	s_lshl_b64 s[4:5], s[18:19], 1
	v_lshlrev_b64 v[1:2], 1, v[1:2]
	s_waitcnt lgkmcnt(0)
	s_add_u32 s0, s0, s4
	s_addc_u32 s1, s1, s5
	v_mov_b32_e32 v3, s1
	v_add_co_u32_e32 v1, vcc, s0, v1
	s_mul_hi_i32 s1, s10, s13
	s_mul_i32 s0, s10, s13
	s_lshl_b64 s[4:5], s[0:1], 1
	v_or_b32_e32 v4, s13, v0
	v_addc_co_u32_e32 v2, vcc, v3, v2, vcc
	v_mov_b32_e32 v3, 0
	s_mov_b64 s[10:11], 0
	v_mov_b32_e32 v5, s5
	s_mov_b32 s5, s3
.LBB82_2:                               ; =>This Inner Loop Header: Depth=1
	flat_load_ushort v6, v[1:2]
	s_add_i32 s14, s5, 1
	v_add_co_u32_e64 v1, s[0:1], s4, v1
	v_addc_co_u32_e64 v2, s[0:1], v2, v5, s[0:1]
	s_cmp_gt_u32 s5, 30
	v_cmp_le_i32_e32 vcc, s12, v4
	s_cselect_b64 s[0:1], -1, 0
	s_or_b64 s[0:1], s[0:1], vcc
	s_and_b64 s[0:1], exec, s[0:1]
	v_add_u32_e32 v4, s13, v4
	s_mov_b32 s5, s14
	s_or_b64 s[10:11], s[0:1], s[10:11]
	s_waitcnt vmcnt(0) lgkmcnt(0)
	v_lshlrev_b32_e32 v6, 16, v6
	v_fmac_f32_e32 v3, v6, v6
	s_andn2_b64 exec, exec, s[10:11]
	s_cbranch_execnz .LBB82_2
; %bb.3:
	s_or_b64 exec, exec, s[10:11]
.LBB82_4:
	s_or_b64 exec, exec, s[8:9]
	v_and_b32_e32 v5, 63, v0
	v_cmp_gt_u32_e32 vcc, 64, v0
	v_lshlrev_b32_e32 v1, 2, v5
	s_and_saveexec_b64 s[0:1], vcc
; %bb.5:
	v_mov_b32_e32 v2, 0
	ds_write_b32 v1, v2
; %bb.6:
	s_or_b64 exec, exec, s[0:1]
	v_mbcnt_lo_u32_b32 v2, -1, 0
	v_mbcnt_hi_u32_b32 v7, -1, v2
	v_mov_b32_e32 v2, 0x80
	v_lshl_or_b32 v2, v7, 2, v2
	ds_bpermute_b32 v2, v2, v3
	v_and_b32_e32 v8, 63, v7
	v_cmp_gt_u32_e64 s[0:1], 48, v8
	v_cndmask_b32_e64 v4, 0, 16, s[0:1]
	v_cmp_gt_u32_e64 s[0:1], 56, v8
	s_waitcnt lgkmcnt(0)
	v_add_f32_e32 v3, v3, v2
	v_add_lshl_u32 v2, v4, v7, 2
	ds_bpermute_b32 v4, v2, v3
	v_cndmask_b32_e64 v2, 0, 8, s[0:1]
	v_add_lshl_u32 v2, v2, v7, 2
	v_cmp_gt_u32_e64 s[0:1], 60, v8
	s_waitcnt lgkmcnt(0)
	v_add_f32_e32 v3, v3, v4
	ds_bpermute_b32 v6, v2, v3
	v_cndmask_b32_e64 v4, 0, 4, s[0:1]
	v_add_lshl_u32 v4, v4, v7, 2
	v_cmp_gt_u32_e64 s[0:1], 62, v8
	s_waitcnt lgkmcnt(0)
	s_barrier
	v_add_f32_e32 v3, v3, v6
	ds_bpermute_b32 v9, v4, v3
	v_cndmask_b32_e64 v6, 0, 2, s[0:1]
	v_add_lshl_u32 v6, v6, v7, 2
	v_cmp_ne_u32_e64 s[0:1], 63, v8
	v_addc_co_u32_e64 v7, s[0:1], 0, v7, s[0:1]
	s_waitcnt lgkmcnt(0)
	v_add_f32_e32 v3, v3, v9
	ds_bpermute_b32 v9, v6, v3
	v_lshlrev_b32_e32 v7, 2, v7
	v_cmp_eq_u32_e64 s[0:1], 0, v5
	s_waitcnt lgkmcnt(0)
	v_add_f32_e32 v3, v3, v9
	ds_bpermute_b32 v8, v7, v3
	s_and_saveexec_b64 s[4:5], s[0:1]
	s_cbranch_execz .LBB82_8
; %bb.7:
	v_lshrrev_b32_e32 v5, 4, v0
	s_waitcnt lgkmcnt(0)
	v_add_f32_e32 v3, v3, v8
	v_and_b32_e32 v5, 60, v5
	ds_write_b32 v5, v3
.LBB82_8:
	s_or_b64 exec, exec, s[4:5]
	v_cmp_gt_u32_e64 s[0:1], 16, v0
	v_mov_b32_e32 v3, 0
	s_waitcnt lgkmcnt(0)
	s_barrier
	s_and_saveexec_b64 s[4:5], s[0:1]
	s_cbranch_execnz .LBB82_12
; %bb.9:
	s_or_b64 exec, exec, s[4:5]
	s_and_saveexec_b64 s[0:1], vcc
	s_cbranch_execnz .LBB82_13
.LBB82_10:
	s_or_b64 exec, exec, s[0:1]
	v_cmp_eq_u32_e32 vcc, 0, v0
	s_and_saveexec_b64 s[0:1], vcc
	s_cbranch_execnz .LBB82_14
.LBB82_11:
	s_endpgm
.LBB82_12:
	ds_read_b32 v3, v1
	s_or_b64 exec, exec, s[4:5]
	s_and_saveexec_b64 s[0:1], vcc
	s_cbranch_execz .LBB82_10
.LBB82_13:
	s_waitcnt lgkmcnt(0)
	ds_bpermute_b32 v1, v2, v3
	s_waitcnt lgkmcnt(0)
	v_add_f32_e32 v1, v3, v1
	ds_bpermute_b32 v2, v4, v1
	s_waitcnt lgkmcnt(0)
	v_add_f32_e32 v1, v1, v2
	;; [unrolled: 3-line block ×4, first 2 shown]
	s_or_b64 exec, exec, s[0:1]
	v_cmp_eq_u32_e32 vcc, 0, v0
	s_and_saveexec_b64 s[0:1], vcc
	s_cbranch_execz .LBB82_11
.LBB82_14:
	s_mov_b32 s0, 0x7f800000
	s_waitcnt lgkmcnt(0)
	v_and_b32_e32 v0, 0x7f800000, v3
	v_cmp_ne_u32_e32 vcc, s0, v0
                                        ; implicit-def: $vgpr0
	s_and_saveexec_b64 s[0:1], vcc
	s_xor_b64 s[0:1], exec, s[0:1]
; %bb.15:
	v_bfe_u32 v0, v3, 16, 1
	s_movk_i32 s4, 0x7fff
	v_add3_u32 v0, v3, v0, s4
                                        ; implicit-def: $vgpr3
; %bb.16:
	s_andn2_saveexec_b64 s[0:1], s[0:1]
; %bb.17:
	v_mov_b32_e32 v0, 0
	v_or_b32_e32 v1, 0x10000, v3
	v_cmp_eq_u32_sdwa vcc, v3, v0 src0_sel:WORD_0 src1_sel:DWORD
	v_cndmask_b32_e32 v0, v1, v3, vcc
; %bb.18:
	s_or_b64 exec, exec, s[0:1]
	s_lshl_b64 s[0:1], s[2:3], 1
	s_add_u32 s0, s6, s0
	s_addc_u32 s1, s7, s1
	v_mov_b32_e32 v1, 0
	global_store_short_d16_hi v1, v0, s[0:1]
	s_endpgm
	.section	.rodata,"a",@progbits
	.p2align	6, 0x0
	.amdhsa_kernel _ZL24rocblas_dot_kernel_magsqIiLb1ELi1024ELi32ELb0E16rocblas_bfloat16PKPKS0_fEviT5_lT_liPT6_PT4_
		.amdhsa_group_segment_fixed_size 256
		.amdhsa_private_segment_fixed_size 0
		.amdhsa_kernarg_size 320
		.amdhsa_user_sgpr_count 6
		.amdhsa_user_sgpr_private_segment_buffer 1
		.amdhsa_user_sgpr_dispatch_ptr 0
		.amdhsa_user_sgpr_queue_ptr 0
		.amdhsa_user_sgpr_kernarg_segment_ptr 1
		.amdhsa_user_sgpr_dispatch_id 0
		.amdhsa_user_sgpr_flat_scratch_init 0
		.amdhsa_user_sgpr_private_segment_size 0
		.amdhsa_uses_dynamic_stack 0
		.amdhsa_system_sgpr_private_segment_wavefront_offset 0
		.amdhsa_system_sgpr_workgroup_id_x 1
		.amdhsa_system_sgpr_workgroup_id_y 0
		.amdhsa_system_sgpr_workgroup_id_z 1
		.amdhsa_system_sgpr_workgroup_info 0
		.amdhsa_system_vgpr_workitem_id 0
		.amdhsa_next_free_vgpr 10
		.amdhsa_next_free_sgpr 20
		.amdhsa_reserve_vcc 1
		.amdhsa_reserve_flat_scratch 0
		.amdhsa_float_round_mode_32 0
		.amdhsa_float_round_mode_16_64 0
		.amdhsa_float_denorm_mode_32 3
		.amdhsa_float_denorm_mode_16_64 3
		.amdhsa_dx10_clamp 1
		.amdhsa_ieee_mode 1
		.amdhsa_fp16_overflow 0
		.amdhsa_exception_fp_ieee_invalid_op 0
		.amdhsa_exception_fp_denorm_src 0
		.amdhsa_exception_fp_ieee_div_zero 0
		.amdhsa_exception_fp_ieee_overflow 0
		.amdhsa_exception_fp_ieee_underflow 0
		.amdhsa_exception_fp_ieee_inexact 0
		.amdhsa_exception_int_div_zero 0
	.end_amdhsa_kernel
	.section	.text._ZL24rocblas_dot_kernel_magsqIiLb1ELi1024ELi32ELb0E16rocblas_bfloat16PKPKS0_fEviT5_lT_liPT6_PT4_,"axG",@progbits,_ZL24rocblas_dot_kernel_magsqIiLb1ELi1024ELi32ELb0E16rocblas_bfloat16PKPKS0_fEviT5_lT_liPT6_PT4_,comdat
.Lfunc_end82:
	.size	_ZL24rocblas_dot_kernel_magsqIiLb1ELi1024ELi32ELb0E16rocblas_bfloat16PKPKS0_fEviT5_lT_liPT6_PT4_, .Lfunc_end82-_ZL24rocblas_dot_kernel_magsqIiLb1ELi1024ELi32ELb0E16rocblas_bfloat16PKPKS0_fEviT5_lT_liPT6_PT4_
                                        ; -- End function
	.set _ZL24rocblas_dot_kernel_magsqIiLb1ELi1024ELi32ELb0E16rocblas_bfloat16PKPKS0_fEviT5_lT_liPT6_PT4_.num_vgpr, 10
	.set _ZL24rocblas_dot_kernel_magsqIiLb1ELi1024ELi32ELb0E16rocblas_bfloat16PKPKS0_fEviT5_lT_liPT6_PT4_.num_agpr, 0
	.set _ZL24rocblas_dot_kernel_magsqIiLb1ELi1024ELi32ELb0E16rocblas_bfloat16PKPKS0_fEviT5_lT_liPT6_PT4_.numbered_sgpr, 20
	.set _ZL24rocblas_dot_kernel_magsqIiLb1ELi1024ELi32ELb0E16rocblas_bfloat16PKPKS0_fEviT5_lT_liPT6_PT4_.num_named_barrier, 0
	.set _ZL24rocblas_dot_kernel_magsqIiLb1ELi1024ELi32ELb0E16rocblas_bfloat16PKPKS0_fEviT5_lT_liPT6_PT4_.private_seg_size, 0
	.set _ZL24rocblas_dot_kernel_magsqIiLb1ELi1024ELi32ELb0E16rocblas_bfloat16PKPKS0_fEviT5_lT_liPT6_PT4_.uses_vcc, 1
	.set _ZL24rocblas_dot_kernel_magsqIiLb1ELi1024ELi32ELb0E16rocblas_bfloat16PKPKS0_fEviT5_lT_liPT6_PT4_.uses_flat_scratch, 0
	.set _ZL24rocblas_dot_kernel_magsqIiLb1ELi1024ELi32ELb0E16rocblas_bfloat16PKPKS0_fEviT5_lT_liPT6_PT4_.has_dyn_sized_stack, 0
	.set _ZL24rocblas_dot_kernel_magsqIiLb1ELi1024ELi32ELb0E16rocblas_bfloat16PKPKS0_fEviT5_lT_liPT6_PT4_.has_recursion, 0
	.set _ZL24rocblas_dot_kernel_magsqIiLb1ELi1024ELi32ELb0E16rocblas_bfloat16PKPKS0_fEviT5_lT_liPT6_PT4_.has_indirect_call, 0
	.section	.AMDGPU.csdata,"",@progbits
; Kernel info:
; codeLenInByte = 856
; TotalNumSgprs: 24
; NumVgprs: 10
; ScratchSize: 0
; MemoryBound: 0
; FloatMode: 240
; IeeeMode: 1
; LDSByteSize: 256 bytes/workgroup (compile time only)
; SGPRBlocks: 2
; VGPRBlocks: 2
; NumSGPRsForWavesPerEU: 24
; NumVGPRsForWavesPerEU: 10
; Occupancy: 10
; WaveLimiterHint : 0
; COMPUTE_PGM_RSRC2:SCRATCH_EN: 0
; COMPUTE_PGM_RSRC2:USER_SGPR: 6
; COMPUTE_PGM_RSRC2:TRAP_HANDLER: 0
; COMPUTE_PGM_RSRC2:TGID_X_EN: 1
; COMPUTE_PGM_RSRC2:TGID_Y_EN: 0
; COMPUTE_PGM_RSRC2:TGID_Z_EN: 1
; COMPUTE_PGM_RSRC2:TIDIG_COMP_CNT: 0
	.section	.text._ZL23rocblas_dot_kernel_inc1ILb0ELi512ELi8ELb0E16rocblas_bfloat16PKPKS0_fEviT4_llS5_lliPT5_PT3_,"axG",@progbits,_ZL23rocblas_dot_kernel_inc1ILb0ELi512ELi8ELb0E16rocblas_bfloat16PKPKS0_fEviT4_llS5_lliPT5_PT3_,comdat
	.globl	_ZL23rocblas_dot_kernel_inc1ILb0ELi512ELi8ELb0E16rocblas_bfloat16PKPKS0_fEviT4_llS5_lliPT5_PT3_ ; -- Begin function _ZL23rocblas_dot_kernel_inc1ILb0ELi512ELi8ELb0E16rocblas_bfloat16PKPKS0_fEviT4_llS5_lliPT5_PT3_
	.p2align	8
	.type	_ZL23rocblas_dot_kernel_inc1ILb0ELi512ELi8ELb0E16rocblas_bfloat16PKPKS0_fEviT4_llS5_lliPT5_PT3_,@function
_ZL23rocblas_dot_kernel_inc1ILb0ELi512ELi8ELb0E16rocblas_bfloat16PKPKS0_fEviT4_llS5_lliPT5_PT3_: ; @_ZL23rocblas_dot_kernel_inc1ILb0ELi512ELi8ELb0E16rocblas_bfloat16PKPKS0_fEviT4_llS5_lliPT5_PT3_
; %bb.0:
	s_mov_b32 s2, s7
	s_load_dword s18, s[4:5], 0x50
	s_load_dword s7, s[4:5], 0x0
	s_load_dwordx4 s[8:11], s[4:5], 0x40
	v_lshl_or_b32 v3, s6, 9, v0
	s_mov_b32 s3, 0
	v_mov_b32_e32 v5, 0
	s_waitcnt lgkmcnt(0)
	v_cmp_gt_i32_e32 vcc, s7, v3
	s_and_saveexec_b64 s[12:13], vcc
	s_cbranch_execz .LBB83_4
; %bb.1:
	s_load_dwordx4 s[20:23], s[4:5], 0x8
	s_load_dwordx4 s[24:27], s[4:5], 0x20
	s_lshl_b64 s[0:1], s[2:3], 3
	v_ashrrev_i32_e32 v4, 31, v3
	v_lshlrev_b64 v[1:2], 1, v[3:4]
	s_waitcnt lgkmcnt(0)
	s_add_u32 s4, s20, s0
	s_addc_u32 s5, s21, s1
	s_load_dwordx2 s[4:5], s[4:5], 0x0
	s_lshl_b64 s[14:15], s[22:23], 1
	v_mov_b32_e32 v5, 0
	s_waitcnt lgkmcnt(0)
	s_add_u32 s19, s4, s14
	s_addc_u32 s14, s5, s15
	s_add_u32 s0, s24, s0
	s_addc_u32 s1, s25, s1
	s_load_dwordx2 s[0:1], s[0:1], 0x0
	v_mov_b32_e32 v4, s14
	s_lshl_b64 s[14:15], s[26:27], 1
	s_mov_b64 s[4:5], 0
	s_waitcnt lgkmcnt(0)
	s_add_u32 s20, s0, s14
	s_addc_u32 s0, s1, s15
	s_lshl_b32 s14, s18, 9
	s_ashr_i32 s15, s14, 31
	s_lshl_b64 s[16:17], s[14:15], 1
	v_add_u32_e32 v3, s14, v3
	v_mov_b32_e32 v6, s0
	v_mov_b32_e32 v7, s17
	s_mov_b32 s15, s3
.LBB83_2:                               ; =>This Inner Loop Header: Depth=1
	v_add_co_u32_e32 v8, vcc, s20, v1
	v_addc_co_u32_e32 v9, vcc, v6, v2, vcc
	v_add_co_u32_e32 v10, vcc, s19, v1
	v_addc_co_u32_e32 v11, vcc, v4, v2, vcc
	flat_load_ushort v12, v[10:11]
	flat_load_ushort v13, v[8:9]
	s_add_i32 s17, s15, 1
	v_add_co_u32_e64 v1, s[0:1], s16, v1
	v_addc_co_u32_e64 v2, s[0:1], v2, v7, s[0:1]
	s_cmp_gt_u32 s15, 6
	v_cmp_le_i32_e32 vcc, s7, v3
	s_cselect_b64 s[0:1], -1, 0
	s_or_b64 s[0:1], s[0:1], vcc
	s_and_b64 s[0:1], exec, s[0:1]
	v_add_u32_e32 v3, s14, v3
	s_mov_b32 s15, s17
	s_or_b64 s[4:5], s[0:1], s[4:5]
	s_waitcnt vmcnt(0) lgkmcnt(0)
	v_lshlrev_b32_e32 v8, 16, v12
	v_lshlrev_b32_e32 v9, 16, v13
	v_fmac_f32_e32 v5, v9, v8
	s_andn2_b64 exec, exec, s[4:5]
	s_cbranch_execnz .LBB83_2
; %bb.3:
	s_or_b64 exec, exec, s[4:5]
.LBB83_4:
	s_or_b64 exec, exec, s[12:13]
	v_and_b32_e32 v1, 63, v0
	v_cmp_gt_u32_e32 vcc, 64, v0
	v_lshlrev_b32_e32 v2, 2, v1
	s_and_saveexec_b64 s[0:1], vcc
; %bb.5:
	v_mov_b32_e32 v3, 0
	ds_write_b32 v2, v3
; %bb.6:
	s_or_b64 exec, exec, s[0:1]
	v_mbcnt_lo_u32_b32 v3, -1, 0
	v_mbcnt_hi_u32_b32 v6, -1, v3
	v_mov_b32_e32 v3, 0x80
	v_lshl_or_b32 v3, v6, 2, v3
	ds_bpermute_b32 v3, v3, v5
	v_and_b32_e32 v7, 63, v6
	v_cmp_gt_u32_e64 s[0:1], 48, v7
	v_cndmask_b32_e64 v4, 0, 16, s[0:1]
	v_add_lshl_u32 v4, v4, v6, 2
	s_waitcnt lgkmcnt(0)
	v_add_f32_e32 v3, v5, v3
	ds_bpermute_b32 v4, v4, v3
	v_cmp_gt_u32_e64 s[0:1], 56, v7
	v_cndmask_b32_e64 v5, 0, 8, s[0:1]
	v_add_lshl_u32 v5, v5, v6, 2
	v_cmp_gt_u32_e64 s[0:1], 60, v7
	s_waitcnt lgkmcnt(0)
	v_add_f32_e32 v4, v3, v4
	ds_bpermute_b32 v5, v5, v4
	v_cndmask_b32_e64 v3, 0, 4, s[0:1]
	v_add_lshl_u32 v3, v3, v6, 2
	v_cmp_gt_u32_e64 s[0:1], 62, v7
	s_waitcnt lgkmcnt(0)
	v_add_f32_e32 v5, v4, v5
	ds_bpermute_b32 v8, v3, v5
	v_cndmask_b32_e64 v4, 0, 2, s[0:1]
	v_add_lshl_u32 v4, v4, v6, 2
	v_cmp_ne_u32_e64 s[0:1], 63, v7
	v_addc_co_u32_e64 v7, s[0:1], 0, v6, s[0:1]
	s_waitcnt lgkmcnt(0)
	v_add_f32_e32 v5, v5, v8
	ds_bpermute_b32 v8, v4, v5
	v_cmp_eq_u32_e64 s[0:1], 0, v1
	s_waitcnt lgkmcnt(0)
	s_barrier
	v_add_f32_e32 v6, v5, v8
	v_lshlrev_b32_e32 v5, 2, v7
	ds_bpermute_b32 v7, v5, v6
	s_and_saveexec_b64 s[4:5], s[0:1]
	s_cbranch_execz .LBB83_8
; %bb.7:
	s_waitcnt lgkmcnt(0)
	v_add_f32_e32 v1, v6, v7
	v_lshrrev_b32_e32 v6, 4, v0
	v_and_b32_e32 v6, 28, v6
	ds_write_b32 v6, v1
.LBB83_8:
	s_or_b64 exec, exec, s[4:5]
	v_cmp_gt_u32_e64 s[0:1], 8, v0
	v_mov_b32_e32 v1, 0
	s_waitcnt lgkmcnt(0)
	s_barrier
	s_and_saveexec_b64 s[4:5], s[0:1]
	s_cbranch_execnz .LBB83_12
; %bb.9:
	s_or_b64 exec, exec, s[4:5]
	s_and_saveexec_b64 s[0:1], vcc
	s_cbranch_execnz .LBB83_13
.LBB83_10:
	s_or_b64 exec, exec, s[0:1]
	v_cmp_eq_u32_e32 vcc, 0, v0
	s_and_saveexec_b64 s[0:1], vcc
	s_cbranch_execnz .LBB83_14
.LBB83_11:
	s_endpgm
.LBB83_12:
	ds_read_b32 v1, v2
	s_or_b64 exec, exec, s[4:5]
	s_and_saveexec_b64 s[0:1], vcc
	s_cbranch_execz .LBB83_10
.LBB83_13:
	s_waitcnt lgkmcnt(0)
	ds_bpermute_b32 v2, v3, v1
	s_waitcnt lgkmcnt(0)
	v_add_f32_e32 v1, v1, v2
	ds_bpermute_b32 v2, v4, v1
	s_waitcnt lgkmcnt(0)
	v_add_f32_e32 v1, v1, v2
	;; [unrolled: 3-line block ×3, first 2 shown]
	s_or_b64 exec, exec, s[0:1]
	v_cmp_eq_u32_e32 vcc, 0, v0
	s_and_saveexec_b64 s[0:1], vcc
	s_cbranch_execz .LBB83_11
.LBB83_14:
	s_cmp_lg_u32 s18, 1
	s_mov_b64 s[0:1], -1
	s_cbranch_scc0 .LBB83_16
; %bb.15:
	s_mul_hi_u32 s1, s18, s2
	s_mul_i32 s0, s18, s2
	s_lshl_b64 s[0:1], s[0:1], 2
	s_mov_b32 s7, 0
	s_add_u32 s4, s8, s0
	s_addc_u32 s5, s9, s1
	s_lshl_b64 s[0:1], s[6:7], 2
	s_add_u32 s0, s4, s0
	s_addc_u32 s1, s5, s1
	v_mov_b32_e32 v0, 0
	s_waitcnt lgkmcnt(0)
	global_store_dword v0, v1, s[0:1]
	s_mov_b64 s[0:1], 0
.LBB83_16:
	s_andn2_b64 vcc, exec, s[0:1]
	s_cbranch_vccnz .LBB83_11
; %bb.17:
	s_mov_b32 s0, 0x7f800000
	s_waitcnt lgkmcnt(0)
	v_and_b32_e32 v0, 0x7f800000, v1
	v_cmp_ne_u32_e32 vcc, s0, v0
                                        ; implicit-def: $vgpr0
	s_and_saveexec_b64 s[0:1], vcc
	s_xor_b64 s[0:1], exec, s[0:1]
; %bb.18:
	v_bfe_u32 v0, v1, 16, 1
	s_movk_i32 s4, 0x7fff
	v_add3_u32 v0, v1, v0, s4
                                        ; implicit-def: $vgpr1
; %bb.19:
	s_andn2_saveexec_b64 s[0:1], s[0:1]
; %bb.20:
	v_mov_b32_e32 v0, 0
	v_or_b32_e32 v2, 0x10000, v1
	v_cmp_eq_u32_sdwa vcc, v1, v0 src0_sel:WORD_0 src1_sel:DWORD
	v_cndmask_b32_e32 v0, v2, v1, vcc
; %bb.21:
	s_or_b64 exec, exec, s[0:1]
	s_lshl_b64 s[0:1], s[2:3], 1
	s_add_u32 s0, s10, s0
	s_addc_u32 s1, s11, s1
	v_mov_b32_e32 v1, 0
	global_store_short_d16_hi v1, v0, s[0:1]
	s_endpgm
	.section	.rodata,"a",@progbits
	.p2align	6, 0x0
	.amdhsa_kernel _ZL23rocblas_dot_kernel_inc1ILb0ELi512ELi8ELb0E16rocblas_bfloat16PKPKS0_fEviT4_llS5_lliPT5_PT3_
		.amdhsa_group_segment_fixed_size 256
		.amdhsa_private_segment_fixed_size 0
		.amdhsa_kernarg_size 336
		.amdhsa_user_sgpr_count 6
		.amdhsa_user_sgpr_private_segment_buffer 1
		.amdhsa_user_sgpr_dispatch_ptr 0
		.amdhsa_user_sgpr_queue_ptr 0
		.amdhsa_user_sgpr_kernarg_segment_ptr 1
		.amdhsa_user_sgpr_dispatch_id 0
		.amdhsa_user_sgpr_flat_scratch_init 0
		.amdhsa_user_sgpr_private_segment_size 0
		.amdhsa_uses_dynamic_stack 0
		.amdhsa_system_sgpr_private_segment_wavefront_offset 0
		.amdhsa_system_sgpr_workgroup_id_x 1
		.amdhsa_system_sgpr_workgroup_id_y 0
		.amdhsa_system_sgpr_workgroup_id_z 1
		.amdhsa_system_sgpr_workgroup_info 0
		.amdhsa_system_vgpr_workitem_id 0
		.amdhsa_next_free_vgpr 14
		.amdhsa_next_free_sgpr 28
		.amdhsa_reserve_vcc 1
		.amdhsa_reserve_flat_scratch 0
		.amdhsa_float_round_mode_32 0
		.amdhsa_float_round_mode_16_64 0
		.amdhsa_float_denorm_mode_32 3
		.amdhsa_float_denorm_mode_16_64 3
		.amdhsa_dx10_clamp 1
		.amdhsa_ieee_mode 1
		.amdhsa_fp16_overflow 0
		.amdhsa_exception_fp_ieee_invalid_op 0
		.amdhsa_exception_fp_denorm_src 0
		.amdhsa_exception_fp_ieee_div_zero 0
		.amdhsa_exception_fp_ieee_overflow 0
		.amdhsa_exception_fp_ieee_underflow 0
		.amdhsa_exception_fp_ieee_inexact 0
		.amdhsa_exception_int_div_zero 0
	.end_amdhsa_kernel
	.section	.text._ZL23rocblas_dot_kernel_inc1ILb0ELi512ELi8ELb0E16rocblas_bfloat16PKPKS0_fEviT4_llS5_lliPT5_PT3_,"axG",@progbits,_ZL23rocblas_dot_kernel_inc1ILb0ELi512ELi8ELb0E16rocblas_bfloat16PKPKS0_fEviT4_llS5_lliPT5_PT3_,comdat
.Lfunc_end83:
	.size	_ZL23rocblas_dot_kernel_inc1ILb0ELi512ELi8ELb0E16rocblas_bfloat16PKPKS0_fEviT4_llS5_lliPT5_PT3_, .Lfunc_end83-_ZL23rocblas_dot_kernel_inc1ILb0ELi512ELi8ELb0E16rocblas_bfloat16PKPKS0_fEviT4_llS5_lliPT5_PT3_
                                        ; -- End function
	.set _ZL23rocblas_dot_kernel_inc1ILb0ELi512ELi8ELb0E16rocblas_bfloat16PKPKS0_fEviT4_llS5_lliPT5_PT3_.num_vgpr, 14
	.set _ZL23rocblas_dot_kernel_inc1ILb0ELi512ELi8ELb0E16rocblas_bfloat16PKPKS0_fEviT4_llS5_lliPT5_PT3_.num_agpr, 0
	.set _ZL23rocblas_dot_kernel_inc1ILb0ELi512ELi8ELb0E16rocblas_bfloat16PKPKS0_fEviT4_llS5_lliPT5_PT3_.numbered_sgpr, 28
	.set _ZL23rocblas_dot_kernel_inc1ILb0ELi512ELi8ELb0E16rocblas_bfloat16PKPKS0_fEviT4_llS5_lliPT5_PT3_.num_named_barrier, 0
	.set _ZL23rocblas_dot_kernel_inc1ILb0ELi512ELi8ELb0E16rocblas_bfloat16PKPKS0_fEviT4_llS5_lliPT5_PT3_.private_seg_size, 0
	.set _ZL23rocblas_dot_kernel_inc1ILb0ELi512ELi8ELb0E16rocblas_bfloat16PKPKS0_fEviT4_llS5_lliPT5_PT3_.uses_vcc, 1
	.set _ZL23rocblas_dot_kernel_inc1ILb0ELi512ELi8ELb0E16rocblas_bfloat16PKPKS0_fEviT4_llS5_lliPT5_PT3_.uses_flat_scratch, 0
	.set _ZL23rocblas_dot_kernel_inc1ILb0ELi512ELi8ELb0E16rocblas_bfloat16PKPKS0_fEviT4_llS5_lliPT5_PT3_.has_dyn_sized_stack, 0
	.set _ZL23rocblas_dot_kernel_inc1ILb0ELi512ELi8ELb0E16rocblas_bfloat16PKPKS0_fEviT4_llS5_lliPT5_PT3_.has_recursion, 0
	.set _ZL23rocblas_dot_kernel_inc1ILb0ELi512ELi8ELb0E16rocblas_bfloat16PKPKS0_fEviT4_llS5_lliPT5_PT3_.has_indirect_call, 0
	.section	.AMDGPU.csdata,"",@progbits
; Kernel info:
; codeLenInByte = 972
; TotalNumSgprs: 32
; NumVgprs: 14
; ScratchSize: 0
; MemoryBound: 0
; FloatMode: 240
; IeeeMode: 1
; LDSByteSize: 256 bytes/workgroup (compile time only)
; SGPRBlocks: 3
; VGPRBlocks: 3
; NumSGPRsForWavesPerEU: 32
; NumVGPRsForWavesPerEU: 14
; Occupancy: 10
; WaveLimiterHint : 1
; COMPUTE_PGM_RSRC2:SCRATCH_EN: 0
; COMPUTE_PGM_RSRC2:USER_SGPR: 6
; COMPUTE_PGM_RSRC2:TRAP_HANDLER: 0
; COMPUTE_PGM_RSRC2:TGID_X_EN: 1
; COMPUTE_PGM_RSRC2:TGID_Y_EN: 0
; COMPUTE_PGM_RSRC2:TGID_Z_EN: 1
; COMPUTE_PGM_RSRC2:TIDIG_COMP_CNT: 0
	.section	.text._ZL18rocblas_dot_kernelIiLb0ELi512ELi8ELb0E16rocblas_bfloat16PKPKS0_fEviT5_lT_lS5_lS6_liPT6_PT4_,"axG",@progbits,_ZL18rocblas_dot_kernelIiLb0ELi512ELi8ELb0E16rocblas_bfloat16PKPKS0_fEviT5_lT_lS5_lS6_liPT6_PT4_,comdat
	.globl	_ZL18rocblas_dot_kernelIiLb0ELi512ELi8ELb0E16rocblas_bfloat16PKPKS0_fEviT5_lT_lS5_lS6_liPT6_PT4_ ; -- Begin function _ZL18rocblas_dot_kernelIiLb0ELi512ELi8ELb0E16rocblas_bfloat16PKPKS0_fEviT5_lT_lS5_lS6_liPT6_PT4_
	.p2align	8
	.type	_ZL18rocblas_dot_kernelIiLb0ELi512ELi8ELb0E16rocblas_bfloat16PKPKS0_fEviT5_lT_lS5_lS6_liPT6_PT4_,@function
_ZL18rocblas_dot_kernelIiLb0ELi512ELi8ELb0E16rocblas_bfloat16PKPKS0_fEviT5_lT_lS5_lS6_liPT6_PT4_: ; @_ZL18rocblas_dot_kernelIiLb0ELi512ELi8ELb0E16rocblas_bfloat16PKPKS0_fEviT5_lT_lS5_lS6_liPT6_PT4_
; %bb.0:
	s_mov_b32 s2, s7
	s_load_dword s18, s[4:5], 0x60
	s_load_dword s7, s[4:5], 0x0
	s_load_dwordx4 s[8:11], s[4:5], 0x50
	v_lshl_or_b32 v3, s6, 9, v0
	s_mov_b32 s3, 0
	v_mov_b32_e32 v5, 0
	s_waitcnt lgkmcnt(0)
	v_cmp_gt_i32_e32 vcc, s7, v3
	s_and_saveexec_b64 s[12:13], vcc
	s_cbranch_execz .LBB84_4
; %bb.1:
	s_load_dwordx4 s[20:23], s[4:5], 0x8
	s_load_dword s16, s[4:5], 0x18
	s_load_dwordx4 s[24:27], s[4:5], 0x28
	s_load_dword s17, s[4:5], 0x38
	s_lshl_b64 s[0:1], s[2:3], 3
	s_waitcnt lgkmcnt(0)
	s_add_u32 s4, s20, s0
	s_addc_u32 s5, s21, s1
	s_load_dwordx2 s[4:5], s[4:5], 0x0
	v_mad_i64_i32 v[1:2], s[14:15], s16, v3, 0
	s_add_u32 s0, s24, s0
	s_addc_u32 s1, s25, s1
	s_lshl_b32 s19, s18, 9
	s_lshl_b64 s[14:15], s[22:23], 1
	v_lshlrev_b64 v[1:2], 1, v[1:2]
	s_waitcnt lgkmcnt(0)
	s_add_u32 s4, s4, s14
	s_addc_u32 s5, s5, s15
	s_load_dwordx2 s[0:1], s[0:1], 0x0
	v_mov_b32_e32 v4, s5
	v_add_co_u32_e32 v1, vcc, s4, v1
	v_add_u32_e32 v6, s19, v3
	v_addc_co_u32_e32 v2, vcc, v4, v2, vcc
	v_mad_i64_i32 v[3:4], s[4:5], s17, v3, 0
	s_mul_hi_i32 s5, s16, s19
	s_mul_i32 s4, s16, s19
	s_lshl_b64 s[4:5], s[4:5], 1
	s_lshl_b64 s[14:15], s[26:27], 1
	v_lshlrev_b64 v[3:4], 1, v[3:4]
	s_waitcnt lgkmcnt(0)
	s_add_u32 s0, s0, s14
	s_addc_u32 s1, s1, s15
	v_mov_b32_e32 v5, s1
	v_add_co_u32_e32 v3, vcc, s0, v3
	s_mul_hi_i32 s1, s17, s19
	s_mul_i32 s0, s17, s19
	s_lshl_b64 s[14:15], s[0:1], 1
	v_addc_co_u32_e32 v4, vcc, v5, v4, vcc
	v_mov_b32_e32 v5, 0
	s_mov_b64 s[16:17], 0
	v_mov_b32_e32 v7, s5
	v_mov_b32_e32 v8, s15
	s_mov_b32 s5, s3
.LBB84_2:                               ; =>This Inner Loop Header: Depth=1
	flat_load_ushort v9, v[1:2]
	flat_load_ushort v10, v[3:4]
	v_add_co_u32_e64 v1, s[0:1], s4, v1
	v_addc_co_u32_e64 v2, s[0:1], v2, v7, s[0:1]
	s_add_i32 s15, s5, 1
	v_add_co_u32_e64 v3, s[0:1], s14, v3
	v_addc_co_u32_e64 v4, s[0:1], v4, v8, s[0:1]
	s_cmp_gt_u32 s5, 6
	v_cmp_le_i32_e32 vcc, s7, v6
	s_cselect_b64 s[0:1], -1, 0
	s_or_b64 s[0:1], s[0:1], vcc
	s_and_b64 s[0:1], exec, s[0:1]
	v_add_u32_e32 v6, s19, v6
	s_mov_b32 s5, s15
	s_or_b64 s[16:17], s[0:1], s[16:17]
	s_waitcnt vmcnt(0) lgkmcnt(0)
	v_lshlrev_b32_e32 v9, 16, v9
	v_lshlrev_b32_e32 v10, 16, v10
	v_fmac_f32_e32 v5, v10, v9
	s_andn2_b64 exec, exec, s[16:17]
	s_cbranch_execnz .LBB84_2
; %bb.3:
	s_or_b64 exec, exec, s[16:17]
.LBB84_4:
	s_or_b64 exec, exec, s[12:13]
	v_and_b32_e32 v1, 63, v0
	v_cmp_gt_u32_e32 vcc, 64, v0
	v_lshlrev_b32_e32 v2, 2, v1
	s_and_saveexec_b64 s[0:1], vcc
; %bb.5:
	v_mov_b32_e32 v3, 0
	ds_write_b32 v2, v3
; %bb.6:
	s_or_b64 exec, exec, s[0:1]
	v_mbcnt_lo_u32_b32 v3, -1, 0
	v_mbcnt_hi_u32_b32 v6, -1, v3
	v_mov_b32_e32 v3, 0x80
	v_lshl_or_b32 v3, v6, 2, v3
	ds_bpermute_b32 v3, v3, v5
	v_and_b32_e32 v7, 63, v6
	v_cmp_gt_u32_e64 s[0:1], 48, v7
	v_cndmask_b32_e64 v4, 0, 16, s[0:1]
	v_add_lshl_u32 v4, v4, v6, 2
	s_waitcnt lgkmcnt(0)
	v_add_f32_e32 v3, v5, v3
	ds_bpermute_b32 v4, v4, v3
	v_cmp_gt_u32_e64 s[0:1], 56, v7
	v_cndmask_b32_e64 v5, 0, 8, s[0:1]
	v_add_lshl_u32 v5, v5, v6, 2
	v_cmp_gt_u32_e64 s[0:1], 60, v7
	s_waitcnt lgkmcnt(0)
	v_add_f32_e32 v4, v3, v4
	ds_bpermute_b32 v5, v5, v4
	v_cndmask_b32_e64 v3, 0, 4, s[0:1]
	v_add_lshl_u32 v3, v3, v6, 2
	v_cmp_gt_u32_e64 s[0:1], 62, v7
	s_waitcnt lgkmcnt(0)
	v_add_f32_e32 v5, v4, v5
	ds_bpermute_b32 v8, v3, v5
	v_cndmask_b32_e64 v4, 0, 2, s[0:1]
	v_add_lshl_u32 v4, v4, v6, 2
	v_cmp_ne_u32_e64 s[0:1], 63, v7
	v_addc_co_u32_e64 v7, s[0:1], 0, v6, s[0:1]
	s_waitcnt lgkmcnt(0)
	v_add_f32_e32 v5, v5, v8
	ds_bpermute_b32 v8, v4, v5
	v_cmp_eq_u32_e64 s[0:1], 0, v1
	s_waitcnt lgkmcnt(0)
	s_barrier
	v_add_f32_e32 v6, v5, v8
	v_lshlrev_b32_e32 v5, 2, v7
	ds_bpermute_b32 v7, v5, v6
	s_and_saveexec_b64 s[4:5], s[0:1]
	s_cbranch_execz .LBB84_8
; %bb.7:
	s_waitcnt lgkmcnt(0)
	v_add_f32_e32 v1, v6, v7
	v_lshrrev_b32_e32 v6, 4, v0
	v_and_b32_e32 v6, 28, v6
	ds_write_b32 v6, v1
.LBB84_8:
	s_or_b64 exec, exec, s[4:5]
	v_cmp_gt_u32_e64 s[0:1], 8, v0
	v_mov_b32_e32 v1, 0
	s_waitcnt lgkmcnt(0)
	s_barrier
	s_and_saveexec_b64 s[4:5], s[0:1]
	s_cbranch_execnz .LBB84_12
; %bb.9:
	s_or_b64 exec, exec, s[4:5]
	s_and_saveexec_b64 s[0:1], vcc
	s_cbranch_execnz .LBB84_13
.LBB84_10:
	s_or_b64 exec, exec, s[0:1]
	v_cmp_eq_u32_e32 vcc, 0, v0
	s_and_saveexec_b64 s[0:1], vcc
	s_cbranch_execnz .LBB84_14
.LBB84_11:
	s_endpgm
.LBB84_12:
	ds_read_b32 v1, v2
	s_or_b64 exec, exec, s[4:5]
	s_and_saveexec_b64 s[0:1], vcc
	s_cbranch_execz .LBB84_10
.LBB84_13:
	s_waitcnt lgkmcnt(0)
	ds_bpermute_b32 v2, v3, v1
	s_waitcnt lgkmcnt(0)
	v_add_f32_e32 v1, v1, v2
	ds_bpermute_b32 v2, v4, v1
	s_waitcnt lgkmcnt(0)
	v_add_f32_e32 v1, v1, v2
	;; [unrolled: 3-line block ×3, first 2 shown]
	s_or_b64 exec, exec, s[0:1]
	v_cmp_eq_u32_e32 vcc, 0, v0
	s_and_saveexec_b64 s[0:1], vcc
	s_cbranch_execz .LBB84_11
.LBB84_14:
	s_cmp_lg_u32 s18, 1
	s_mov_b64 s[0:1], -1
	s_cbranch_scc0 .LBB84_16
; %bb.15:
	s_mul_hi_u32 s1, s18, s2
	s_mul_i32 s0, s18, s2
	s_lshl_b64 s[0:1], s[0:1], 2
	s_mov_b32 s7, 0
	s_add_u32 s4, s8, s0
	s_addc_u32 s5, s9, s1
	s_lshl_b64 s[0:1], s[6:7], 2
	s_add_u32 s0, s4, s0
	s_addc_u32 s1, s5, s1
	v_mov_b32_e32 v0, 0
	s_waitcnt lgkmcnt(0)
	global_store_dword v0, v1, s[0:1]
	s_mov_b64 s[0:1], 0
.LBB84_16:
	s_andn2_b64 vcc, exec, s[0:1]
	s_cbranch_vccnz .LBB84_11
; %bb.17:
	s_mov_b32 s0, 0x7f800000
	s_waitcnt lgkmcnt(0)
	v_and_b32_e32 v0, 0x7f800000, v1
	v_cmp_ne_u32_e32 vcc, s0, v0
                                        ; implicit-def: $vgpr0
	s_and_saveexec_b64 s[0:1], vcc
	s_xor_b64 s[0:1], exec, s[0:1]
; %bb.18:
	v_bfe_u32 v0, v1, 16, 1
	s_movk_i32 s4, 0x7fff
	v_add3_u32 v0, v1, v0, s4
                                        ; implicit-def: $vgpr1
; %bb.19:
	s_andn2_saveexec_b64 s[0:1], s[0:1]
; %bb.20:
	v_mov_b32_e32 v0, 0
	v_or_b32_e32 v2, 0x10000, v1
	v_cmp_eq_u32_sdwa vcc, v1, v0 src0_sel:WORD_0 src1_sel:DWORD
	v_cndmask_b32_e32 v0, v2, v1, vcc
; %bb.21:
	s_or_b64 exec, exec, s[0:1]
	s_lshl_b64 s[0:1], s[2:3], 1
	s_add_u32 s0, s10, s0
	s_addc_u32 s1, s11, s1
	v_mov_b32_e32 v1, 0
	global_store_short_d16_hi v1, v0, s[0:1]
	s_endpgm
	.section	.rodata,"a",@progbits
	.p2align	6, 0x0
	.amdhsa_kernel _ZL18rocblas_dot_kernelIiLb0ELi512ELi8ELb0E16rocblas_bfloat16PKPKS0_fEviT5_lT_lS5_lS6_liPT6_PT4_
		.amdhsa_group_segment_fixed_size 256
		.amdhsa_private_segment_fixed_size 0
		.amdhsa_kernarg_size 352
		.amdhsa_user_sgpr_count 6
		.amdhsa_user_sgpr_private_segment_buffer 1
		.amdhsa_user_sgpr_dispatch_ptr 0
		.amdhsa_user_sgpr_queue_ptr 0
		.amdhsa_user_sgpr_kernarg_segment_ptr 1
		.amdhsa_user_sgpr_dispatch_id 0
		.amdhsa_user_sgpr_flat_scratch_init 0
		.amdhsa_user_sgpr_private_segment_size 0
		.amdhsa_uses_dynamic_stack 0
		.amdhsa_system_sgpr_private_segment_wavefront_offset 0
		.amdhsa_system_sgpr_workgroup_id_x 1
		.amdhsa_system_sgpr_workgroup_id_y 0
		.amdhsa_system_sgpr_workgroup_id_z 1
		.amdhsa_system_sgpr_workgroup_info 0
		.amdhsa_system_vgpr_workitem_id 0
		.amdhsa_next_free_vgpr 11
		.amdhsa_next_free_sgpr 28
		.amdhsa_reserve_vcc 1
		.amdhsa_reserve_flat_scratch 0
		.amdhsa_float_round_mode_32 0
		.amdhsa_float_round_mode_16_64 0
		.amdhsa_float_denorm_mode_32 3
		.amdhsa_float_denorm_mode_16_64 3
		.amdhsa_dx10_clamp 1
		.amdhsa_ieee_mode 1
		.amdhsa_fp16_overflow 0
		.amdhsa_exception_fp_ieee_invalid_op 0
		.amdhsa_exception_fp_denorm_src 0
		.amdhsa_exception_fp_ieee_div_zero 0
		.amdhsa_exception_fp_ieee_overflow 0
		.amdhsa_exception_fp_ieee_underflow 0
		.amdhsa_exception_fp_ieee_inexact 0
		.amdhsa_exception_int_div_zero 0
	.end_amdhsa_kernel
	.section	.text._ZL18rocblas_dot_kernelIiLb0ELi512ELi8ELb0E16rocblas_bfloat16PKPKS0_fEviT5_lT_lS5_lS6_liPT6_PT4_,"axG",@progbits,_ZL18rocblas_dot_kernelIiLb0ELi512ELi8ELb0E16rocblas_bfloat16PKPKS0_fEviT5_lT_lS5_lS6_liPT6_PT4_,comdat
.Lfunc_end84:
	.size	_ZL18rocblas_dot_kernelIiLb0ELi512ELi8ELb0E16rocblas_bfloat16PKPKS0_fEviT5_lT_lS5_lS6_liPT6_PT4_, .Lfunc_end84-_ZL18rocblas_dot_kernelIiLb0ELi512ELi8ELb0E16rocblas_bfloat16PKPKS0_fEviT5_lT_lS5_lS6_liPT6_PT4_
                                        ; -- End function
	.set _ZL18rocblas_dot_kernelIiLb0ELi512ELi8ELb0E16rocblas_bfloat16PKPKS0_fEviT5_lT_lS5_lS6_liPT6_PT4_.num_vgpr, 11
	.set _ZL18rocblas_dot_kernelIiLb0ELi512ELi8ELb0E16rocblas_bfloat16PKPKS0_fEviT5_lT_lS5_lS6_liPT6_PT4_.num_agpr, 0
	.set _ZL18rocblas_dot_kernelIiLb0ELi512ELi8ELb0E16rocblas_bfloat16PKPKS0_fEviT5_lT_lS5_lS6_liPT6_PT4_.numbered_sgpr, 28
	.set _ZL18rocblas_dot_kernelIiLb0ELi512ELi8ELb0E16rocblas_bfloat16PKPKS0_fEviT5_lT_lS5_lS6_liPT6_PT4_.num_named_barrier, 0
	.set _ZL18rocblas_dot_kernelIiLb0ELi512ELi8ELb0E16rocblas_bfloat16PKPKS0_fEviT5_lT_lS5_lS6_liPT6_PT4_.private_seg_size, 0
	.set _ZL18rocblas_dot_kernelIiLb0ELi512ELi8ELb0E16rocblas_bfloat16PKPKS0_fEviT5_lT_lS5_lS6_liPT6_PT4_.uses_vcc, 1
	.set _ZL18rocblas_dot_kernelIiLb0ELi512ELi8ELb0E16rocblas_bfloat16PKPKS0_fEviT5_lT_lS5_lS6_liPT6_PT4_.uses_flat_scratch, 0
	.set _ZL18rocblas_dot_kernelIiLb0ELi512ELi8ELb0E16rocblas_bfloat16PKPKS0_fEviT5_lT_lS5_lS6_liPT6_PT4_.has_dyn_sized_stack, 0
	.set _ZL18rocblas_dot_kernelIiLb0ELi512ELi8ELb0E16rocblas_bfloat16PKPKS0_fEviT5_lT_lS5_lS6_liPT6_PT4_.has_recursion, 0
	.set _ZL18rocblas_dot_kernelIiLb0ELi512ELi8ELb0E16rocblas_bfloat16PKPKS0_fEviT5_lT_lS5_lS6_liPT6_PT4_.has_indirect_call, 0
	.section	.AMDGPU.csdata,"",@progbits
; Kernel info:
; codeLenInByte = 1044
; TotalNumSgprs: 32
; NumVgprs: 11
; ScratchSize: 0
; MemoryBound: 0
; FloatMode: 240
; IeeeMode: 1
; LDSByteSize: 256 bytes/workgroup (compile time only)
; SGPRBlocks: 3
; VGPRBlocks: 2
; NumSGPRsForWavesPerEU: 32
; NumVGPRsForWavesPerEU: 11
; Occupancy: 10
; WaveLimiterHint : 0
; COMPUTE_PGM_RSRC2:SCRATCH_EN: 0
; COMPUTE_PGM_RSRC2:USER_SGPR: 6
; COMPUTE_PGM_RSRC2:TRAP_HANDLER: 0
; COMPUTE_PGM_RSRC2:TGID_X_EN: 1
; COMPUTE_PGM_RSRC2:TGID_Y_EN: 0
; COMPUTE_PGM_RSRC2:TGID_Z_EN: 1
; COMPUTE_PGM_RSRC2:TIDIG_COMP_CNT: 0
	.section	.text._ZL24rocblas_dot_kernel_magsqIiLb0ELi512ELi8ELb0E16rocblas_bfloat16PKPKS0_fEviT5_lT_liPT6_PT4_,"axG",@progbits,_ZL24rocblas_dot_kernel_magsqIiLb0ELi512ELi8ELb0E16rocblas_bfloat16PKPKS0_fEviT5_lT_liPT6_PT4_,comdat
	.globl	_ZL24rocblas_dot_kernel_magsqIiLb0ELi512ELi8ELb0E16rocblas_bfloat16PKPKS0_fEviT5_lT_liPT6_PT4_ ; -- Begin function _ZL24rocblas_dot_kernel_magsqIiLb0ELi512ELi8ELb0E16rocblas_bfloat16PKPKS0_fEviT5_lT_liPT6_PT4_
	.p2align	8
	.type	_ZL24rocblas_dot_kernel_magsqIiLb0ELi512ELi8ELb0E16rocblas_bfloat16PKPKS0_fEviT5_lT_liPT6_PT4_,@function
_ZL24rocblas_dot_kernel_magsqIiLb0ELi512ELi8ELb0E16rocblas_bfloat16PKPKS0_fEviT5_lT_liPT6_PT4_: ; @_ZL24rocblas_dot_kernel_magsqIiLb0ELi512ELi8ELb0E16rocblas_bfloat16PKPKS0_fEviT5_lT_liPT6_PT4_
; %bb.0:
	s_mov_b32 s2, s7
	s_load_dword s7, s[4:5], 0x0
	s_load_dwordx4 s[8:11], s[4:5], 0x30
	s_load_dword s16, s[4:5], 0x40
	v_lshl_or_b32 v1, s6, 9, v0
	s_mov_b32 s3, 0
	s_waitcnt lgkmcnt(0)
	v_cmp_gt_i32_e32 vcc, s7, v1
	v_mov_b32_e32 v3, 0
	s_and_saveexec_b64 s[12:13], vcc
	s_cbranch_execz .LBB85_4
; %bb.1:
	s_load_dwordx4 s[20:23], s[4:5], 0x8
	s_load_dword s14, s[4:5], 0x18
	s_lshl_b64 s[0:1], s[2:3], 3
	s_waitcnt lgkmcnt(0)
	s_add_u32 s0, s20, s0
	s_addc_u32 s1, s21, s1
	s_load_dwordx2 s[0:1], s[0:1], 0x0
	v_mad_i64_i32 v[2:3], s[4:5], s14, v1, 0
	s_lshl_b32 s17, s16, 9
	s_lshl_b64 s[4:5], s[22:23], 1
	v_add_u32_e32 v4, s17, v1
	v_lshlrev_b64 v[1:2], 1, v[2:3]
	s_waitcnt lgkmcnt(0)
	s_add_u32 s0, s0, s4
	s_addc_u32 s1, s1, s5
	v_mov_b32_e32 v3, s1
	v_add_co_u32_e32 v1, vcc, s0, v1
	s_mul_hi_i32 s1, s14, s17
	s_mul_i32 s0, s14, s17
	s_lshl_b64 s[4:5], s[0:1], 1
	v_addc_co_u32_e32 v2, vcc, v3, v2, vcc
	v_mov_b32_e32 v3, 0
	s_mov_b64 s[14:15], 0
	v_mov_b32_e32 v5, s5
	s_mov_b32 s5, s3
.LBB85_2:                               ; =>This Inner Loop Header: Depth=1
	flat_load_ushort v6, v[1:2]
	s_add_i32 s18, s5, 1
	v_add_co_u32_e64 v1, s[0:1], s4, v1
	v_addc_co_u32_e64 v2, s[0:1], v2, v5, s[0:1]
	s_cmp_gt_u32 s5, 6
	v_cmp_le_i32_e32 vcc, s7, v4
	s_cselect_b64 s[0:1], -1, 0
	s_or_b64 s[0:1], s[0:1], vcc
	s_and_b64 s[0:1], exec, s[0:1]
	v_add_u32_e32 v4, s17, v4
	s_mov_b32 s5, s18
	s_or_b64 s[14:15], s[0:1], s[14:15]
	s_waitcnt vmcnt(0) lgkmcnt(0)
	v_lshlrev_b32_e32 v6, 16, v6
	v_fmac_f32_e32 v3, v6, v6
	s_andn2_b64 exec, exec, s[14:15]
	s_cbranch_execnz .LBB85_2
; %bb.3:
	s_or_b64 exec, exec, s[14:15]
.LBB85_4:
	s_or_b64 exec, exec, s[12:13]
	v_and_b32_e32 v1, 63, v0
	v_cmp_gt_u32_e32 vcc, 64, v0
	v_lshlrev_b32_e32 v2, 2, v1
	s_and_saveexec_b64 s[0:1], vcc
; %bb.5:
	v_mov_b32_e32 v4, 0
	ds_write_b32 v2, v4
; %bb.6:
	s_or_b64 exec, exec, s[0:1]
	v_mbcnt_lo_u32_b32 v4, -1, 0
	v_mbcnt_hi_u32_b32 v5, -1, v4
	v_mov_b32_e32 v4, 0x80
	v_lshl_or_b32 v4, v5, 2, v4
	ds_bpermute_b32 v4, v4, v3
	v_and_b32_e32 v6, 63, v5
	v_cmp_gt_u32_e64 s[0:1], 48, v6
	v_cndmask_b32_e64 v7, 0, 16, s[0:1]
	v_cmp_gt_u32_e64 s[0:1], 56, v6
	s_waitcnt lgkmcnt(0)
	v_add_f32_e32 v3, v3, v4
	v_add_lshl_u32 v4, v7, v5, 2
	ds_bpermute_b32 v4, v4, v3
	v_cndmask_b32_e64 v7, 0, 8, s[0:1]
	v_add_lshl_u32 v7, v7, v5, 2
	v_cmp_gt_u32_e64 s[0:1], 60, v6
	s_waitcnt lgkmcnt(0)
	v_add_f32_e32 v4, v3, v4
	ds_bpermute_b32 v7, v7, v4
	v_cndmask_b32_e64 v3, 0, 4, s[0:1]
	v_add_lshl_u32 v3, v3, v5, 2
	v_cmp_gt_u32_e64 s[0:1], 62, v6
	s_waitcnt lgkmcnt(0)
	s_barrier
	v_add_f32_e32 v7, v4, v7
	ds_bpermute_b32 v8, v3, v7
	v_cndmask_b32_e64 v4, 0, 2, s[0:1]
	v_add_lshl_u32 v4, v4, v5, 2
	v_cmp_ne_u32_e64 s[0:1], 63, v6
	v_addc_co_u32_e64 v5, s[0:1], 0, v5, s[0:1]
	s_waitcnt lgkmcnt(0)
	v_add_f32_e32 v7, v7, v8
	ds_bpermute_b32 v8, v4, v7
	v_lshlrev_b32_e32 v5, 2, v5
	v_cmp_eq_u32_e64 s[0:1], 0, v1
	s_waitcnt lgkmcnt(0)
	v_add_f32_e32 v6, v7, v8
	ds_bpermute_b32 v7, v5, v6
	s_and_saveexec_b64 s[4:5], s[0:1]
	s_cbranch_execz .LBB85_8
; %bb.7:
	s_waitcnt lgkmcnt(0)
	v_add_f32_e32 v1, v6, v7
	v_lshrrev_b32_e32 v6, 4, v0
	v_and_b32_e32 v6, 28, v6
	ds_write_b32 v6, v1
.LBB85_8:
	s_or_b64 exec, exec, s[4:5]
	v_cmp_gt_u32_e64 s[0:1], 8, v0
	v_mov_b32_e32 v1, 0
	s_waitcnt lgkmcnt(0)
	s_barrier
	s_and_saveexec_b64 s[4:5], s[0:1]
	s_cbranch_execnz .LBB85_12
; %bb.9:
	s_or_b64 exec, exec, s[4:5]
	s_and_saveexec_b64 s[0:1], vcc
	s_cbranch_execnz .LBB85_13
.LBB85_10:
	s_or_b64 exec, exec, s[0:1]
	v_cmp_eq_u32_e32 vcc, 0, v0
	s_and_saveexec_b64 s[0:1], vcc
	s_cbranch_execnz .LBB85_14
.LBB85_11:
	s_endpgm
.LBB85_12:
	ds_read_b32 v1, v2
	s_or_b64 exec, exec, s[4:5]
	s_and_saveexec_b64 s[0:1], vcc
	s_cbranch_execz .LBB85_10
.LBB85_13:
	s_waitcnt lgkmcnt(0)
	ds_bpermute_b32 v2, v3, v1
	s_waitcnt lgkmcnt(0)
	v_add_f32_e32 v1, v1, v2
	ds_bpermute_b32 v2, v4, v1
	s_waitcnt lgkmcnt(0)
	v_add_f32_e32 v1, v1, v2
	;; [unrolled: 3-line block ×3, first 2 shown]
	s_or_b64 exec, exec, s[0:1]
	v_cmp_eq_u32_e32 vcc, 0, v0
	s_and_saveexec_b64 s[0:1], vcc
	s_cbranch_execz .LBB85_11
.LBB85_14:
	s_cmp_lg_u32 s16, 1
	s_mov_b64 s[0:1], -1
	s_cbranch_scc0 .LBB85_16
; %bb.15:
	s_mul_hi_u32 s1, s16, s2
	s_mul_i32 s0, s16, s2
	s_lshl_b64 s[0:1], s[0:1], 2
	s_mov_b32 s7, 0
	s_add_u32 s4, s8, s0
	s_addc_u32 s5, s9, s1
	s_lshl_b64 s[0:1], s[6:7], 2
	s_add_u32 s0, s4, s0
	s_addc_u32 s1, s5, s1
	v_mov_b32_e32 v0, 0
	s_waitcnt lgkmcnt(0)
	global_store_dword v0, v1, s[0:1]
	s_mov_b64 s[0:1], 0
.LBB85_16:
	s_andn2_b64 vcc, exec, s[0:1]
	s_cbranch_vccnz .LBB85_11
; %bb.17:
	s_mov_b32 s0, 0x7f800000
	s_waitcnt lgkmcnt(0)
	v_and_b32_e32 v0, 0x7f800000, v1
	v_cmp_ne_u32_e32 vcc, s0, v0
                                        ; implicit-def: $vgpr0
	s_and_saveexec_b64 s[0:1], vcc
	s_xor_b64 s[0:1], exec, s[0:1]
; %bb.18:
	v_bfe_u32 v0, v1, 16, 1
	s_movk_i32 s4, 0x7fff
	v_add3_u32 v0, v1, v0, s4
                                        ; implicit-def: $vgpr1
; %bb.19:
	s_andn2_saveexec_b64 s[0:1], s[0:1]
; %bb.20:
	v_mov_b32_e32 v0, 0
	v_or_b32_e32 v2, 0x10000, v1
	v_cmp_eq_u32_sdwa vcc, v1, v0 src0_sel:WORD_0 src1_sel:DWORD
	v_cndmask_b32_e32 v0, v2, v1, vcc
; %bb.21:
	s_or_b64 exec, exec, s[0:1]
	s_lshl_b64 s[0:1], s[2:3], 1
	s_add_u32 s0, s10, s0
	s_addc_u32 s1, s11, s1
	v_mov_b32_e32 v1, 0
	global_store_short_d16_hi v1, v0, s[0:1]
	s_endpgm
	.section	.rodata,"a",@progbits
	.p2align	6, 0x0
	.amdhsa_kernel _ZL24rocblas_dot_kernel_magsqIiLb0ELi512ELi8ELb0E16rocblas_bfloat16PKPKS0_fEviT5_lT_liPT6_PT4_
		.amdhsa_group_segment_fixed_size 256
		.amdhsa_private_segment_fixed_size 0
		.amdhsa_kernarg_size 320
		.amdhsa_user_sgpr_count 6
		.amdhsa_user_sgpr_private_segment_buffer 1
		.amdhsa_user_sgpr_dispatch_ptr 0
		.amdhsa_user_sgpr_queue_ptr 0
		.amdhsa_user_sgpr_kernarg_segment_ptr 1
		.amdhsa_user_sgpr_dispatch_id 0
		.amdhsa_user_sgpr_flat_scratch_init 0
		.amdhsa_user_sgpr_private_segment_size 0
		.amdhsa_uses_dynamic_stack 0
		.amdhsa_system_sgpr_private_segment_wavefront_offset 0
		.amdhsa_system_sgpr_workgroup_id_x 1
		.amdhsa_system_sgpr_workgroup_id_y 0
		.amdhsa_system_sgpr_workgroup_id_z 1
		.amdhsa_system_sgpr_workgroup_info 0
		.amdhsa_system_vgpr_workitem_id 0
		.amdhsa_next_free_vgpr 9
		.amdhsa_next_free_sgpr 24
		.amdhsa_reserve_vcc 1
		.amdhsa_reserve_flat_scratch 0
		.amdhsa_float_round_mode_32 0
		.amdhsa_float_round_mode_16_64 0
		.amdhsa_float_denorm_mode_32 3
		.amdhsa_float_denorm_mode_16_64 3
		.amdhsa_dx10_clamp 1
		.amdhsa_ieee_mode 1
		.amdhsa_fp16_overflow 0
		.amdhsa_exception_fp_ieee_invalid_op 0
		.amdhsa_exception_fp_denorm_src 0
		.amdhsa_exception_fp_ieee_div_zero 0
		.amdhsa_exception_fp_ieee_overflow 0
		.amdhsa_exception_fp_ieee_underflow 0
		.amdhsa_exception_fp_ieee_inexact 0
		.amdhsa_exception_int_div_zero 0
	.end_amdhsa_kernel
	.section	.text._ZL24rocblas_dot_kernel_magsqIiLb0ELi512ELi8ELb0E16rocblas_bfloat16PKPKS0_fEviT5_lT_liPT6_PT4_,"axG",@progbits,_ZL24rocblas_dot_kernel_magsqIiLb0ELi512ELi8ELb0E16rocblas_bfloat16PKPKS0_fEviT5_lT_liPT6_PT4_,comdat
.Lfunc_end85:
	.size	_ZL24rocblas_dot_kernel_magsqIiLb0ELi512ELi8ELb0E16rocblas_bfloat16PKPKS0_fEviT5_lT_liPT6_PT4_, .Lfunc_end85-_ZL24rocblas_dot_kernel_magsqIiLb0ELi512ELi8ELb0E16rocblas_bfloat16PKPKS0_fEviT5_lT_liPT6_PT4_
                                        ; -- End function
	.set _ZL24rocblas_dot_kernel_magsqIiLb0ELi512ELi8ELb0E16rocblas_bfloat16PKPKS0_fEviT5_lT_liPT6_PT4_.num_vgpr, 9
	.set _ZL24rocblas_dot_kernel_magsqIiLb0ELi512ELi8ELb0E16rocblas_bfloat16PKPKS0_fEviT5_lT_liPT6_PT4_.num_agpr, 0
	.set _ZL24rocblas_dot_kernel_magsqIiLb0ELi512ELi8ELb0E16rocblas_bfloat16PKPKS0_fEviT5_lT_liPT6_PT4_.numbered_sgpr, 24
	.set _ZL24rocblas_dot_kernel_magsqIiLb0ELi512ELi8ELb0E16rocblas_bfloat16PKPKS0_fEviT5_lT_liPT6_PT4_.num_named_barrier, 0
	.set _ZL24rocblas_dot_kernel_magsqIiLb0ELi512ELi8ELb0E16rocblas_bfloat16PKPKS0_fEviT5_lT_liPT6_PT4_.private_seg_size, 0
	.set _ZL24rocblas_dot_kernel_magsqIiLb0ELi512ELi8ELb0E16rocblas_bfloat16PKPKS0_fEviT5_lT_liPT6_PT4_.uses_vcc, 1
	.set _ZL24rocblas_dot_kernel_magsqIiLb0ELi512ELi8ELb0E16rocblas_bfloat16PKPKS0_fEviT5_lT_liPT6_PT4_.uses_flat_scratch, 0
	.set _ZL24rocblas_dot_kernel_magsqIiLb0ELi512ELi8ELb0E16rocblas_bfloat16PKPKS0_fEviT5_lT_liPT6_PT4_.has_dyn_sized_stack, 0
	.set _ZL24rocblas_dot_kernel_magsqIiLb0ELi512ELi8ELb0E16rocblas_bfloat16PKPKS0_fEviT5_lT_liPT6_PT4_.has_recursion, 0
	.set _ZL24rocblas_dot_kernel_magsqIiLb0ELi512ELi8ELb0E16rocblas_bfloat16PKPKS0_fEviT5_lT_liPT6_PT4_.has_indirect_call, 0
	.section	.AMDGPU.csdata,"",@progbits
; Kernel info:
; codeLenInByte = 924
; TotalNumSgprs: 28
; NumVgprs: 9
; ScratchSize: 0
; MemoryBound: 0
; FloatMode: 240
; IeeeMode: 1
; LDSByteSize: 256 bytes/workgroup (compile time only)
; SGPRBlocks: 3
; VGPRBlocks: 2
; NumSGPRsForWavesPerEU: 28
; NumVGPRsForWavesPerEU: 9
; Occupancy: 10
; WaveLimiterHint : 0
; COMPUTE_PGM_RSRC2:SCRATCH_EN: 0
; COMPUTE_PGM_RSRC2:USER_SGPR: 6
; COMPUTE_PGM_RSRC2:TRAP_HANDLER: 0
; COMPUTE_PGM_RSRC2:TGID_X_EN: 1
; COMPUTE_PGM_RSRC2:TGID_Y_EN: 0
; COMPUTE_PGM_RSRC2:TGID_Z_EN: 1
; COMPUTE_PGM_RSRC2:TIDIG_COMP_CNT: 0
	.section	.text._ZL28rocblas_dot_batched_4_kernelIiLi32ELi4ELb0EffPKPKfEviT5_lT_lS4_lS5_liPT4_,"axG",@progbits,_ZL28rocblas_dot_batched_4_kernelIiLi32ELi4ELb0EffPKPKfEviT5_lT_lS4_lS5_liPT4_,comdat
	.globl	_ZL28rocblas_dot_batched_4_kernelIiLi32ELi4ELb0EffPKPKfEviT5_lT_lS4_lS5_liPT4_ ; -- Begin function _ZL28rocblas_dot_batched_4_kernelIiLi32ELi4ELb0EffPKPKfEviT5_lT_lS4_lS5_liPT4_
	.p2align	8
	.type	_ZL28rocblas_dot_batched_4_kernelIiLi32ELi4ELb0EffPKPKfEviT5_lT_lS4_lS5_liPT4_,@function
_ZL28rocblas_dot_batched_4_kernelIiLi32ELi4ELb0EffPKPKfEviT5_lT_lS4_lS5_liPT4_: ; @_ZL28rocblas_dot_batched_4_kernelIiLi32ELi4ELb0EffPKPKfEviT5_lT_lS4_lS5_liPT4_
; %bb.0:
	s_load_dword s0, s[4:5], 0x48
	v_lshl_add_u32 v1, s6, 2, v1
	s_waitcnt lgkmcnt(0)
	v_cmp_gt_u32_e32 vcc, s0, v1
	s_and_saveexec_b64 s[0:1], vcc
	s_cbranch_execz .LBB86_7
; %bb.1:
	s_load_dword s14, s[4:5], 0x0
	s_load_dwordx2 s[6:7], s[4:5], 0x50
	v_mov_b32_e32 v2, 0
	v_mov_b32_e32 v7, v2
	s_waitcnt lgkmcnt(0)
	v_cmp_gt_i32_e32 vcc, s14, v0
	s_and_saveexec_b64 s[12:13], vcc
	s_cbranch_execz .LBB86_5
; %bb.2:
	s_load_dwordx4 s[0:3], s[4:5], 0x8
	s_load_dwordx4 s[8:11], s[4:5], 0x28
	v_lshlrev_b64 v[3:4], 3, v[1:2]
	s_load_dword s16, s[4:5], 0x18
	s_waitcnt lgkmcnt(0)
	v_mov_b32_e32 v6, s1
	v_add_co_u32_e32 v5, vcc, s0, v3
	v_addc_co_u32_e32 v6, vcc, v6, v4, vcc
	global_load_dwordx2 v[5:6], v[5:6], off
	v_mov_b32_e32 v7, s9
	v_add_co_u32_e32 v3, vcc, s8, v3
	v_addc_co_u32_e32 v4, vcc, v7, v4, vcc
	global_load_dwordx2 v[10:11], v[3:4], off
	s_load_dword s4, s[4:5], 0x38
	v_mad_i64_i32 v[3:4], s[8:9], s16, v0, 0
	s_lshl_b64 s[8:9], s[2:3], 2
	v_mov_b32_e32 v14, s9
	s_waitcnt lgkmcnt(0)
	v_mad_i64_i32 v[12:13], s[2:3], s4, v0, 0
	v_lshlrev_b64 v[3:4], 2, v[3:4]
	s_lshl_b64 s[10:11], s[10:11], 2
	v_lshlrev_b64 v[12:13], 2, v[12:13]
	v_add_co_u32_e32 v3, vcc, s8, v3
	v_addc_co_u32_e32 v4, vcc, v4, v14, vcc
	v_mov_b32_e32 v15, s11
	v_add_co_u32_e32 v12, vcc, s10, v12
	v_addc_co_u32_e32 v13, vcc, v13, v15, vcc
	s_ashr_i32 s17, s16, 31
	s_ashr_i32 s5, s4, 31
	s_lshl_b64 s[2:3], s[16:17], 7
	s_lshl_b64 s[4:5], s[4:5], 7
	v_mov_b32_e32 v7, 0
	s_mov_b64 s[0:1], 0
	v_mov_b32_e32 v8, s3
	v_mov_b32_e32 v9, s5
	s_waitcnt vmcnt(1)
	v_add_co_u32_e32 v3, vcc, v5, v3
	v_addc_co_u32_e32 v4, vcc, v6, v4, vcc
	s_waitcnt vmcnt(0)
	v_add_co_u32_e32 v5, vcc, v10, v12
	v_addc_co_u32_e32 v6, vcc, v11, v13, vcc
	v_mov_b32_e32 v10, v0
.LBB86_3:                               ; =>This Inner Loop Header: Depth=1
	flat_load_dword v11, v[3:4]
	flat_load_dword v12, v[5:6]
	v_add_co_u32_e32 v3, vcc, s2, v3
	v_addc_co_u32_e32 v4, vcc, v4, v8, vcc
	v_add_co_u32_e32 v5, vcc, s4, v5
	v_add_u32_e32 v10, 32, v10
	v_addc_co_u32_e32 v6, vcc, v6, v9, vcc
	v_cmp_le_i32_e32 vcc, s14, v10
	s_or_b64 s[0:1], vcc, s[0:1]
	s_waitcnt vmcnt(0) lgkmcnt(0)
	v_fmac_f32_e32 v7, v11, v12
	s_andn2_b64 exec, exec, s[0:1]
	s_cbranch_execnz .LBB86_3
; %bb.4:
	s_or_b64 exec, exec, s[0:1]
.LBB86_5:
	s_or_b64 exec, exec, s[12:13]
	v_mbcnt_lo_u32_b32 v3, -1, 0
	v_mbcnt_hi_u32_b32 v3, -1, v3
	v_and_b32_e32 v4, 63, v3
	v_cmp_gt_u32_e32 vcc, 48, v4
	v_cndmask_b32_e64 v5, 0, 16, vcc
	v_add_lshl_u32 v5, v5, v3, 2
	ds_bpermute_b32 v5, v5, v7
	v_cmp_gt_u32_e32 vcc, 56, v4
	v_cndmask_b32_e64 v6, 0, 8, vcc
	v_add_lshl_u32 v6, v6, v3, 2
	v_cmp_gt_u32_e32 vcc, 60, v4
	s_waitcnt lgkmcnt(0)
	v_add_f32_e32 v5, v7, v5
	ds_bpermute_b32 v6, v6, v5
	v_cndmask_b32_e64 v7, 0, 4, vcc
	v_add_lshl_u32 v7, v7, v3, 2
	v_cmp_gt_u32_e32 vcc, 62, v4
	s_waitcnt lgkmcnt(0)
	v_add_f32_e32 v5, v5, v6
	ds_bpermute_b32 v6, v7, v5
	v_cndmask_b32_e64 v7, 0, 2, vcc
	v_add_lshl_u32 v7, v7, v3, 2
	v_cmp_ne_u32_e32 vcc, 63, v4
	v_addc_co_u32_e32 v4, vcc, 0, v3, vcc
	s_waitcnt lgkmcnt(0)
	v_add_f32_e32 v5, v5, v6
	ds_bpermute_b32 v6, v7, v5
	v_lshlrev_b32_e32 v4, 2, v4
	v_cmp_eq_u32_e32 vcc, 0, v0
	s_waitcnt lgkmcnt(0)
	s_barrier
	v_add_f32_e32 v3, v5, v6
	ds_bpermute_b32 v4, v4, v3
	s_and_b64 exec, exec, vcc
	s_cbranch_execz .LBB86_7
; %bb.6:
	v_lshlrev_b64 v[0:1], 2, v[1:2]
	v_mov_b32_e32 v2, s7
	v_add_co_u32_e32 v0, vcc, s6, v0
	v_addc_co_u32_e32 v1, vcc, v2, v1, vcc
	s_waitcnt lgkmcnt(0)
	v_add_f32_e32 v2, v3, v4
	global_store_dword v[0:1], v2, off
.LBB86_7:
	s_endpgm
	.section	.rodata,"a",@progbits
	.p2align	6, 0x0
	.amdhsa_kernel _ZL28rocblas_dot_batched_4_kernelIiLi32ELi4ELb0EffPKPKfEviT5_lT_lS4_lS5_liPT4_
		.amdhsa_group_segment_fixed_size 0
		.amdhsa_private_segment_fixed_size 0
		.amdhsa_kernarg_size 88
		.amdhsa_user_sgpr_count 6
		.amdhsa_user_sgpr_private_segment_buffer 1
		.amdhsa_user_sgpr_dispatch_ptr 0
		.amdhsa_user_sgpr_queue_ptr 0
		.amdhsa_user_sgpr_kernarg_segment_ptr 1
		.amdhsa_user_sgpr_dispatch_id 0
		.amdhsa_user_sgpr_flat_scratch_init 0
		.amdhsa_user_sgpr_private_segment_size 0
		.amdhsa_uses_dynamic_stack 0
		.amdhsa_system_sgpr_private_segment_wavefront_offset 0
		.amdhsa_system_sgpr_workgroup_id_x 1
		.amdhsa_system_sgpr_workgroup_id_y 0
		.amdhsa_system_sgpr_workgroup_id_z 0
		.amdhsa_system_sgpr_workgroup_info 0
		.amdhsa_system_vgpr_workitem_id 1
		.amdhsa_next_free_vgpr 16
		.amdhsa_next_free_sgpr 18
		.amdhsa_reserve_vcc 1
		.amdhsa_reserve_flat_scratch 0
		.amdhsa_float_round_mode_32 0
		.amdhsa_float_round_mode_16_64 0
		.amdhsa_float_denorm_mode_32 3
		.amdhsa_float_denorm_mode_16_64 3
		.amdhsa_dx10_clamp 1
		.amdhsa_ieee_mode 1
		.amdhsa_fp16_overflow 0
		.amdhsa_exception_fp_ieee_invalid_op 0
		.amdhsa_exception_fp_denorm_src 0
		.amdhsa_exception_fp_ieee_div_zero 0
		.amdhsa_exception_fp_ieee_overflow 0
		.amdhsa_exception_fp_ieee_underflow 0
		.amdhsa_exception_fp_ieee_inexact 0
		.amdhsa_exception_int_div_zero 0
	.end_amdhsa_kernel
	.section	.text._ZL28rocblas_dot_batched_4_kernelIiLi32ELi4ELb0EffPKPKfEviT5_lT_lS4_lS5_liPT4_,"axG",@progbits,_ZL28rocblas_dot_batched_4_kernelIiLi32ELi4ELb0EffPKPKfEviT5_lT_lS4_lS5_liPT4_,comdat
.Lfunc_end86:
	.size	_ZL28rocblas_dot_batched_4_kernelIiLi32ELi4ELb0EffPKPKfEviT5_lT_lS4_lS5_liPT4_, .Lfunc_end86-_ZL28rocblas_dot_batched_4_kernelIiLi32ELi4ELb0EffPKPKfEviT5_lT_lS4_lS5_liPT4_
                                        ; -- End function
	.set _ZL28rocblas_dot_batched_4_kernelIiLi32ELi4ELb0EffPKPKfEviT5_lT_lS4_lS5_liPT4_.num_vgpr, 16
	.set _ZL28rocblas_dot_batched_4_kernelIiLi32ELi4ELb0EffPKPKfEviT5_lT_lS4_lS5_liPT4_.num_agpr, 0
	.set _ZL28rocblas_dot_batched_4_kernelIiLi32ELi4ELb0EffPKPKfEviT5_lT_lS4_lS5_liPT4_.numbered_sgpr, 18
	.set _ZL28rocblas_dot_batched_4_kernelIiLi32ELi4ELb0EffPKPKfEviT5_lT_lS4_lS5_liPT4_.num_named_barrier, 0
	.set _ZL28rocblas_dot_batched_4_kernelIiLi32ELi4ELb0EffPKPKfEviT5_lT_lS4_lS5_liPT4_.private_seg_size, 0
	.set _ZL28rocblas_dot_batched_4_kernelIiLi32ELi4ELb0EffPKPKfEviT5_lT_lS4_lS5_liPT4_.uses_vcc, 1
	.set _ZL28rocblas_dot_batched_4_kernelIiLi32ELi4ELb0EffPKPKfEviT5_lT_lS4_lS5_liPT4_.uses_flat_scratch, 0
	.set _ZL28rocblas_dot_batched_4_kernelIiLi32ELi4ELb0EffPKPKfEviT5_lT_lS4_lS5_liPT4_.has_dyn_sized_stack, 0
	.set _ZL28rocblas_dot_batched_4_kernelIiLi32ELi4ELb0EffPKPKfEviT5_lT_lS4_lS5_liPT4_.has_recursion, 0
	.set _ZL28rocblas_dot_batched_4_kernelIiLi32ELi4ELb0EffPKPKfEviT5_lT_lS4_lS5_liPT4_.has_indirect_call, 0
	.section	.AMDGPU.csdata,"",@progbits
; Kernel info:
; codeLenInByte = 592
; TotalNumSgprs: 22
; NumVgprs: 16
; ScratchSize: 0
; MemoryBound: 0
; FloatMode: 240
; IeeeMode: 1
; LDSByteSize: 0 bytes/workgroup (compile time only)
; SGPRBlocks: 2
; VGPRBlocks: 3
; NumSGPRsForWavesPerEU: 22
; NumVGPRsForWavesPerEU: 16
; Occupancy: 10
; WaveLimiterHint : 0
; COMPUTE_PGM_RSRC2:SCRATCH_EN: 0
; COMPUTE_PGM_RSRC2:USER_SGPR: 6
; COMPUTE_PGM_RSRC2:TRAP_HANDLER: 0
; COMPUTE_PGM_RSRC2:TGID_X_EN: 1
; COMPUTE_PGM_RSRC2:TGID_Y_EN: 0
; COMPUTE_PGM_RSRC2:TGID_Z_EN: 0
; COMPUTE_PGM_RSRC2:TIDIG_COMP_CNT: 1
	.section	.text._ZL28rocblas_dot_batched_4_kernelIiLi64ELi4ELb0EffPKPKfEviT5_lT_lS4_lS5_liPT4_,"axG",@progbits,_ZL28rocblas_dot_batched_4_kernelIiLi64ELi4ELb0EffPKPKfEviT5_lT_lS4_lS5_liPT4_,comdat
	.globl	_ZL28rocblas_dot_batched_4_kernelIiLi64ELi4ELb0EffPKPKfEviT5_lT_lS4_lS5_liPT4_ ; -- Begin function _ZL28rocblas_dot_batched_4_kernelIiLi64ELi4ELb0EffPKPKfEviT5_lT_lS4_lS5_liPT4_
	.p2align	8
	.type	_ZL28rocblas_dot_batched_4_kernelIiLi64ELi4ELb0EffPKPKfEviT5_lT_lS4_lS5_liPT4_,@function
_ZL28rocblas_dot_batched_4_kernelIiLi64ELi4ELb0EffPKPKfEviT5_lT_lS4_lS5_liPT4_: ; @_ZL28rocblas_dot_batched_4_kernelIiLi64ELi4ELb0EffPKPKfEviT5_lT_lS4_lS5_liPT4_
; %bb.0:
	s_load_dword s0, s[4:5], 0x48
	v_lshl_add_u32 v1, s6, 2, v1
	s_waitcnt lgkmcnt(0)
	v_cmp_gt_u32_e32 vcc, s0, v1
	s_and_saveexec_b64 s[0:1], vcc
	s_cbranch_execz .LBB87_7
; %bb.1:
	s_load_dword s14, s[4:5], 0x0
	s_load_dwordx2 s[6:7], s[4:5], 0x50
	v_mov_b32_e32 v2, 0
	v_mov_b32_e32 v7, v2
	s_waitcnt lgkmcnt(0)
	v_cmp_gt_i32_e32 vcc, s14, v0
	s_and_saveexec_b64 s[12:13], vcc
	s_cbranch_execz .LBB87_5
; %bb.2:
	s_load_dwordx4 s[0:3], s[4:5], 0x8
	s_load_dwordx4 s[8:11], s[4:5], 0x28
	v_lshlrev_b64 v[3:4], 3, v[1:2]
	s_load_dword s16, s[4:5], 0x18
	s_waitcnt lgkmcnt(0)
	v_mov_b32_e32 v6, s1
	v_add_co_u32_e32 v5, vcc, s0, v3
	v_addc_co_u32_e32 v6, vcc, v6, v4, vcc
	global_load_dwordx2 v[5:6], v[5:6], off
	v_mov_b32_e32 v7, s9
	v_add_co_u32_e32 v3, vcc, s8, v3
	v_addc_co_u32_e32 v4, vcc, v7, v4, vcc
	global_load_dwordx2 v[8:9], v[3:4], off
	s_load_dword s0, s[4:5], 0x38
	v_mad_i64_i32 v[3:4], s[8:9], s16, v0, 0
	s_lshl_b64 s[18:19], s[2:3], 2
	v_mov_b32_e32 v12, s19
	s_waitcnt lgkmcnt(0)
	v_mad_i64_i32 v[10:11], s[2:3], s0, v0, 0
	v_lshlrev_b64 v[3:4], 2, v[3:4]
	s_lshl_b64 s[10:11], s[10:11], 2
	v_lshlrev_b64 v[10:11], 2, v[10:11]
	v_add_co_u32_e32 v3, vcc, s18, v3
	v_addc_co_u32_e32 v4, vcc, v4, v12, vcc
	v_mov_b32_e32 v13, s11
	v_add_co_u32_e32 v10, vcc, s10, v10
	v_addc_co_u32_e32 v11, vcc, v11, v13, vcc
	s_ashr_i32 s17, s16, 31
	s_ashr_i32 s1, s0, 31
	v_mov_b32_e32 v7, 0
	s_mov_b64 s[4:5], 0
	s_lshl_b64 s[2:3], s[16:17], 8
	s_lshl_b64 s[8:9], s[0:1], 8
	s_waitcnt vmcnt(1)
	v_add_co_u32_e32 v3, vcc, v5, v3
	v_addc_co_u32_e32 v4, vcc, v6, v4, vcc
	s_waitcnt vmcnt(0)
	v_add_co_u32_e32 v5, vcc, v8, v10
	v_addc_co_u32_e32 v6, vcc, v9, v11, vcc
	v_mov_b32_e32 v8, v0
.LBB87_3:                               ; =>This Inner Loop Header: Depth=1
	flat_load_dword v9, v[3:4]
	flat_load_dword v10, v[5:6]
	v_mov_b32_e32 v12, s9
	v_add_co_u32_e32 v5, vcc, s8, v5
	v_add_u32_e32 v8, 64, v8
	v_addc_co_u32_e32 v6, vcc, v6, v12, vcc
	v_mov_b32_e32 v11, s3
	v_add_co_u32_e64 v3, s[0:1], s2, v3
	v_cmp_le_i32_e32 vcc, s14, v8
	v_addc_co_u32_e64 v4, s[0:1], v4, v11, s[0:1]
	s_or_b64 s[4:5], vcc, s[4:5]
	s_waitcnt vmcnt(0) lgkmcnt(0)
	v_fmac_f32_e32 v7, v9, v10
	s_andn2_b64 exec, exec, s[4:5]
	s_cbranch_execnz .LBB87_3
; %bb.4:
	s_or_b64 exec, exec, s[4:5]
.LBB87_5:
	s_or_b64 exec, exec, s[12:13]
	v_mbcnt_lo_u32_b32 v3, -1, 0
	v_mbcnt_hi_u32_b32 v3, -1, v3
	v_mov_b32_e32 v4, 0x80
	v_lshl_or_b32 v4, v3, 2, v4
	ds_bpermute_b32 v4, v4, v7
	v_and_b32_e32 v5, 63, v3
	v_cmp_gt_u32_e32 vcc, 48, v5
	v_cndmask_b32_e64 v6, 0, 16, vcc
	v_add_lshl_u32 v6, v6, v3, 2
	s_waitcnt lgkmcnt(0)
	v_add_f32_e32 v4, v7, v4
	ds_bpermute_b32 v6, v6, v4
	v_cmp_gt_u32_e32 vcc, 56, v5
	v_cndmask_b32_e64 v7, 0, 8, vcc
	v_add_lshl_u32 v7, v7, v3, 2
	v_cmp_gt_u32_e32 vcc, 60, v5
	s_waitcnt lgkmcnt(0)
	v_add_f32_e32 v4, v4, v6
	ds_bpermute_b32 v6, v7, v4
	v_cndmask_b32_e64 v7, 0, 4, vcc
	v_add_lshl_u32 v7, v7, v3, 2
	v_cmp_gt_u32_e32 vcc, 62, v5
	s_waitcnt lgkmcnt(0)
	v_add_f32_e32 v4, v4, v6
	ds_bpermute_b32 v6, v7, v4
	v_cndmask_b32_e64 v7, 0, 2, vcc
	v_add_lshl_u32 v7, v7, v3, 2
	v_cmp_ne_u32_e32 vcc, 63, v5
	v_addc_co_u32_e32 v5, vcc, 0, v3, vcc
	s_waitcnt lgkmcnt(0)
	v_add_f32_e32 v4, v4, v6
	ds_bpermute_b32 v6, v7, v4
	v_cmp_eq_u32_e32 vcc, 0, v0
	s_waitcnt lgkmcnt(0)
	s_barrier
	v_add_f32_e32 v3, v4, v6
	v_lshlrev_b32_e32 v4, 2, v5
	ds_bpermute_b32 v4, v4, v3
	s_and_b64 exec, exec, vcc
	s_cbranch_execz .LBB87_7
; %bb.6:
	v_lshlrev_b64 v[0:1], 2, v[1:2]
	v_mov_b32_e32 v2, s7
	v_add_co_u32_e32 v0, vcc, s6, v0
	v_addc_co_u32_e32 v1, vcc, v2, v1, vcc
	s_waitcnt lgkmcnt(0)
	v_add_f32_e32 v2, v3, v4
	global_store_dword v[0:1], v2, off
.LBB87_7:
	s_endpgm
	.section	.rodata,"a",@progbits
	.p2align	6, 0x0
	.amdhsa_kernel _ZL28rocblas_dot_batched_4_kernelIiLi64ELi4ELb0EffPKPKfEviT5_lT_lS4_lS5_liPT4_
		.amdhsa_group_segment_fixed_size 0
		.amdhsa_private_segment_fixed_size 0
		.amdhsa_kernarg_size 88
		.amdhsa_user_sgpr_count 6
		.amdhsa_user_sgpr_private_segment_buffer 1
		.amdhsa_user_sgpr_dispatch_ptr 0
		.amdhsa_user_sgpr_queue_ptr 0
		.amdhsa_user_sgpr_kernarg_segment_ptr 1
		.amdhsa_user_sgpr_dispatch_id 0
		.amdhsa_user_sgpr_flat_scratch_init 0
		.amdhsa_user_sgpr_private_segment_size 0
		.amdhsa_uses_dynamic_stack 0
		.amdhsa_system_sgpr_private_segment_wavefront_offset 0
		.amdhsa_system_sgpr_workgroup_id_x 1
		.amdhsa_system_sgpr_workgroup_id_y 0
		.amdhsa_system_sgpr_workgroup_id_z 0
		.amdhsa_system_sgpr_workgroup_info 0
		.amdhsa_system_vgpr_workitem_id 1
		.amdhsa_next_free_vgpr 14
		.amdhsa_next_free_sgpr 20
		.amdhsa_reserve_vcc 1
		.amdhsa_reserve_flat_scratch 0
		.amdhsa_float_round_mode_32 0
		.amdhsa_float_round_mode_16_64 0
		.amdhsa_float_denorm_mode_32 3
		.amdhsa_float_denorm_mode_16_64 3
		.amdhsa_dx10_clamp 1
		.amdhsa_ieee_mode 1
		.amdhsa_fp16_overflow 0
		.amdhsa_exception_fp_ieee_invalid_op 0
		.amdhsa_exception_fp_denorm_src 0
		.amdhsa_exception_fp_ieee_div_zero 0
		.amdhsa_exception_fp_ieee_overflow 0
		.amdhsa_exception_fp_ieee_underflow 0
		.amdhsa_exception_fp_ieee_inexact 0
		.amdhsa_exception_int_div_zero 0
	.end_amdhsa_kernel
	.section	.text._ZL28rocblas_dot_batched_4_kernelIiLi64ELi4ELb0EffPKPKfEviT5_lT_lS4_lS5_liPT4_,"axG",@progbits,_ZL28rocblas_dot_batched_4_kernelIiLi64ELi4ELb0EffPKPKfEviT5_lT_lS4_lS5_liPT4_,comdat
.Lfunc_end87:
	.size	_ZL28rocblas_dot_batched_4_kernelIiLi64ELi4ELb0EffPKPKfEviT5_lT_lS4_lS5_liPT4_, .Lfunc_end87-_ZL28rocblas_dot_batched_4_kernelIiLi64ELi4ELb0EffPKPKfEviT5_lT_lS4_lS5_liPT4_
                                        ; -- End function
	.set _ZL28rocblas_dot_batched_4_kernelIiLi64ELi4ELb0EffPKPKfEviT5_lT_lS4_lS5_liPT4_.num_vgpr, 14
	.set _ZL28rocblas_dot_batched_4_kernelIiLi64ELi4ELb0EffPKPKfEviT5_lT_lS4_lS5_liPT4_.num_agpr, 0
	.set _ZL28rocblas_dot_batched_4_kernelIiLi64ELi4ELb0EffPKPKfEviT5_lT_lS4_lS5_liPT4_.numbered_sgpr, 20
	.set _ZL28rocblas_dot_batched_4_kernelIiLi64ELi4ELb0EffPKPKfEviT5_lT_lS4_lS5_liPT4_.num_named_barrier, 0
	.set _ZL28rocblas_dot_batched_4_kernelIiLi64ELi4ELb0EffPKPKfEviT5_lT_lS4_lS5_liPT4_.private_seg_size, 0
	.set _ZL28rocblas_dot_batched_4_kernelIiLi64ELi4ELb0EffPKPKfEviT5_lT_lS4_lS5_liPT4_.uses_vcc, 1
	.set _ZL28rocblas_dot_batched_4_kernelIiLi64ELi4ELb0EffPKPKfEviT5_lT_lS4_lS5_liPT4_.uses_flat_scratch, 0
	.set _ZL28rocblas_dot_batched_4_kernelIiLi64ELi4ELb0EffPKPKfEviT5_lT_lS4_lS5_liPT4_.has_dyn_sized_stack, 0
	.set _ZL28rocblas_dot_batched_4_kernelIiLi64ELi4ELb0EffPKPKfEviT5_lT_lS4_lS5_liPT4_.has_recursion, 0
	.set _ZL28rocblas_dot_batched_4_kernelIiLi64ELi4ELb0EffPKPKfEviT5_lT_lS4_lS5_liPT4_.has_indirect_call, 0
	.section	.AMDGPU.csdata,"",@progbits
; Kernel info:
; codeLenInByte = 632
; TotalNumSgprs: 24
; NumVgprs: 14
; ScratchSize: 0
; MemoryBound: 0
; FloatMode: 240
; IeeeMode: 1
; LDSByteSize: 0 bytes/workgroup (compile time only)
; SGPRBlocks: 2
; VGPRBlocks: 3
; NumSGPRsForWavesPerEU: 24
; NumVGPRsForWavesPerEU: 14
; Occupancy: 10
; WaveLimiterHint : 0
; COMPUTE_PGM_RSRC2:SCRATCH_EN: 0
; COMPUTE_PGM_RSRC2:USER_SGPR: 6
; COMPUTE_PGM_RSRC2:TRAP_HANDLER: 0
; COMPUTE_PGM_RSRC2:TGID_X_EN: 1
; COMPUTE_PGM_RSRC2:TGID_Y_EN: 0
; COMPUTE_PGM_RSRC2:TGID_Z_EN: 0
; COMPUTE_PGM_RSRC2:TIDIG_COMP_CNT: 1
	.section	.text._ZL26rocblas_dot_kernel_inc1by2ILb1ELi1024ELi32ELb0EfPKPKffEviT4_llS4_lliPT5_PT3_,"axG",@progbits,_ZL26rocblas_dot_kernel_inc1by2ILb1ELi1024ELi32ELb0EfPKPKffEviT4_llS4_lliPT5_PT3_,comdat
	.globl	_ZL26rocblas_dot_kernel_inc1by2ILb1ELi1024ELi32ELb0EfPKPKffEviT4_llS4_lliPT5_PT3_ ; -- Begin function _ZL26rocblas_dot_kernel_inc1by2ILb1ELi1024ELi32ELb0EfPKPKffEviT4_llS4_lliPT5_PT3_
	.p2align	8
	.type	_ZL26rocblas_dot_kernel_inc1by2ILb1ELi1024ELi32ELb0EfPKPKffEviT4_llS4_lliPT5_PT3_,@function
_ZL26rocblas_dot_kernel_inc1by2ILb1ELi1024ELi32ELb0EfPKPKffEviT4_llS4_lliPT5_PT3_: ; @_ZL26rocblas_dot_kernel_inc1by2ILb1ELi1024ELi32ELb0EfPKPKffEviT4_llS4_lliPT5_PT3_
; %bb.0:
	s_load_dword s20, s[4:5], 0x0
	s_load_dwordx4 s[0:3], s[4:5], 0x8
	s_load_dwordx2 s[12:13], s[4:5], 0x48
	s_load_dwordx4 s[8:11], s[4:5], 0x20
	s_mov_b32 s6, s7
	s_mov_b32 s7, 0
	s_lshl_b64 s[14:15], s[6:7], 3
	s_waitcnt lgkmcnt(0)
	s_add_u32 s0, s0, s14
	s_addc_u32 s1, s1, s15
	s_load_dwordx2 s[4:5], s[0:1], 0x0
	s_add_u32 s0, s8, s14
	s_addc_u32 s1, s9, s15
	s_load_dwordx2 s[14:15], s[0:1], 0x0
	v_lshlrev_b32_e32 v6, 1, v0
	s_add_i32 s8, s20, -1
	v_cmp_gt_i32_e32 vcc, s8, v6
	v_mov_b32_e32 v5, 0
	s_and_saveexec_b64 s[16:17], vcc
	s_cbranch_execz .LBB88_4
; %bb.1:
	s_lshl_b64 s[0:1], s[10:11], 2
	s_waitcnt lgkmcnt(0)
	s_add_u32 s0, s14, s0
	v_lshlrev_b32_e32 v3, 3, v0
	s_addc_u32 s1, s15, s1
	v_mov_b32_e32 v2, s1
	v_add_co_u32_e32 v1, vcc, s0, v3
	s_lshl_b64 s[0:1], s[2:3], 2
	s_add_u32 s0, s4, s0
	v_addc_co_u32_e32 v2, vcc, 0, v2, vcc
	s_addc_u32 s1, s5, s1
	v_mov_b32_e32 v4, s1
	v_add_co_u32_e32 v3, vcc, s0, v3
	v_mov_b32_e32 v5, 0
	v_addc_co_u32_e32 v4, vcc, 0, v4, vcc
	s_mov_b64 s[18:19], 0
	s_mov_b32 s9, s7
.LBB88_2:                               ; =>This Inner Loop Header: Depth=1
	flat_load_dwordx2 v[7:8], v[1:2]
	flat_load_dwordx2 v[9:10], v[3:4]
	s_add_i32 s21, s9, 1
	v_add_u32_e32 v6, 0x800, v6
	s_cmp_gt_u32 s9, 30
	v_add_co_u32_e32 v1, vcc, 0x2000, v1
	v_cmp_le_i32_e64 s[0:1], s8, v6
	s_cselect_b64 s[22:23], -1, 0
	v_addc_co_u32_e32 v2, vcc, 0, v2, vcc
	s_or_b64 s[0:1], s[22:23], s[0:1]
	v_add_co_u32_e32 v3, vcc, 0x2000, v3
	s_and_b64 s[0:1], exec, s[0:1]
	s_mov_b32 s9, s21
	v_addc_co_u32_e32 v4, vcc, 0, v4, vcc
	s_or_b64 s[18:19], s[0:1], s[18:19]
	s_waitcnt vmcnt(0) lgkmcnt(0)
	v_fmac_f32_e32 v5, v7, v9
	v_fmac_f32_e32 v5, v8, v10
	s_andn2_b64 exec, exec, s[18:19]
	s_cbranch_execnz .LBB88_2
; %bb.3:
	s_or_b64 exec, exec, s[18:19]
.LBB88_4:
	s_or_b64 exec, exec, s[16:17]
	s_bitcmp1_b32 s20, 0
	s_cselect_b64 s[0:1], -1, 0
	v_cmp_eq_u32_e32 vcc, s8, v6
	s_and_b64 s[16:17], s[0:1], vcc
	s_and_saveexec_b64 s[0:1], s[16:17]
	s_cbranch_execz .LBB88_6
; %bb.5:
	s_lshl_b64 s[2:3], s[2:3], 2
	s_waitcnt lgkmcnt(0)
	s_add_u32 s4, s4, s2
	s_addc_u32 s5, s5, s3
	s_lshl_b64 s[2:3], s[10:11], 2
	s_add_u32 s10, s14, s2
	s_mov_b32 s9, 0
	s_addc_u32 s11, s15, s3
	s_lshl_b64 s[2:3], s[8:9], 2
	s_add_u32 s4, s4, s2
	s_addc_u32 s5, s5, s3
	s_add_u32 s2, s10, s2
	s_addc_u32 s3, s11, s3
	v_mov_b32_e32 v1, s2
	v_mov_b32_e32 v2, s3
	flat_load_dword v3, v[1:2]
	v_mov_b32_e32 v1, s4
	v_mov_b32_e32 v2, s5
	flat_load_dword v1, v[1:2]
	s_waitcnt vmcnt(0) lgkmcnt(0)
	v_fmac_f32_e32 v5, v3, v1
.LBB88_6:
	s_or_b64 exec, exec, s[0:1]
	v_and_b32_e32 v4, 63, v0
	v_cmp_gt_u32_e32 vcc, 64, v0
	v_lshlrev_b32_e32 v1, 2, v4
	s_and_saveexec_b64 s[0:1], vcc
; %bb.7:
	v_mov_b32_e32 v2, 0
	ds_write_b32 v1, v2
; %bb.8:
	s_or_b64 exec, exec, s[0:1]
	v_mbcnt_lo_u32_b32 v2, -1, 0
	v_mbcnt_hi_u32_b32 v6, -1, v2
	v_mov_b32_e32 v2, 0x80
	v_lshl_or_b32 v2, v6, 2, v2
	ds_bpermute_b32 v2, v2, v5
	v_and_b32_e32 v7, 63, v6
	v_cmp_gt_u32_e64 s[0:1], 48, v7
	v_cndmask_b32_e64 v3, 0, 16, s[0:1]
	v_cmp_gt_u32_e64 s[0:1], 56, v7
	s_waitcnt lgkmcnt(0)
	v_add_f32_e32 v5, v5, v2
	v_add_lshl_u32 v2, v3, v6, 2
	ds_bpermute_b32 v3, v2, v5
	v_cndmask_b32_e64 v2, 0, 8, s[0:1]
	v_add_lshl_u32 v2, v2, v6, 2
	v_cmp_gt_u32_e64 s[0:1], 60, v7
	s_waitcnt lgkmcnt(0)
	v_add_f32_e32 v5, v5, v3
	ds_bpermute_b32 v8, v2, v5
	v_cndmask_b32_e64 v3, 0, 4, s[0:1]
	v_add_lshl_u32 v3, v3, v6, 2
	v_cmp_gt_u32_e64 s[0:1], 62, v7
	s_waitcnt lgkmcnt(0)
	s_barrier
	v_add_f32_e32 v8, v5, v8
	ds_bpermute_b32 v9, v3, v8
	v_cndmask_b32_e64 v5, 0, 2, s[0:1]
	v_add_lshl_u32 v5, v5, v6, 2
	v_cmp_ne_u32_e64 s[0:1], 63, v7
	v_addc_co_u32_e64 v6, s[0:1], 0, v6, s[0:1]
	s_waitcnt lgkmcnt(0)
	v_add_f32_e32 v8, v8, v9
	ds_bpermute_b32 v9, v5, v8
	v_lshlrev_b32_e32 v6, 2, v6
	v_cmp_eq_u32_e64 s[0:1], 0, v4
	s_waitcnt lgkmcnt(0)
	v_add_f32_e32 v7, v8, v9
	ds_bpermute_b32 v8, v6, v7
	s_and_saveexec_b64 s[2:3], s[0:1]
	s_cbranch_execz .LBB88_10
; %bb.9:
	s_waitcnt lgkmcnt(0)
	v_add_f32_e32 v4, v7, v8
	v_lshrrev_b32_e32 v7, 4, v0
	v_and_b32_e32 v7, 60, v7
	ds_write_b32 v7, v4
.LBB88_10:
	s_or_b64 exec, exec, s[2:3]
	v_cmp_gt_u32_e64 s[0:1], 16, v0
	v_mov_b32_e32 v4, 0
	s_waitcnt lgkmcnt(0)
	s_barrier
	s_and_saveexec_b64 s[2:3], s[0:1]
	s_cbranch_execnz .LBB88_14
; %bb.11:
	s_or_b64 exec, exec, s[2:3]
	s_and_saveexec_b64 s[0:1], vcc
	s_cbranch_execnz .LBB88_15
.LBB88_12:
	s_or_b64 exec, exec, s[0:1]
	v_cmp_eq_u32_e32 vcc, 0, v0
	s_and_saveexec_b64 s[0:1], vcc
	s_cbranch_execnz .LBB88_16
.LBB88_13:
	s_endpgm
.LBB88_14:
	ds_read_b32 v4, v1
	s_or_b64 exec, exec, s[2:3]
	s_and_saveexec_b64 s[0:1], vcc
	s_cbranch_execz .LBB88_12
.LBB88_15:
	s_waitcnt lgkmcnt(0)
	ds_bpermute_b32 v1, v2, v4
	s_waitcnt lgkmcnt(0)
	v_add_f32_e32 v1, v4, v1
	ds_bpermute_b32 v2, v3, v1
	s_waitcnt lgkmcnt(0)
	v_add_f32_e32 v1, v1, v2
	;; [unrolled: 3-line block ×4, first 2 shown]
	s_or_b64 exec, exec, s[0:1]
	v_cmp_eq_u32_e32 vcc, 0, v0
	s_and_saveexec_b64 s[0:1], vcc
	s_cbranch_execz .LBB88_13
.LBB88_16:
	s_lshl_b64 s[0:1], s[6:7], 2
	s_add_u32 s0, s12, s0
	s_addc_u32 s1, s13, s1
	v_mov_b32_e32 v0, 0
	s_waitcnt lgkmcnt(0)
	global_store_dword v0, v4, s[0:1]
	s_endpgm
	.section	.rodata,"a",@progbits
	.p2align	6, 0x0
	.amdhsa_kernel _ZL26rocblas_dot_kernel_inc1by2ILb1ELi1024ELi32ELb0EfPKPKffEviT4_llS4_lliPT5_PT3_
		.amdhsa_group_segment_fixed_size 256
		.amdhsa_private_segment_fixed_size 0
		.amdhsa_kernarg_size 80
		.amdhsa_user_sgpr_count 6
		.amdhsa_user_sgpr_private_segment_buffer 1
		.amdhsa_user_sgpr_dispatch_ptr 0
		.amdhsa_user_sgpr_queue_ptr 0
		.amdhsa_user_sgpr_kernarg_segment_ptr 1
		.amdhsa_user_sgpr_dispatch_id 0
		.amdhsa_user_sgpr_flat_scratch_init 0
		.amdhsa_user_sgpr_private_segment_size 0
		.amdhsa_uses_dynamic_stack 0
		.amdhsa_system_sgpr_private_segment_wavefront_offset 0
		.amdhsa_system_sgpr_workgroup_id_x 1
		.amdhsa_system_sgpr_workgroup_id_y 0
		.amdhsa_system_sgpr_workgroup_id_z 1
		.amdhsa_system_sgpr_workgroup_info 0
		.amdhsa_system_vgpr_workitem_id 0
		.amdhsa_next_free_vgpr 11
		.amdhsa_next_free_sgpr 24
		.amdhsa_reserve_vcc 1
		.amdhsa_reserve_flat_scratch 0
		.amdhsa_float_round_mode_32 0
		.amdhsa_float_round_mode_16_64 0
		.amdhsa_float_denorm_mode_32 3
		.amdhsa_float_denorm_mode_16_64 3
		.amdhsa_dx10_clamp 1
		.amdhsa_ieee_mode 1
		.amdhsa_fp16_overflow 0
		.amdhsa_exception_fp_ieee_invalid_op 0
		.amdhsa_exception_fp_denorm_src 0
		.amdhsa_exception_fp_ieee_div_zero 0
		.amdhsa_exception_fp_ieee_overflow 0
		.amdhsa_exception_fp_ieee_underflow 0
		.amdhsa_exception_fp_ieee_inexact 0
		.amdhsa_exception_int_div_zero 0
	.end_amdhsa_kernel
	.section	.text._ZL26rocblas_dot_kernel_inc1by2ILb1ELi1024ELi32ELb0EfPKPKffEviT4_llS4_lliPT5_PT3_,"axG",@progbits,_ZL26rocblas_dot_kernel_inc1by2ILb1ELi1024ELi32ELb0EfPKPKffEviT4_llS4_lliPT5_PT3_,comdat
.Lfunc_end88:
	.size	_ZL26rocblas_dot_kernel_inc1by2ILb1ELi1024ELi32ELb0EfPKPKffEviT4_llS4_lliPT5_PT3_, .Lfunc_end88-_ZL26rocblas_dot_kernel_inc1by2ILb1ELi1024ELi32ELb0EfPKPKffEviT4_llS4_lliPT5_PT3_
                                        ; -- End function
	.set _ZL26rocblas_dot_kernel_inc1by2ILb1ELi1024ELi32ELb0EfPKPKffEviT4_llS4_lliPT5_PT3_.num_vgpr, 11
	.set _ZL26rocblas_dot_kernel_inc1by2ILb1ELi1024ELi32ELb0EfPKPKffEviT4_llS4_lliPT5_PT3_.num_agpr, 0
	.set _ZL26rocblas_dot_kernel_inc1by2ILb1ELi1024ELi32ELb0EfPKPKffEviT4_llS4_lliPT5_PT3_.numbered_sgpr, 24
	.set _ZL26rocblas_dot_kernel_inc1by2ILb1ELi1024ELi32ELb0EfPKPKffEviT4_llS4_lliPT5_PT3_.num_named_barrier, 0
	.set _ZL26rocblas_dot_kernel_inc1by2ILb1ELi1024ELi32ELb0EfPKPKffEviT4_llS4_lliPT5_PT3_.private_seg_size, 0
	.set _ZL26rocblas_dot_kernel_inc1by2ILb1ELi1024ELi32ELb0EfPKPKffEviT4_llS4_lliPT5_PT3_.uses_vcc, 1
	.set _ZL26rocblas_dot_kernel_inc1by2ILb1ELi1024ELi32ELb0EfPKPKffEviT4_llS4_lliPT5_PT3_.uses_flat_scratch, 0
	.set _ZL26rocblas_dot_kernel_inc1by2ILb1ELi1024ELi32ELb0EfPKPKffEviT4_llS4_lliPT5_PT3_.has_dyn_sized_stack, 0
	.set _ZL26rocblas_dot_kernel_inc1by2ILb1ELi1024ELi32ELb0EfPKPKffEviT4_llS4_lliPT5_PT3_.has_recursion, 0
	.set _ZL26rocblas_dot_kernel_inc1by2ILb1ELi1024ELi32ELb0EfPKPKffEviT4_llS4_lliPT5_PT3_.has_indirect_call, 0
	.section	.AMDGPU.csdata,"",@progbits
; Kernel info:
; codeLenInByte = 920
; TotalNumSgprs: 28
; NumVgprs: 11
; ScratchSize: 0
; MemoryBound: 0
; FloatMode: 240
; IeeeMode: 1
; LDSByteSize: 256 bytes/workgroup (compile time only)
; SGPRBlocks: 3
; VGPRBlocks: 2
; NumSGPRsForWavesPerEU: 28
; NumVGPRsForWavesPerEU: 11
; Occupancy: 10
; WaveLimiterHint : 1
; COMPUTE_PGM_RSRC2:SCRATCH_EN: 0
; COMPUTE_PGM_RSRC2:USER_SGPR: 6
; COMPUTE_PGM_RSRC2:TRAP_HANDLER: 0
; COMPUTE_PGM_RSRC2:TGID_X_EN: 1
; COMPUTE_PGM_RSRC2:TGID_Y_EN: 0
; COMPUTE_PGM_RSRC2:TGID_Z_EN: 1
; COMPUTE_PGM_RSRC2:TIDIG_COMP_CNT: 0
	.section	.text._ZL18rocblas_dot_kernelIiLb1ELi1024ELi32ELb0EfPKPKffEviT5_lT_lS4_lS5_liPT6_PT4_,"axG",@progbits,_ZL18rocblas_dot_kernelIiLb1ELi1024ELi32ELb0EfPKPKffEviT5_lT_lS4_lS5_liPT6_PT4_,comdat
	.globl	_ZL18rocblas_dot_kernelIiLb1ELi1024ELi32ELb0EfPKPKffEviT5_lT_lS4_lS5_liPT6_PT4_ ; -- Begin function _ZL18rocblas_dot_kernelIiLb1ELi1024ELi32ELb0EfPKPKffEviT5_lT_lS4_lS5_liPT6_PT4_
	.p2align	8
	.type	_ZL18rocblas_dot_kernelIiLb1ELi1024ELi32ELb0EfPKPKffEviT5_lT_lS4_lS5_liPT6_PT4_,@function
_ZL18rocblas_dot_kernelIiLb1ELi1024ELi32ELb0EfPKPKffEviT5_lT_lS4_lS5_liPT6_PT4_: ; @_ZL18rocblas_dot_kernelIiLb1ELi1024ELi32ELb0EfPKPKffEviT5_lT_lS4_lS5_liPT6_PT4_
; %bb.0:
	s_load_dword s14, s[4:5], 0x0
	s_load_dwordx2 s[8:9], s[4:5], 0x58
	s_mov_b32 s6, s7
	s_mov_b32 s7, 0
	v_mov_b32_e32 v5, 0
	s_waitcnt lgkmcnt(0)
	v_cmp_gt_i32_e32 vcc, s14, v0
	s_and_saveexec_b64 s[10:11], vcc
	s_cbranch_execz .LBB89_4
; %bb.1:
	s_load_dwordx4 s[16:19], s[4:5], 0x8
	s_load_dwordx4 s[0:3], s[4:5], 0x28
	s_load_dword s22, s[4:5], 0x18
	s_lshl_b64 s[12:13], s[6:7], 3
	s_waitcnt lgkmcnt(0)
	s_add_u32 s16, s16, s12
	s_addc_u32 s17, s17, s13
	s_load_dwordx2 s[20:21], s[16:17], 0x0
	s_load_dword s23, s[4:5], 0x38
	s_load_dword s15, s[4:5], 0x60
	v_mad_i64_i32 v[1:2], s[4:5], s22, v0, 0
	s_add_u32 s0, s0, s12
	s_addc_u32 s1, s1, s13
	s_waitcnt lgkmcnt(0)
	s_lshl_b32 s15, s15, 10
	s_lshl_b64 s[4:5], s[18:19], 2
	v_lshlrev_b64 v[1:2], 2, v[1:2]
	s_add_u32 s4, s20, s4
	s_addc_u32 s5, s21, s5
	s_load_dwordx2 s[0:1], s[0:1], 0x0
	v_mov_b32_e32 v3, s5
	v_add_co_u32_e32 v1, vcc, s4, v1
	v_addc_co_u32_e32 v2, vcc, v3, v2, vcc
	v_mad_i64_i32 v[3:4], s[4:5], s23, v0, 0
	s_mul_hi_i32 s5, s22, s15
	s_mul_i32 s4, s22, s15
	s_lshl_b64 s[4:5], s[4:5], 2
	s_lshl_b64 s[2:3], s[2:3], 2
	v_lshlrev_b64 v[3:4], 2, v[3:4]
	s_waitcnt lgkmcnt(0)
	s_add_u32 s0, s0, s2
	s_addc_u32 s1, s1, s3
	v_mov_b32_e32 v5, s1
	v_add_co_u32_e32 v3, vcc, s0, v3
	s_mul_hi_i32 s1, s23, s15
	s_mul_i32 s0, s23, s15
	s_lshl_b64 s[2:3], s[0:1], 2
	v_or_b32_e32 v6, s15, v0
	v_addc_co_u32_e32 v4, vcc, v5, v4, vcc
	v_mov_b32_e32 v5, 0
	s_mov_b64 s[12:13], 0
	v_mov_b32_e32 v7, s5
	v_mov_b32_e32 v8, s3
	s_mov_b32 s3, s7
.LBB89_2:                               ; =>This Inner Loop Header: Depth=1
	flat_load_dword v9, v[3:4]
	flat_load_dword v10, v[1:2]
	v_add_co_u32_e64 v1, s[0:1], s4, v1
	v_addc_co_u32_e64 v2, s[0:1], v2, v7, s[0:1]
	s_add_i32 s5, s3, 1
	v_add_co_u32_e64 v3, s[0:1], s2, v3
	v_addc_co_u32_e64 v4, s[0:1], v4, v8, s[0:1]
	s_cmp_gt_u32 s3, 30
	v_cmp_le_i32_e32 vcc, s14, v6
	s_cselect_b64 s[0:1], -1, 0
	s_or_b64 s[0:1], s[0:1], vcc
	s_and_b64 s[0:1], exec, s[0:1]
	v_add_u32_e32 v6, s15, v6
	s_mov_b32 s3, s5
	s_or_b64 s[12:13], s[0:1], s[12:13]
	s_waitcnt vmcnt(0) lgkmcnt(0)
	v_fmac_f32_e32 v5, v9, v10
	s_andn2_b64 exec, exec, s[12:13]
	s_cbranch_execnz .LBB89_2
; %bb.3:
	s_or_b64 exec, exec, s[12:13]
.LBB89_4:
	s_or_b64 exec, exec, s[10:11]
	v_and_b32_e32 v4, 63, v0
	v_cmp_gt_u32_e32 vcc, 64, v0
	v_lshlrev_b32_e32 v1, 2, v4
	s_and_saveexec_b64 s[0:1], vcc
; %bb.5:
	v_mov_b32_e32 v2, 0
	ds_write_b32 v1, v2
; %bb.6:
	s_or_b64 exec, exec, s[0:1]
	v_mbcnt_lo_u32_b32 v2, -1, 0
	v_mbcnt_hi_u32_b32 v6, -1, v2
	v_mov_b32_e32 v2, 0x80
	v_lshl_or_b32 v2, v6, 2, v2
	ds_bpermute_b32 v2, v2, v5
	v_and_b32_e32 v7, 63, v6
	v_cmp_gt_u32_e64 s[0:1], 48, v7
	v_cndmask_b32_e64 v3, 0, 16, s[0:1]
	v_cmp_gt_u32_e64 s[0:1], 56, v7
	s_waitcnt lgkmcnt(0)
	v_add_f32_e32 v5, v5, v2
	v_add_lshl_u32 v2, v3, v6, 2
	ds_bpermute_b32 v3, v2, v5
	v_cndmask_b32_e64 v2, 0, 8, s[0:1]
	v_add_lshl_u32 v2, v2, v6, 2
	v_cmp_gt_u32_e64 s[0:1], 60, v7
	s_waitcnt lgkmcnt(0)
	v_add_f32_e32 v5, v5, v3
	ds_bpermute_b32 v8, v2, v5
	v_cndmask_b32_e64 v3, 0, 4, s[0:1]
	v_add_lshl_u32 v3, v3, v6, 2
	v_cmp_gt_u32_e64 s[0:1], 62, v7
	s_waitcnt lgkmcnt(0)
	s_barrier
	v_add_f32_e32 v8, v5, v8
	ds_bpermute_b32 v9, v3, v8
	v_cndmask_b32_e64 v5, 0, 2, s[0:1]
	v_add_lshl_u32 v5, v5, v6, 2
	v_cmp_ne_u32_e64 s[0:1], 63, v7
	v_addc_co_u32_e64 v6, s[0:1], 0, v6, s[0:1]
	s_waitcnt lgkmcnt(0)
	v_add_f32_e32 v8, v8, v9
	ds_bpermute_b32 v9, v5, v8
	v_lshlrev_b32_e32 v6, 2, v6
	v_cmp_eq_u32_e64 s[0:1], 0, v4
	s_waitcnt lgkmcnt(0)
	v_add_f32_e32 v7, v8, v9
	ds_bpermute_b32 v8, v6, v7
	s_and_saveexec_b64 s[2:3], s[0:1]
	s_cbranch_execz .LBB89_8
; %bb.7:
	s_waitcnt lgkmcnt(0)
	v_add_f32_e32 v4, v7, v8
	v_lshrrev_b32_e32 v7, 4, v0
	v_and_b32_e32 v7, 60, v7
	ds_write_b32 v7, v4
.LBB89_8:
	s_or_b64 exec, exec, s[2:3]
	v_cmp_gt_u32_e64 s[0:1], 16, v0
	v_mov_b32_e32 v4, 0
	s_waitcnt lgkmcnt(0)
	s_barrier
	s_and_saveexec_b64 s[2:3], s[0:1]
	s_cbranch_execnz .LBB89_12
; %bb.9:
	s_or_b64 exec, exec, s[2:3]
	s_and_saveexec_b64 s[0:1], vcc
	s_cbranch_execnz .LBB89_13
.LBB89_10:
	s_or_b64 exec, exec, s[0:1]
	v_cmp_eq_u32_e32 vcc, 0, v0
	s_and_saveexec_b64 s[0:1], vcc
	s_cbranch_execnz .LBB89_14
.LBB89_11:
	s_endpgm
.LBB89_12:
	ds_read_b32 v4, v1
	s_or_b64 exec, exec, s[2:3]
	s_and_saveexec_b64 s[0:1], vcc
	s_cbranch_execz .LBB89_10
.LBB89_13:
	s_waitcnt lgkmcnt(0)
	ds_bpermute_b32 v1, v2, v4
	s_waitcnt lgkmcnt(0)
	v_add_f32_e32 v1, v4, v1
	ds_bpermute_b32 v2, v3, v1
	s_waitcnt lgkmcnt(0)
	v_add_f32_e32 v1, v1, v2
	;; [unrolled: 3-line block ×4, first 2 shown]
	s_or_b64 exec, exec, s[0:1]
	v_cmp_eq_u32_e32 vcc, 0, v0
	s_and_saveexec_b64 s[0:1], vcc
	s_cbranch_execz .LBB89_11
.LBB89_14:
	s_lshl_b64 s[0:1], s[6:7], 2
	s_add_u32 s0, s8, s0
	s_addc_u32 s1, s9, s1
	v_mov_b32_e32 v0, 0
	s_waitcnt lgkmcnt(0)
	global_store_dword v0, v4, s[0:1]
	s_endpgm
	.section	.rodata,"a",@progbits
	.p2align	6, 0x0
	.amdhsa_kernel _ZL18rocblas_dot_kernelIiLb1ELi1024ELi32ELb0EfPKPKffEviT5_lT_lS4_lS5_liPT6_PT4_
		.amdhsa_group_segment_fixed_size 256
		.amdhsa_private_segment_fixed_size 0
		.amdhsa_kernarg_size 352
		.amdhsa_user_sgpr_count 6
		.amdhsa_user_sgpr_private_segment_buffer 1
		.amdhsa_user_sgpr_dispatch_ptr 0
		.amdhsa_user_sgpr_queue_ptr 0
		.amdhsa_user_sgpr_kernarg_segment_ptr 1
		.amdhsa_user_sgpr_dispatch_id 0
		.amdhsa_user_sgpr_flat_scratch_init 0
		.amdhsa_user_sgpr_private_segment_size 0
		.amdhsa_uses_dynamic_stack 0
		.amdhsa_system_sgpr_private_segment_wavefront_offset 0
		.amdhsa_system_sgpr_workgroup_id_x 1
		.amdhsa_system_sgpr_workgroup_id_y 0
		.amdhsa_system_sgpr_workgroup_id_z 1
		.amdhsa_system_sgpr_workgroup_info 0
		.amdhsa_system_vgpr_workitem_id 0
		.amdhsa_next_free_vgpr 11
		.amdhsa_next_free_sgpr 24
		.amdhsa_reserve_vcc 1
		.amdhsa_reserve_flat_scratch 0
		.amdhsa_float_round_mode_32 0
		.amdhsa_float_round_mode_16_64 0
		.amdhsa_float_denorm_mode_32 3
		.amdhsa_float_denorm_mode_16_64 3
		.amdhsa_dx10_clamp 1
		.amdhsa_ieee_mode 1
		.amdhsa_fp16_overflow 0
		.amdhsa_exception_fp_ieee_invalid_op 0
		.amdhsa_exception_fp_denorm_src 0
		.amdhsa_exception_fp_ieee_div_zero 0
		.amdhsa_exception_fp_ieee_overflow 0
		.amdhsa_exception_fp_ieee_underflow 0
		.amdhsa_exception_fp_ieee_inexact 0
		.amdhsa_exception_int_div_zero 0
	.end_amdhsa_kernel
	.section	.text._ZL18rocblas_dot_kernelIiLb1ELi1024ELi32ELb0EfPKPKffEviT5_lT_lS4_lS5_liPT6_PT4_,"axG",@progbits,_ZL18rocblas_dot_kernelIiLb1ELi1024ELi32ELb0EfPKPKffEviT5_lT_lS4_lS5_liPT6_PT4_,comdat
.Lfunc_end89:
	.size	_ZL18rocblas_dot_kernelIiLb1ELi1024ELi32ELb0EfPKPKffEviT5_lT_lS4_lS5_liPT6_PT4_, .Lfunc_end89-_ZL18rocblas_dot_kernelIiLb1ELi1024ELi32ELb0EfPKPKffEviT5_lT_lS4_lS5_liPT6_PT4_
                                        ; -- End function
	.set _ZL18rocblas_dot_kernelIiLb1ELi1024ELi32ELb0EfPKPKffEviT5_lT_lS4_lS5_liPT6_PT4_.num_vgpr, 11
	.set _ZL18rocblas_dot_kernelIiLb1ELi1024ELi32ELb0EfPKPKffEviT5_lT_lS4_lS5_liPT6_PT4_.num_agpr, 0
	.set _ZL18rocblas_dot_kernelIiLb1ELi1024ELi32ELb0EfPKPKffEviT5_lT_lS4_lS5_liPT6_PT4_.numbered_sgpr, 24
	.set _ZL18rocblas_dot_kernelIiLb1ELi1024ELi32ELb0EfPKPKffEviT5_lT_lS4_lS5_liPT6_PT4_.num_named_barrier, 0
	.set _ZL18rocblas_dot_kernelIiLb1ELi1024ELi32ELb0EfPKPKffEviT5_lT_lS4_lS5_liPT6_PT4_.private_seg_size, 0
	.set _ZL18rocblas_dot_kernelIiLb1ELi1024ELi32ELb0EfPKPKffEviT5_lT_lS4_lS5_liPT6_PT4_.uses_vcc, 1
	.set _ZL18rocblas_dot_kernelIiLb1ELi1024ELi32ELb0EfPKPKffEviT5_lT_lS4_lS5_liPT6_PT4_.uses_flat_scratch, 0
	.set _ZL18rocblas_dot_kernelIiLb1ELi1024ELi32ELb0EfPKPKffEviT5_lT_lS4_lS5_liPT6_PT4_.has_dyn_sized_stack, 0
	.set _ZL18rocblas_dot_kernelIiLb1ELi1024ELi32ELb0EfPKPKffEviT5_lT_lS4_lS5_liPT6_PT4_.has_recursion, 0
	.set _ZL18rocblas_dot_kernelIiLb1ELi1024ELi32ELb0EfPKPKffEviT5_lT_lS4_lS5_liPT6_PT4_.has_indirect_call, 0
	.section	.AMDGPU.csdata,"",@progbits
; Kernel info:
; codeLenInByte = 888
; TotalNumSgprs: 28
; NumVgprs: 11
; ScratchSize: 0
; MemoryBound: 0
; FloatMode: 240
; IeeeMode: 1
; LDSByteSize: 256 bytes/workgroup (compile time only)
; SGPRBlocks: 3
; VGPRBlocks: 2
; NumSGPRsForWavesPerEU: 28
; NumVGPRsForWavesPerEU: 11
; Occupancy: 10
; WaveLimiterHint : 0
; COMPUTE_PGM_RSRC2:SCRATCH_EN: 0
; COMPUTE_PGM_RSRC2:USER_SGPR: 6
; COMPUTE_PGM_RSRC2:TRAP_HANDLER: 0
; COMPUTE_PGM_RSRC2:TGID_X_EN: 1
; COMPUTE_PGM_RSRC2:TGID_Y_EN: 0
; COMPUTE_PGM_RSRC2:TGID_Z_EN: 1
; COMPUTE_PGM_RSRC2:TIDIG_COMP_CNT: 0
	.section	.text._ZL24rocblas_dot_kernel_magsqIiLb1ELi1024ELi32ELb0EfPKPKffEviT5_lT_liPT6_PT4_,"axG",@progbits,_ZL24rocblas_dot_kernel_magsqIiLb1ELi1024ELi32ELb0EfPKPKffEviT5_lT_liPT6_PT4_,comdat
	.globl	_ZL24rocblas_dot_kernel_magsqIiLb1ELi1024ELi32ELb0EfPKPKffEviT5_lT_liPT6_PT4_ ; -- Begin function _ZL24rocblas_dot_kernel_magsqIiLb1ELi1024ELi32ELb0EfPKPKffEviT5_lT_liPT6_PT4_
	.p2align	8
	.type	_ZL24rocblas_dot_kernel_magsqIiLb1ELi1024ELi32ELb0EfPKPKffEviT5_lT_liPT6_PT4_,@function
_ZL24rocblas_dot_kernel_magsqIiLb1ELi1024ELi32ELb0EfPKPKffEviT5_lT_liPT6_PT4_: ; @_ZL24rocblas_dot_kernel_magsqIiLb1ELi1024ELi32ELb0EfPKPKffEviT5_lT_liPT6_PT4_
; %bb.0:
	s_mov_b32 s2, s7
	s_load_dword s12, s[4:5], 0x0
	s_load_dwordx2 s[6:7], s[4:5], 0x38
	s_mov_b32 s3, 0
	v_mov_b32_e32 v3, 0
	s_waitcnt lgkmcnt(0)
	v_cmp_gt_i32_e32 vcc, s12, v0
	s_and_saveexec_b64 s[8:9], vcc
	s_cbranch_execz .LBB90_4
; %bb.1:
	s_load_dwordx4 s[16:19], s[4:5], 0x8
	s_lshl_b64 s[0:1], s[2:3], 3
	s_load_dword s10, s[4:5], 0x18
	s_load_dword s11, s[4:5], 0x40
	s_waitcnt lgkmcnt(0)
	s_add_u32 s0, s16, s0
	s_addc_u32 s1, s17, s1
	s_load_dwordx2 s[0:1], s[0:1], 0x0
	v_mad_i64_i32 v[1:2], s[4:5], s10, v0, 0
	s_lshl_b32 s13, s11, 10
	s_lshl_b64 s[4:5], s[18:19], 2
	v_lshlrev_b64 v[1:2], 2, v[1:2]
	s_waitcnt lgkmcnt(0)
	s_add_u32 s0, s0, s4
	s_addc_u32 s1, s1, s5
	v_mov_b32_e32 v3, s1
	v_add_co_u32_e32 v1, vcc, s0, v1
	s_mul_hi_i32 s1, s10, s13
	s_mul_i32 s0, s10, s13
	s_lshl_b64 s[4:5], s[0:1], 2
	v_or_b32_e32 v4, s13, v0
	v_addc_co_u32_e32 v2, vcc, v3, v2, vcc
	v_mov_b32_e32 v3, 0
	s_mov_b64 s[10:11], 0
	v_mov_b32_e32 v5, s5
	s_mov_b32 s5, s3
.LBB90_2:                               ; =>This Inner Loop Header: Depth=1
	flat_load_dword v6, v[1:2]
	s_add_i32 s14, s5, 1
	v_add_co_u32_e64 v1, s[0:1], s4, v1
	v_addc_co_u32_e64 v2, s[0:1], v2, v5, s[0:1]
	s_cmp_gt_u32 s5, 30
	v_cmp_le_i32_e32 vcc, s12, v4
	s_cselect_b64 s[0:1], -1, 0
	s_or_b64 s[0:1], s[0:1], vcc
	s_and_b64 s[0:1], exec, s[0:1]
	v_add_u32_e32 v4, s13, v4
	s_mov_b32 s5, s14
	s_or_b64 s[10:11], s[0:1], s[10:11]
	s_waitcnt vmcnt(0) lgkmcnt(0)
	v_fmac_f32_e32 v3, v6, v6
	s_andn2_b64 exec, exec, s[10:11]
	s_cbranch_execnz .LBB90_2
; %bb.3:
	s_or_b64 exec, exec, s[10:11]
.LBB90_4:
	s_or_b64 exec, exec, s[8:9]
	v_and_b32_e32 v4, 63, v0
	v_cmp_gt_u32_e32 vcc, 64, v0
	v_lshlrev_b32_e32 v1, 2, v4
	s_and_saveexec_b64 s[0:1], vcc
; %bb.5:
	v_mov_b32_e32 v2, 0
	ds_write_b32 v1, v2
; %bb.6:
	s_or_b64 exec, exec, s[0:1]
	v_mbcnt_lo_u32_b32 v2, -1, 0
	v_mbcnt_hi_u32_b32 v6, -1, v2
	v_mov_b32_e32 v2, 0x80
	v_lshl_or_b32 v2, v6, 2, v2
	ds_bpermute_b32 v2, v2, v3
	v_and_b32_e32 v7, 63, v6
	v_cmp_gt_u32_e64 s[0:1], 48, v7
	v_cndmask_b32_e64 v5, 0, 16, s[0:1]
	v_cmp_gt_u32_e64 s[0:1], 56, v7
	s_waitcnt lgkmcnt(0)
	v_add_f32_e32 v3, v3, v2
	v_add_lshl_u32 v2, v5, v6, 2
	ds_bpermute_b32 v5, v2, v3
	v_cndmask_b32_e64 v2, 0, 8, s[0:1]
	v_add_lshl_u32 v2, v2, v6, 2
	v_cmp_gt_u32_e64 s[0:1], 60, v7
	s_waitcnt lgkmcnt(0)
	v_add_f32_e32 v5, v3, v5
	ds_bpermute_b32 v8, v2, v5
	v_cndmask_b32_e64 v3, 0, 4, s[0:1]
	v_add_lshl_u32 v3, v3, v6, 2
	v_cmp_gt_u32_e64 s[0:1], 62, v7
	s_waitcnt lgkmcnt(0)
	s_barrier
	v_add_f32_e32 v8, v5, v8
	ds_bpermute_b32 v9, v3, v8
	v_cndmask_b32_e64 v5, 0, 2, s[0:1]
	v_add_lshl_u32 v5, v5, v6, 2
	v_cmp_ne_u32_e64 s[0:1], 63, v7
	v_addc_co_u32_e64 v6, s[0:1], 0, v6, s[0:1]
	s_waitcnt lgkmcnt(0)
	v_add_f32_e32 v8, v8, v9
	ds_bpermute_b32 v9, v5, v8
	v_lshlrev_b32_e32 v6, 2, v6
	v_cmp_eq_u32_e64 s[0:1], 0, v4
	s_waitcnt lgkmcnt(0)
	v_add_f32_e32 v7, v8, v9
	ds_bpermute_b32 v8, v6, v7
	s_and_saveexec_b64 s[4:5], s[0:1]
	s_cbranch_execz .LBB90_8
; %bb.7:
	s_waitcnt lgkmcnt(0)
	v_add_f32_e32 v4, v7, v8
	v_lshrrev_b32_e32 v7, 4, v0
	v_and_b32_e32 v7, 60, v7
	ds_write_b32 v7, v4
.LBB90_8:
	s_or_b64 exec, exec, s[4:5]
	v_cmp_gt_u32_e64 s[0:1], 16, v0
	v_mov_b32_e32 v4, 0
	s_waitcnt lgkmcnt(0)
	s_barrier
	s_and_saveexec_b64 s[4:5], s[0:1]
	s_cbranch_execnz .LBB90_12
; %bb.9:
	s_or_b64 exec, exec, s[4:5]
	s_and_saveexec_b64 s[0:1], vcc
	s_cbranch_execnz .LBB90_13
.LBB90_10:
	s_or_b64 exec, exec, s[0:1]
	v_cmp_eq_u32_e32 vcc, 0, v0
	s_and_saveexec_b64 s[0:1], vcc
	s_cbranch_execnz .LBB90_14
.LBB90_11:
	s_endpgm
.LBB90_12:
	ds_read_b32 v4, v1
	s_or_b64 exec, exec, s[4:5]
	s_and_saveexec_b64 s[0:1], vcc
	s_cbranch_execz .LBB90_10
.LBB90_13:
	s_waitcnt lgkmcnt(0)
	ds_bpermute_b32 v1, v2, v4
	s_waitcnt lgkmcnt(0)
	v_add_f32_e32 v1, v4, v1
	ds_bpermute_b32 v2, v3, v1
	s_waitcnt lgkmcnt(0)
	v_add_f32_e32 v1, v1, v2
	;; [unrolled: 3-line block ×4, first 2 shown]
	s_or_b64 exec, exec, s[0:1]
	v_cmp_eq_u32_e32 vcc, 0, v0
	s_and_saveexec_b64 s[0:1], vcc
	s_cbranch_execz .LBB90_11
.LBB90_14:
	s_lshl_b64 s[0:1], s[2:3], 2
	s_add_u32 s0, s6, s0
	s_addc_u32 s1, s7, s1
	v_mov_b32_e32 v0, 0
	s_waitcnt lgkmcnt(0)
	global_store_dword v0, v4, s[0:1]
	s_endpgm
	.section	.rodata,"a",@progbits
	.p2align	6, 0x0
	.amdhsa_kernel _ZL24rocblas_dot_kernel_magsqIiLb1ELi1024ELi32ELb0EfPKPKffEviT5_lT_liPT6_PT4_
		.amdhsa_group_segment_fixed_size 256
		.amdhsa_private_segment_fixed_size 0
		.amdhsa_kernarg_size 320
		.amdhsa_user_sgpr_count 6
		.amdhsa_user_sgpr_private_segment_buffer 1
		.amdhsa_user_sgpr_dispatch_ptr 0
		.amdhsa_user_sgpr_queue_ptr 0
		.amdhsa_user_sgpr_kernarg_segment_ptr 1
		.amdhsa_user_sgpr_dispatch_id 0
		.amdhsa_user_sgpr_flat_scratch_init 0
		.amdhsa_user_sgpr_private_segment_size 0
		.amdhsa_uses_dynamic_stack 0
		.amdhsa_system_sgpr_private_segment_wavefront_offset 0
		.amdhsa_system_sgpr_workgroup_id_x 1
		.amdhsa_system_sgpr_workgroup_id_y 0
		.amdhsa_system_sgpr_workgroup_id_z 1
		.amdhsa_system_sgpr_workgroup_info 0
		.amdhsa_system_vgpr_workitem_id 0
		.amdhsa_next_free_vgpr 10
		.amdhsa_next_free_sgpr 20
		.amdhsa_reserve_vcc 1
		.amdhsa_reserve_flat_scratch 0
		.amdhsa_float_round_mode_32 0
		.amdhsa_float_round_mode_16_64 0
		.amdhsa_float_denorm_mode_32 3
		.amdhsa_float_denorm_mode_16_64 3
		.amdhsa_dx10_clamp 1
		.amdhsa_ieee_mode 1
		.amdhsa_fp16_overflow 0
		.amdhsa_exception_fp_ieee_invalid_op 0
		.amdhsa_exception_fp_denorm_src 0
		.amdhsa_exception_fp_ieee_div_zero 0
		.amdhsa_exception_fp_ieee_overflow 0
		.amdhsa_exception_fp_ieee_underflow 0
		.amdhsa_exception_fp_ieee_inexact 0
		.amdhsa_exception_int_div_zero 0
	.end_amdhsa_kernel
	.section	.text._ZL24rocblas_dot_kernel_magsqIiLb1ELi1024ELi32ELb0EfPKPKffEviT5_lT_liPT6_PT4_,"axG",@progbits,_ZL24rocblas_dot_kernel_magsqIiLb1ELi1024ELi32ELb0EfPKPKffEviT5_lT_liPT6_PT4_,comdat
.Lfunc_end90:
	.size	_ZL24rocblas_dot_kernel_magsqIiLb1ELi1024ELi32ELb0EfPKPKffEviT5_lT_liPT6_PT4_, .Lfunc_end90-_ZL24rocblas_dot_kernel_magsqIiLb1ELi1024ELi32ELb0EfPKPKffEviT5_lT_liPT6_PT4_
                                        ; -- End function
	.set _ZL24rocblas_dot_kernel_magsqIiLb1ELi1024ELi32ELb0EfPKPKffEviT5_lT_liPT6_PT4_.num_vgpr, 10
	.set _ZL24rocblas_dot_kernel_magsqIiLb1ELi1024ELi32ELb0EfPKPKffEviT5_lT_liPT6_PT4_.num_agpr, 0
	.set _ZL24rocblas_dot_kernel_magsqIiLb1ELi1024ELi32ELb0EfPKPKffEviT5_lT_liPT6_PT4_.numbered_sgpr, 20
	.set _ZL24rocblas_dot_kernel_magsqIiLb1ELi1024ELi32ELb0EfPKPKffEviT5_lT_liPT6_PT4_.num_named_barrier, 0
	.set _ZL24rocblas_dot_kernel_magsqIiLb1ELi1024ELi32ELb0EfPKPKffEviT5_lT_liPT6_PT4_.private_seg_size, 0
	.set _ZL24rocblas_dot_kernel_magsqIiLb1ELi1024ELi32ELb0EfPKPKffEviT5_lT_liPT6_PT4_.uses_vcc, 1
	.set _ZL24rocblas_dot_kernel_magsqIiLb1ELi1024ELi32ELb0EfPKPKffEviT5_lT_liPT6_PT4_.uses_flat_scratch, 0
	.set _ZL24rocblas_dot_kernel_magsqIiLb1ELi1024ELi32ELb0EfPKPKffEviT5_lT_liPT6_PT4_.has_dyn_sized_stack, 0
	.set _ZL24rocblas_dot_kernel_magsqIiLb1ELi1024ELi32ELb0EfPKPKffEviT5_lT_liPT6_PT4_.has_recursion, 0
	.set _ZL24rocblas_dot_kernel_magsqIiLb1ELi1024ELi32ELb0EfPKPKffEviT5_lT_liPT6_PT4_.has_indirect_call, 0
	.section	.AMDGPU.csdata,"",@progbits
; Kernel info:
; codeLenInByte = 772
; TotalNumSgprs: 24
; NumVgprs: 10
; ScratchSize: 0
; MemoryBound: 0
; FloatMode: 240
; IeeeMode: 1
; LDSByteSize: 256 bytes/workgroup (compile time only)
; SGPRBlocks: 2
; VGPRBlocks: 2
; NumSGPRsForWavesPerEU: 24
; NumVGPRsForWavesPerEU: 10
; Occupancy: 10
; WaveLimiterHint : 0
; COMPUTE_PGM_RSRC2:SCRATCH_EN: 0
; COMPUTE_PGM_RSRC2:USER_SGPR: 6
; COMPUTE_PGM_RSRC2:TRAP_HANDLER: 0
; COMPUTE_PGM_RSRC2:TGID_X_EN: 1
; COMPUTE_PGM_RSRC2:TGID_Y_EN: 0
; COMPUTE_PGM_RSRC2:TGID_Z_EN: 1
; COMPUTE_PGM_RSRC2:TIDIG_COMP_CNT: 0
	.section	.text._ZL23rocblas_dot_kernel_inc1ILb0ELi512ELi4ELb0EfPKPKffEviT4_llS4_lliPT5_PT3_,"axG",@progbits,_ZL23rocblas_dot_kernel_inc1ILb0ELi512ELi4ELb0EfPKPKffEviT4_llS4_lliPT5_PT3_,comdat
	.globl	_ZL23rocblas_dot_kernel_inc1ILb0ELi512ELi4ELb0EfPKPKffEviT4_llS4_lliPT5_PT3_ ; -- Begin function _ZL23rocblas_dot_kernel_inc1ILb0ELi512ELi4ELb0EfPKPKffEviT4_llS4_lliPT5_PT3_
	.p2align	8
	.type	_ZL23rocblas_dot_kernel_inc1ILb0ELi512ELi4ELb0EfPKPKffEviT4_llS4_lliPT5_PT3_,@function
_ZL23rocblas_dot_kernel_inc1ILb0ELi512ELi4ELb0EfPKPKffEviT4_llS4_lliPT5_PT3_: ; @_ZL23rocblas_dot_kernel_inc1ILb0ELi512ELi4ELb0EfPKPKffEviT4_llS4_lliPT5_PT3_
; %bb.0:
	s_mov_b32 s2, s7
	s_load_dword s18, s[4:5], 0x50
	s_load_dword s7, s[4:5], 0x0
	s_load_dwordx4 s[8:11], s[4:5], 0x40
	v_lshl_or_b32 v3, s6, 9, v0
	s_mov_b32 s3, 0
	v_mov_b32_e32 v5, 0
	s_waitcnt lgkmcnt(0)
	v_cmp_gt_i32_e32 vcc, s7, v3
	s_and_saveexec_b64 s[12:13], vcc
	s_cbranch_execz .LBB91_4
; %bb.1:
	s_load_dwordx4 s[20:23], s[4:5], 0x8
	s_load_dwordx4 s[24:27], s[4:5], 0x20
	s_lshl_b64 s[0:1], s[2:3], 3
	v_ashrrev_i32_e32 v4, 31, v3
	v_lshlrev_b64 v[1:2], 2, v[3:4]
	s_waitcnt lgkmcnt(0)
	s_add_u32 s4, s20, s0
	s_addc_u32 s5, s21, s1
	s_load_dwordx2 s[4:5], s[4:5], 0x0
	s_lshl_b64 s[14:15], s[22:23], 2
	v_mov_b32_e32 v5, 0
	s_waitcnt lgkmcnt(0)
	s_add_u32 s19, s4, s14
	s_addc_u32 s14, s5, s15
	s_add_u32 s0, s24, s0
	s_addc_u32 s1, s25, s1
	s_load_dwordx2 s[0:1], s[0:1], 0x0
	v_mov_b32_e32 v4, s14
	s_lshl_b64 s[14:15], s[26:27], 2
	s_mov_b64 s[4:5], 0
	s_waitcnt lgkmcnt(0)
	s_add_u32 s20, s0, s14
	s_addc_u32 s0, s1, s15
	s_lshl_b32 s14, s18, 9
	s_ashr_i32 s15, s14, 31
	s_lshl_b64 s[16:17], s[14:15], 2
	v_add_u32_e32 v3, s14, v3
	v_mov_b32_e32 v6, s0
	v_mov_b32_e32 v7, s17
	s_mov_b32 s15, s3
.LBB91_2:                               ; =>This Inner Loop Header: Depth=1
	v_add_co_u32_e32 v8, vcc, s20, v1
	v_addc_co_u32_e32 v9, vcc, v6, v2, vcc
	v_add_co_u32_e32 v10, vcc, s19, v1
	v_addc_co_u32_e32 v11, vcc, v4, v2, vcc
	flat_load_dword v12, v[8:9]
	flat_load_dword v13, v[10:11]
	s_add_i32 s17, s15, 1
	v_add_co_u32_e64 v1, s[0:1], s16, v1
	v_addc_co_u32_e64 v2, s[0:1], v2, v7, s[0:1]
	s_cmp_gt_u32 s15, 2
	v_cmp_le_i32_e32 vcc, s7, v3
	s_cselect_b64 s[0:1], -1, 0
	s_or_b64 s[0:1], s[0:1], vcc
	s_and_b64 s[0:1], exec, s[0:1]
	v_add_u32_e32 v3, s14, v3
	s_mov_b32 s15, s17
	s_or_b64 s[4:5], s[0:1], s[4:5]
	s_waitcnt vmcnt(0) lgkmcnt(0)
	v_fmac_f32_e32 v5, v12, v13
	s_andn2_b64 exec, exec, s[4:5]
	s_cbranch_execnz .LBB91_2
; %bb.3:
	s_or_b64 exec, exec, s[4:5]
.LBB91_4:
	s_or_b64 exec, exec, s[12:13]
	v_and_b32_e32 v2, 63, v0
	v_cmp_gt_u32_e32 vcc, 64, v0
	v_lshlrev_b32_e32 v1, 2, v2
	s_and_saveexec_b64 s[0:1], vcc
; %bb.5:
	v_mov_b32_e32 v3, 0
	ds_write_b32 v1, v3
; %bb.6:
	s_or_b64 exec, exec, s[0:1]
	v_mbcnt_lo_u32_b32 v3, -1, 0
	v_mbcnt_hi_u32_b32 v6, -1, v3
	v_mov_b32_e32 v3, 0x80
	v_lshl_or_b32 v3, v6, 2, v3
	ds_bpermute_b32 v3, v3, v5
	v_and_b32_e32 v7, 63, v6
	v_cmp_gt_u32_e64 s[0:1], 48, v7
	v_cndmask_b32_e64 v4, 0, 16, s[0:1]
	v_add_lshl_u32 v4, v4, v6, 2
	s_waitcnt lgkmcnt(0)
	v_add_f32_e32 v3, v5, v3
	ds_bpermute_b32 v4, v4, v3
	v_cmp_gt_u32_e64 s[0:1], 56, v7
	v_cndmask_b32_e64 v5, 0, 8, s[0:1]
	v_add_lshl_u32 v5, v5, v6, 2
	v_cmp_gt_u32_e64 s[0:1], 60, v7
	s_waitcnt lgkmcnt(0)
	v_add_f32_e32 v4, v3, v4
	ds_bpermute_b32 v5, v5, v4
	v_cndmask_b32_e64 v3, 0, 4, s[0:1]
	v_add_lshl_u32 v3, v3, v6, 2
	v_cmp_gt_u32_e64 s[0:1], 62, v7
	s_waitcnt lgkmcnt(0)
	v_add_f32_e32 v5, v4, v5
	ds_bpermute_b32 v8, v3, v5
	v_cndmask_b32_e64 v4, 0, 2, s[0:1]
	v_add_lshl_u32 v4, v4, v6, 2
	v_cmp_ne_u32_e64 s[0:1], 63, v7
	v_addc_co_u32_e64 v7, s[0:1], 0, v6, s[0:1]
	s_waitcnt lgkmcnt(0)
	v_add_f32_e32 v5, v5, v8
	ds_bpermute_b32 v8, v4, v5
	v_cmp_eq_u32_e64 s[0:1], 0, v2
	s_waitcnt lgkmcnt(0)
	s_barrier
	v_add_f32_e32 v6, v5, v8
	v_lshlrev_b32_e32 v5, 2, v7
	ds_bpermute_b32 v7, v5, v6
	s_and_saveexec_b64 s[4:5], s[0:1]
	s_cbranch_execz .LBB91_8
; %bb.7:
	s_waitcnt lgkmcnt(0)
	v_add_f32_e32 v2, v6, v7
	v_lshrrev_b32_e32 v6, 4, v0
	v_and_b32_e32 v6, 28, v6
	ds_write_b32 v6, v2
.LBB91_8:
	s_or_b64 exec, exec, s[4:5]
	v_cmp_gt_u32_e64 s[0:1], 8, v0
	v_mov_b32_e32 v2, 0
	s_waitcnt lgkmcnt(0)
	s_barrier
	s_and_saveexec_b64 s[4:5], s[0:1]
	s_cbranch_execnz .LBB91_12
; %bb.9:
	s_or_b64 exec, exec, s[4:5]
	s_and_saveexec_b64 s[0:1], vcc
	s_cbranch_execnz .LBB91_13
.LBB91_10:
	s_or_b64 exec, exec, s[0:1]
	v_cmp_eq_u32_e32 vcc, 0, v0
	s_and_saveexec_b64 s[0:1], vcc
	s_cbranch_execnz .LBB91_14
.LBB91_11:
	s_endpgm
.LBB91_12:
	ds_read_b32 v2, v1
	s_or_b64 exec, exec, s[4:5]
	s_and_saveexec_b64 s[0:1], vcc
	s_cbranch_execz .LBB91_10
.LBB91_13:
	s_waitcnt lgkmcnt(0)
	ds_bpermute_b32 v1, v3, v2
	s_waitcnt lgkmcnt(0)
	v_add_f32_e32 v1, v2, v1
	ds_bpermute_b32 v2, v4, v1
	s_waitcnt lgkmcnt(0)
	v_add_f32_e32 v1, v1, v2
	;; [unrolled: 3-line block ×3, first 2 shown]
	s_or_b64 exec, exec, s[0:1]
	v_cmp_eq_u32_e32 vcc, 0, v0
	s_and_saveexec_b64 s[0:1], vcc
	s_cbranch_execz .LBB91_11
.LBB91_14:
	s_cmp_lg_u32 s18, 1
	s_mov_b64 s[0:1], -1
	s_cbranch_scc0 .LBB91_16
; %bb.15:
	s_mul_hi_u32 s1, s18, s2
	s_mul_i32 s0, s18, s2
	s_lshl_b64 s[0:1], s[0:1], 2
	s_mov_b32 s7, 0
	s_add_u32 s4, s8, s0
	s_addc_u32 s5, s9, s1
	s_lshl_b64 s[0:1], s[6:7], 2
	s_add_u32 s0, s4, s0
	s_addc_u32 s1, s5, s1
	v_mov_b32_e32 v0, 0
	s_waitcnt lgkmcnt(0)
	global_store_dword v0, v2, s[0:1]
	s_mov_b64 s[0:1], 0
.LBB91_16:
	s_andn2_b64 vcc, exec, s[0:1]
	s_cbranch_vccnz .LBB91_11
; %bb.17:
	s_lshl_b64 s[0:1], s[2:3], 2
	s_add_u32 s0, s10, s0
	s_addc_u32 s1, s11, s1
	v_mov_b32_e32 v0, 0
	s_waitcnt lgkmcnt(0)
	global_store_dword v0, v2, s[0:1]
	s_endpgm
	.section	.rodata,"a",@progbits
	.p2align	6, 0x0
	.amdhsa_kernel _ZL23rocblas_dot_kernel_inc1ILb0ELi512ELi4ELb0EfPKPKffEviT4_llS4_lliPT5_PT3_
		.amdhsa_group_segment_fixed_size 256
		.amdhsa_private_segment_fixed_size 0
		.amdhsa_kernarg_size 336
		.amdhsa_user_sgpr_count 6
		.amdhsa_user_sgpr_private_segment_buffer 1
		.amdhsa_user_sgpr_dispatch_ptr 0
		.amdhsa_user_sgpr_queue_ptr 0
		.amdhsa_user_sgpr_kernarg_segment_ptr 1
		.amdhsa_user_sgpr_dispatch_id 0
		.amdhsa_user_sgpr_flat_scratch_init 0
		.amdhsa_user_sgpr_private_segment_size 0
		.amdhsa_uses_dynamic_stack 0
		.amdhsa_system_sgpr_private_segment_wavefront_offset 0
		.amdhsa_system_sgpr_workgroup_id_x 1
		.amdhsa_system_sgpr_workgroup_id_y 0
		.amdhsa_system_sgpr_workgroup_id_z 1
		.amdhsa_system_sgpr_workgroup_info 0
		.amdhsa_system_vgpr_workitem_id 0
		.amdhsa_next_free_vgpr 14
		.amdhsa_next_free_sgpr 28
		.amdhsa_reserve_vcc 1
		.amdhsa_reserve_flat_scratch 0
		.amdhsa_float_round_mode_32 0
		.amdhsa_float_round_mode_16_64 0
		.amdhsa_float_denorm_mode_32 3
		.amdhsa_float_denorm_mode_16_64 3
		.amdhsa_dx10_clamp 1
		.amdhsa_ieee_mode 1
		.amdhsa_fp16_overflow 0
		.amdhsa_exception_fp_ieee_invalid_op 0
		.amdhsa_exception_fp_denorm_src 0
		.amdhsa_exception_fp_ieee_div_zero 0
		.amdhsa_exception_fp_ieee_overflow 0
		.amdhsa_exception_fp_ieee_underflow 0
		.amdhsa_exception_fp_ieee_inexact 0
		.amdhsa_exception_int_div_zero 0
	.end_amdhsa_kernel
	.section	.text._ZL23rocblas_dot_kernel_inc1ILb0ELi512ELi4ELb0EfPKPKffEviT4_llS4_lliPT5_PT3_,"axG",@progbits,_ZL23rocblas_dot_kernel_inc1ILb0ELi512ELi4ELb0EfPKPKffEviT4_llS4_lliPT5_PT3_,comdat
.Lfunc_end91:
	.size	_ZL23rocblas_dot_kernel_inc1ILb0ELi512ELi4ELb0EfPKPKffEviT4_llS4_lliPT5_PT3_, .Lfunc_end91-_ZL23rocblas_dot_kernel_inc1ILb0ELi512ELi4ELb0EfPKPKffEviT4_llS4_lliPT5_PT3_
                                        ; -- End function
	.set _ZL23rocblas_dot_kernel_inc1ILb0ELi512ELi4ELb0EfPKPKffEviT4_llS4_lliPT5_PT3_.num_vgpr, 14
	.set _ZL23rocblas_dot_kernel_inc1ILb0ELi512ELi4ELb0EfPKPKffEviT4_llS4_lliPT5_PT3_.num_agpr, 0
	.set _ZL23rocblas_dot_kernel_inc1ILb0ELi512ELi4ELb0EfPKPKffEviT4_llS4_lliPT5_PT3_.numbered_sgpr, 28
	.set _ZL23rocblas_dot_kernel_inc1ILb0ELi512ELi4ELb0EfPKPKffEviT4_llS4_lliPT5_PT3_.num_named_barrier, 0
	.set _ZL23rocblas_dot_kernel_inc1ILb0ELi512ELi4ELb0EfPKPKffEviT4_llS4_lliPT5_PT3_.private_seg_size, 0
	.set _ZL23rocblas_dot_kernel_inc1ILb0ELi512ELi4ELb0EfPKPKffEviT4_llS4_lliPT5_PT3_.uses_vcc, 1
	.set _ZL23rocblas_dot_kernel_inc1ILb0ELi512ELi4ELb0EfPKPKffEviT4_llS4_lliPT5_PT3_.uses_flat_scratch, 0
	.set _ZL23rocblas_dot_kernel_inc1ILb0ELi512ELi4ELb0EfPKPKffEviT4_llS4_lliPT5_PT3_.has_dyn_sized_stack, 0
	.set _ZL23rocblas_dot_kernel_inc1ILb0ELi512ELi4ELb0EfPKPKffEviT4_llS4_lliPT5_PT3_.has_recursion, 0
	.set _ZL23rocblas_dot_kernel_inc1ILb0ELi512ELi4ELb0EfPKPKffEviT4_llS4_lliPT5_PT3_.has_indirect_call, 0
	.section	.AMDGPU.csdata,"",@progbits
; Kernel info:
; codeLenInByte = 884
; TotalNumSgprs: 32
; NumVgprs: 14
; ScratchSize: 0
; MemoryBound: 0
; FloatMode: 240
; IeeeMode: 1
; LDSByteSize: 256 bytes/workgroup (compile time only)
; SGPRBlocks: 3
; VGPRBlocks: 3
; NumSGPRsForWavesPerEU: 32
; NumVGPRsForWavesPerEU: 14
; Occupancy: 10
; WaveLimiterHint : 1
; COMPUTE_PGM_RSRC2:SCRATCH_EN: 0
; COMPUTE_PGM_RSRC2:USER_SGPR: 6
; COMPUTE_PGM_RSRC2:TRAP_HANDLER: 0
; COMPUTE_PGM_RSRC2:TGID_X_EN: 1
; COMPUTE_PGM_RSRC2:TGID_Y_EN: 0
; COMPUTE_PGM_RSRC2:TGID_Z_EN: 1
; COMPUTE_PGM_RSRC2:TIDIG_COMP_CNT: 0
	.section	.text._ZL18rocblas_dot_kernelIiLb0ELi512ELi4ELb0EfPKPKffEviT5_lT_lS4_lS5_liPT6_PT4_,"axG",@progbits,_ZL18rocblas_dot_kernelIiLb0ELi512ELi4ELb0EfPKPKffEviT5_lT_lS4_lS5_liPT6_PT4_,comdat
	.globl	_ZL18rocblas_dot_kernelIiLb0ELi512ELi4ELb0EfPKPKffEviT5_lT_lS4_lS5_liPT6_PT4_ ; -- Begin function _ZL18rocblas_dot_kernelIiLb0ELi512ELi4ELb0EfPKPKffEviT5_lT_lS4_lS5_liPT6_PT4_
	.p2align	8
	.type	_ZL18rocblas_dot_kernelIiLb0ELi512ELi4ELb0EfPKPKffEviT5_lT_lS4_lS5_liPT6_PT4_,@function
_ZL18rocblas_dot_kernelIiLb0ELi512ELi4ELb0EfPKPKffEviT5_lT_lS4_lS5_liPT6_PT4_: ; @_ZL18rocblas_dot_kernelIiLb0ELi512ELi4ELb0EfPKPKffEviT5_lT_lS4_lS5_liPT6_PT4_
; %bb.0:
	s_mov_b32 s2, s7
	s_load_dword s18, s[4:5], 0x60
	s_load_dword s7, s[4:5], 0x0
	s_load_dwordx4 s[8:11], s[4:5], 0x50
	v_lshl_or_b32 v3, s6, 9, v0
	s_mov_b32 s3, 0
	v_mov_b32_e32 v5, 0
	s_waitcnt lgkmcnt(0)
	v_cmp_gt_i32_e32 vcc, s7, v3
	s_and_saveexec_b64 s[12:13], vcc
	s_cbranch_execz .LBB92_4
; %bb.1:
	s_load_dwordx4 s[20:23], s[4:5], 0x8
	s_load_dword s16, s[4:5], 0x18
	s_load_dwordx4 s[24:27], s[4:5], 0x28
	s_load_dword s17, s[4:5], 0x38
	s_lshl_b64 s[0:1], s[2:3], 3
	s_waitcnt lgkmcnt(0)
	s_add_u32 s4, s20, s0
	s_addc_u32 s5, s21, s1
	s_load_dwordx2 s[4:5], s[4:5], 0x0
	v_mad_i64_i32 v[1:2], s[14:15], s16, v3, 0
	s_add_u32 s0, s24, s0
	s_addc_u32 s1, s25, s1
	s_lshl_b32 s19, s18, 9
	s_lshl_b64 s[14:15], s[22:23], 2
	v_lshlrev_b64 v[1:2], 2, v[1:2]
	s_waitcnt lgkmcnt(0)
	s_add_u32 s4, s4, s14
	s_addc_u32 s5, s5, s15
	s_load_dwordx2 s[0:1], s[0:1], 0x0
	v_mov_b32_e32 v4, s5
	v_add_co_u32_e32 v1, vcc, s4, v1
	v_add_u32_e32 v6, s19, v3
	v_addc_co_u32_e32 v2, vcc, v4, v2, vcc
	v_mad_i64_i32 v[3:4], s[4:5], s17, v3, 0
	s_mul_hi_i32 s5, s16, s19
	s_mul_i32 s4, s16, s19
	s_lshl_b64 s[4:5], s[4:5], 2
	s_lshl_b64 s[14:15], s[26:27], 2
	v_lshlrev_b64 v[3:4], 2, v[3:4]
	s_waitcnt lgkmcnt(0)
	s_add_u32 s0, s0, s14
	s_addc_u32 s1, s1, s15
	v_mov_b32_e32 v5, s1
	v_add_co_u32_e32 v3, vcc, s0, v3
	s_mul_hi_i32 s1, s17, s19
	s_mul_i32 s0, s17, s19
	s_lshl_b64 s[14:15], s[0:1], 2
	v_addc_co_u32_e32 v4, vcc, v5, v4, vcc
	v_mov_b32_e32 v5, 0
	s_mov_b64 s[16:17], 0
	v_mov_b32_e32 v7, s5
	v_mov_b32_e32 v8, s15
	s_mov_b32 s5, s3
.LBB92_2:                               ; =>This Inner Loop Header: Depth=1
	flat_load_dword v9, v[3:4]
	flat_load_dword v10, v[1:2]
	v_add_co_u32_e64 v1, s[0:1], s4, v1
	v_addc_co_u32_e64 v2, s[0:1], v2, v7, s[0:1]
	s_add_i32 s15, s5, 1
	v_add_co_u32_e64 v3, s[0:1], s14, v3
	v_addc_co_u32_e64 v4, s[0:1], v4, v8, s[0:1]
	s_cmp_gt_u32 s5, 2
	v_cmp_le_i32_e32 vcc, s7, v6
	s_cselect_b64 s[0:1], -1, 0
	s_or_b64 s[0:1], s[0:1], vcc
	s_and_b64 s[0:1], exec, s[0:1]
	v_add_u32_e32 v6, s19, v6
	s_mov_b32 s5, s15
	s_or_b64 s[16:17], s[0:1], s[16:17]
	s_waitcnt vmcnt(0) lgkmcnt(0)
	v_fmac_f32_e32 v5, v9, v10
	s_andn2_b64 exec, exec, s[16:17]
	s_cbranch_execnz .LBB92_2
; %bb.3:
	s_or_b64 exec, exec, s[16:17]
.LBB92_4:
	s_or_b64 exec, exec, s[12:13]
	v_and_b32_e32 v2, 63, v0
	v_cmp_gt_u32_e32 vcc, 64, v0
	v_lshlrev_b32_e32 v1, 2, v2
	s_and_saveexec_b64 s[0:1], vcc
; %bb.5:
	v_mov_b32_e32 v3, 0
	ds_write_b32 v1, v3
; %bb.6:
	s_or_b64 exec, exec, s[0:1]
	v_mbcnt_lo_u32_b32 v3, -1, 0
	v_mbcnt_hi_u32_b32 v6, -1, v3
	v_mov_b32_e32 v3, 0x80
	v_lshl_or_b32 v3, v6, 2, v3
	ds_bpermute_b32 v3, v3, v5
	v_and_b32_e32 v7, 63, v6
	v_cmp_gt_u32_e64 s[0:1], 48, v7
	v_cndmask_b32_e64 v4, 0, 16, s[0:1]
	v_add_lshl_u32 v4, v4, v6, 2
	s_waitcnt lgkmcnt(0)
	v_add_f32_e32 v3, v5, v3
	ds_bpermute_b32 v4, v4, v3
	v_cmp_gt_u32_e64 s[0:1], 56, v7
	v_cndmask_b32_e64 v5, 0, 8, s[0:1]
	v_add_lshl_u32 v5, v5, v6, 2
	v_cmp_gt_u32_e64 s[0:1], 60, v7
	s_waitcnt lgkmcnt(0)
	v_add_f32_e32 v4, v3, v4
	ds_bpermute_b32 v5, v5, v4
	v_cndmask_b32_e64 v3, 0, 4, s[0:1]
	v_add_lshl_u32 v3, v3, v6, 2
	v_cmp_gt_u32_e64 s[0:1], 62, v7
	s_waitcnt lgkmcnt(0)
	v_add_f32_e32 v5, v4, v5
	ds_bpermute_b32 v8, v3, v5
	v_cndmask_b32_e64 v4, 0, 2, s[0:1]
	v_add_lshl_u32 v4, v4, v6, 2
	v_cmp_ne_u32_e64 s[0:1], 63, v7
	v_addc_co_u32_e64 v7, s[0:1], 0, v6, s[0:1]
	s_waitcnt lgkmcnt(0)
	v_add_f32_e32 v5, v5, v8
	ds_bpermute_b32 v8, v4, v5
	v_cmp_eq_u32_e64 s[0:1], 0, v2
	s_waitcnt lgkmcnt(0)
	s_barrier
	v_add_f32_e32 v6, v5, v8
	v_lshlrev_b32_e32 v5, 2, v7
	ds_bpermute_b32 v7, v5, v6
	s_and_saveexec_b64 s[4:5], s[0:1]
	s_cbranch_execz .LBB92_8
; %bb.7:
	s_waitcnt lgkmcnt(0)
	v_add_f32_e32 v2, v6, v7
	v_lshrrev_b32_e32 v6, 4, v0
	v_and_b32_e32 v6, 28, v6
	ds_write_b32 v6, v2
.LBB92_8:
	s_or_b64 exec, exec, s[4:5]
	v_cmp_gt_u32_e64 s[0:1], 8, v0
	v_mov_b32_e32 v2, 0
	s_waitcnt lgkmcnt(0)
	s_barrier
	s_and_saveexec_b64 s[4:5], s[0:1]
	s_cbranch_execnz .LBB92_12
; %bb.9:
	s_or_b64 exec, exec, s[4:5]
	s_and_saveexec_b64 s[0:1], vcc
	s_cbranch_execnz .LBB92_13
.LBB92_10:
	s_or_b64 exec, exec, s[0:1]
	v_cmp_eq_u32_e32 vcc, 0, v0
	s_and_saveexec_b64 s[0:1], vcc
	s_cbranch_execnz .LBB92_14
.LBB92_11:
	s_endpgm
.LBB92_12:
	ds_read_b32 v2, v1
	s_or_b64 exec, exec, s[4:5]
	s_and_saveexec_b64 s[0:1], vcc
	s_cbranch_execz .LBB92_10
.LBB92_13:
	s_waitcnt lgkmcnt(0)
	ds_bpermute_b32 v1, v3, v2
	s_waitcnt lgkmcnt(0)
	v_add_f32_e32 v1, v2, v1
	ds_bpermute_b32 v2, v4, v1
	s_waitcnt lgkmcnt(0)
	v_add_f32_e32 v1, v1, v2
	;; [unrolled: 3-line block ×3, first 2 shown]
	s_or_b64 exec, exec, s[0:1]
	v_cmp_eq_u32_e32 vcc, 0, v0
	s_and_saveexec_b64 s[0:1], vcc
	s_cbranch_execz .LBB92_11
.LBB92_14:
	s_cmp_lg_u32 s18, 1
	s_mov_b64 s[0:1], -1
	s_cbranch_scc0 .LBB92_16
; %bb.15:
	s_mul_hi_u32 s1, s18, s2
	s_mul_i32 s0, s18, s2
	s_lshl_b64 s[0:1], s[0:1], 2
	s_mov_b32 s7, 0
	s_add_u32 s4, s8, s0
	s_addc_u32 s5, s9, s1
	s_lshl_b64 s[0:1], s[6:7], 2
	s_add_u32 s0, s4, s0
	s_addc_u32 s1, s5, s1
	v_mov_b32_e32 v0, 0
	s_waitcnt lgkmcnt(0)
	global_store_dword v0, v2, s[0:1]
	s_mov_b64 s[0:1], 0
.LBB92_16:
	s_andn2_b64 vcc, exec, s[0:1]
	s_cbranch_vccnz .LBB92_11
; %bb.17:
	s_lshl_b64 s[0:1], s[2:3], 2
	s_add_u32 s0, s10, s0
	s_addc_u32 s1, s11, s1
	v_mov_b32_e32 v0, 0
	s_waitcnt lgkmcnt(0)
	global_store_dword v0, v2, s[0:1]
	s_endpgm
	.section	.rodata,"a",@progbits
	.p2align	6, 0x0
	.amdhsa_kernel _ZL18rocblas_dot_kernelIiLb0ELi512ELi4ELb0EfPKPKffEviT5_lT_lS4_lS5_liPT6_PT4_
		.amdhsa_group_segment_fixed_size 256
		.amdhsa_private_segment_fixed_size 0
		.amdhsa_kernarg_size 352
		.amdhsa_user_sgpr_count 6
		.amdhsa_user_sgpr_private_segment_buffer 1
		.amdhsa_user_sgpr_dispatch_ptr 0
		.amdhsa_user_sgpr_queue_ptr 0
		.amdhsa_user_sgpr_kernarg_segment_ptr 1
		.amdhsa_user_sgpr_dispatch_id 0
		.amdhsa_user_sgpr_flat_scratch_init 0
		.amdhsa_user_sgpr_private_segment_size 0
		.amdhsa_uses_dynamic_stack 0
		.amdhsa_system_sgpr_private_segment_wavefront_offset 0
		.amdhsa_system_sgpr_workgroup_id_x 1
		.amdhsa_system_sgpr_workgroup_id_y 0
		.amdhsa_system_sgpr_workgroup_id_z 1
		.amdhsa_system_sgpr_workgroup_info 0
		.amdhsa_system_vgpr_workitem_id 0
		.amdhsa_next_free_vgpr 11
		.amdhsa_next_free_sgpr 28
		.amdhsa_reserve_vcc 1
		.amdhsa_reserve_flat_scratch 0
		.amdhsa_float_round_mode_32 0
		.amdhsa_float_round_mode_16_64 0
		.amdhsa_float_denorm_mode_32 3
		.amdhsa_float_denorm_mode_16_64 3
		.amdhsa_dx10_clamp 1
		.amdhsa_ieee_mode 1
		.amdhsa_fp16_overflow 0
		.amdhsa_exception_fp_ieee_invalid_op 0
		.amdhsa_exception_fp_denorm_src 0
		.amdhsa_exception_fp_ieee_div_zero 0
		.amdhsa_exception_fp_ieee_overflow 0
		.amdhsa_exception_fp_ieee_underflow 0
		.amdhsa_exception_fp_ieee_inexact 0
		.amdhsa_exception_int_div_zero 0
	.end_amdhsa_kernel
	.section	.text._ZL18rocblas_dot_kernelIiLb0ELi512ELi4ELb0EfPKPKffEviT5_lT_lS4_lS5_liPT6_PT4_,"axG",@progbits,_ZL18rocblas_dot_kernelIiLb0ELi512ELi4ELb0EfPKPKffEviT5_lT_lS4_lS5_liPT6_PT4_,comdat
.Lfunc_end92:
	.size	_ZL18rocblas_dot_kernelIiLb0ELi512ELi4ELb0EfPKPKffEviT5_lT_lS4_lS5_liPT6_PT4_, .Lfunc_end92-_ZL18rocblas_dot_kernelIiLb0ELi512ELi4ELb0EfPKPKffEviT5_lT_lS4_lS5_liPT6_PT4_
                                        ; -- End function
	.set _ZL18rocblas_dot_kernelIiLb0ELi512ELi4ELb0EfPKPKffEviT5_lT_lS4_lS5_liPT6_PT4_.num_vgpr, 11
	.set _ZL18rocblas_dot_kernelIiLb0ELi512ELi4ELb0EfPKPKffEviT5_lT_lS4_lS5_liPT6_PT4_.num_agpr, 0
	.set _ZL18rocblas_dot_kernelIiLb0ELi512ELi4ELb0EfPKPKffEviT5_lT_lS4_lS5_liPT6_PT4_.numbered_sgpr, 28
	.set _ZL18rocblas_dot_kernelIiLb0ELi512ELi4ELb0EfPKPKffEviT5_lT_lS4_lS5_liPT6_PT4_.num_named_barrier, 0
	.set _ZL18rocblas_dot_kernelIiLb0ELi512ELi4ELb0EfPKPKffEviT5_lT_lS4_lS5_liPT6_PT4_.private_seg_size, 0
	.set _ZL18rocblas_dot_kernelIiLb0ELi512ELi4ELb0EfPKPKffEviT5_lT_lS4_lS5_liPT6_PT4_.uses_vcc, 1
	.set _ZL18rocblas_dot_kernelIiLb0ELi512ELi4ELb0EfPKPKffEviT5_lT_lS4_lS5_liPT6_PT4_.uses_flat_scratch, 0
	.set _ZL18rocblas_dot_kernelIiLb0ELi512ELi4ELb0EfPKPKffEviT5_lT_lS4_lS5_liPT6_PT4_.has_dyn_sized_stack, 0
	.set _ZL18rocblas_dot_kernelIiLb0ELi512ELi4ELb0EfPKPKffEviT5_lT_lS4_lS5_liPT6_PT4_.has_recursion, 0
	.set _ZL18rocblas_dot_kernelIiLb0ELi512ELi4ELb0EfPKPKffEviT5_lT_lS4_lS5_liPT6_PT4_.has_indirect_call, 0
	.section	.AMDGPU.csdata,"",@progbits
; Kernel info:
; codeLenInByte = 956
; TotalNumSgprs: 32
; NumVgprs: 11
; ScratchSize: 0
; MemoryBound: 0
; FloatMode: 240
; IeeeMode: 1
; LDSByteSize: 256 bytes/workgroup (compile time only)
; SGPRBlocks: 3
; VGPRBlocks: 2
; NumSGPRsForWavesPerEU: 32
; NumVGPRsForWavesPerEU: 11
; Occupancy: 10
; WaveLimiterHint : 0
; COMPUTE_PGM_RSRC2:SCRATCH_EN: 0
; COMPUTE_PGM_RSRC2:USER_SGPR: 6
; COMPUTE_PGM_RSRC2:TRAP_HANDLER: 0
; COMPUTE_PGM_RSRC2:TGID_X_EN: 1
; COMPUTE_PGM_RSRC2:TGID_Y_EN: 0
; COMPUTE_PGM_RSRC2:TGID_Z_EN: 1
; COMPUTE_PGM_RSRC2:TIDIG_COMP_CNT: 0
	.section	.text._ZL24rocblas_dot_kernel_magsqIiLb0ELi512ELi4ELb0EfPKPKffEviT5_lT_liPT6_PT4_,"axG",@progbits,_ZL24rocblas_dot_kernel_magsqIiLb0ELi512ELi4ELb0EfPKPKffEviT5_lT_liPT6_PT4_,comdat
	.globl	_ZL24rocblas_dot_kernel_magsqIiLb0ELi512ELi4ELb0EfPKPKffEviT5_lT_liPT6_PT4_ ; -- Begin function _ZL24rocblas_dot_kernel_magsqIiLb0ELi512ELi4ELb0EfPKPKffEviT5_lT_liPT6_PT4_
	.p2align	8
	.type	_ZL24rocblas_dot_kernel_magsqIiLb0ELi512ELi4ELb0EfPKPKffEviT5_lT_liPT6_PT4_,@function
_ZL24rocblas_dot_kernel_magsqIiLb0ELi512ELi4ELb0EfPKPKffEviT5_lT_liPT6_PT4_: ; @_ZL24rocblas_dot_kernel_magsqIiLb0ELi512ELi4ELb0EfPKPKffEviT5_lT_liPT6_PT4_
; %bb.0:
	s_mov_b32 s2, s7
	s_load_dword s7, s[4:5], 0x0
	s_load_dwordx4 s[8:11], s[4:5], 0x30
	s_load_dword s16, s[4:5], 0x40
	v_lshl_or_b32 v1, s6, 9, v0
	s_mov_b32 s3, 0
	s_waitcnt lgkmcnt(0)
	v_cmp_gt_i32_e32 vcc, s7, v1
	v_mov_b32_e32 v3, 0
	s_and_saveexec_b64 s[12:13], vcc
	s_cbranch_execz .LBB93_4
; %bb.1:
	s_load_dwordx4 s[20:23], s[4:5], 0x8
	s_load_dword s14, s[4:5], 0x18
	s_lshl_b64 s[0:1], s[2:3], 3
	s_waitcnt lgkmcnt(0)
	s_add_u32 s0, s20, s0
	s_addc_u32 s1, s21, s1
	s_load_dwordx2 s[0:1], s[0:1], 0x0
	v_mad_i64_i32 v[2:3], s[4:5], s14, v1, 0
	s_lshl_b32 s17, s16, 9
	s_lshl_b64 s[4:5], s[22:23], 2
	v_add_u32_e32 v4, s17, v1
	v_lshlrev_b64 v[1:2], 2, v[2:3]
	s_waitcnt lgkmcnt(0)
	s_add_u32 s0, s0, s4
	s_addc_u32 s1, s1, s5
	v_mov_b32_e32 v3, s1
	v_add_co_u32_e32 v1, vcc, s0, v1
	s_mul_hi_i32 s1, s14, s17
	s_mul_i32 s0, s14, s17
	s_lshl_b64 s[4:5], s[0:1], 2
	v_addc_co_u32_e32 v2, vcc, v3, v2, vcc
	v_mov_b32_e32 v3, 0
	s_mov_b64 s[14:15], 0
	v_mov_b32_e32 v5, s5
	s_mov_b32 s5, s3
.LBB93_2:                               ; =>This Inner Loop Header: Depth=1
	flat_load_dword v6, v[1:2]
	s_add_i32 s18, s5, 1
	v_add_co_u32_e64 v1, s[0:1], s4, v1
	v_addc_co_u32_e64 v2, s[0:1], v2, v5, s[0:1]
	s_cmp_gt_u32 s5, 2
	v_cmp_le_i32_e32 vcc, s7, v4
	s_cselect_b64 s[0:1], -1, 0
	s_or_b64 s[0:1], s[0:1], vcc
	s_and_b64 s[0:1], exec, s[0:1]
	v_add_u32_e32 v4, s17, v4
	s_mov_b32 s5, s18
	s_or_b64 s[14:15], s[0:1], s[14:15]
	s_waitcnt vmcnt(0) lgkmcnt(0)
	v_fmac_f32_e32 v3, v6, v6
	s_andn2_b64 exec, exec, s[14:15]
	s_cbranch_execnz .LBB93_2
; %bb.3:
	s_or_b64 exec, exec, s[14:15]
.LBB93_4:
	s_or_b64 exec, exec, s[12:13]
	v_and_b32_e32 v2, 63, v0
	v_cmp_gt_u32_e32 vcc, 64, v0
	v_lshlrev_b32_e32 v1, 2, v2
	s_and_saveexec_b64 s[0:1], vcc
; %bb.5:
	v_mov_b32_e32 v4, 0
	ds_write_b32 v1, v4
; %bb.6:
	s_or_b64 exec, exec, s[0:1]
	v_mbcnt_lo_u32_b32 v4, -1, 0
	v_mbcnt_hi_u32_b32 v5, -1, v4
	v_mov_b32_e32 v4, 0x80
	v_lshl_or_b32 v4, v5, 2, v4
	ds_bpermute_b32 v4, v4, v3
	v_and_b32_e32 v6, 63, v5
	v_cmp_gt_u32_e64 s[0:1], 48, v6
	v_cndmask_b32_e64 v7, 0, 16, s[0:1]
	v_cmp_gt_u32_e64 s[0:1], 56, v6
	s_waitcnt lgkmcnt(0)
	v_add_f32_e32 v3, v3, v4
	v_add_lshl_u32 v4, v7, v5, 2
	ds_bpermute_b32 v4, v4, v3
	v_cndmask_b32_e64 v7, 0, 8, s[0:1]
	v_add_lshl_u32 v7, v7, v5, 2
	v_cmp_gt_u32_e64 s[0:1], 60, v6
	s_waitcnt lgkmcnt(0)
	v_add_f32_e32 v4, v3, v4
	ds_bpermute_b32 v7, v7, v4
	v_cndmask_b32_e64 v3, 0, 4, s[0:1]
	v_add_lshl_u32 v3, v3, v5, 2
	v_cmp_gt_u32_e64 s[0:1], 62, v6
	s_waitcnt lgkmcnt(0)
	s_barrier
	v_add_f32_e32 v7, v4, v7
	ds_bpermute_b32 v8, v3, v7
	v_cndmask_b32_e64 v4, 0, 2, s[0:1]
	v_add_lshl_u32 v4, v4, v5, 2
	v_cmp_ne_u32_e64 s[0:1], 63, v6
	v_addc_co_u32_e64 v5, s[0:1], 0, v5, s[0:1]
	s_waitcnt lgkmcnt(0)
	v_add_f32_e32 v7, v7, v8
	ds_bpermute_b32 v8, v4, v7
	v_lshlrev_b32_e32 v5, 2, v5
	v_cmp_eq_u32_e64 s[0:1], 0, v2
	s_waitcnt lgkmcnt(0)
	v_add_f32_e32 v6, v7, v8
	ds_bpermute_b32 v7, v5, v6
	s_and_saveexec_b64 s[4:5], s[0:1]
	s_cbranch_execz .LBB93_8
; %bb.7:
	s_waitcnt lgkmcnt(0)
	v_add_f32_e32 v2, v6, v7
	v_lshrrev_b32_e32 v6, 4, v0
	v_and_b32_e32 v6, 28, v6
	ds_write_b32 v6, v2
.LBB93_8:
	s_or_b64 exec, exec, s[4:5]
	v_cmp_gt_u32_e64 s[0:1], 8, v0
	v_mov_b32_e32 v2, 0
	s_waitcnt lgkmcnt(0)
	s_barrier
	s_and_saveexec_b64 s[4:5], s[0:1]
	s_cbranch_execnz .LBB93_12
; %bb.9:
	s_or_b64 exec, exec, s[4:5]
	s_and_saveexec_b64 s[0:1], vcc
	s_cbranch_execnz .LBB93_13
.LBB93_10:
	s_or_b64 exec, exec, s[0:1]
	v_cmp_eq_u32_e32 vcc, 0, v0
	s_and_saveexec_b64 s[0:1], vcc
	s_cbranch_execnz .LBB93_14
.LBB93_11:
	s_endpgm
.LBB93_12:
	ds_read_b32 v2, v1
	s_or_b64 exec, exec, s[4:5]
	s_and_saveexec_b64 s[0:1], vcc
	s_cbranch_execz .LBB93_10
.LBB93_13:
	s_waitcnt lgkmcnt(0)
	ds_bpermute_b32 v1, v3, v2
	s_waitcnt lgkmcnt(0)
	v_add_f32_e32 v1, v2, v1
	ds_bpermute_b32 v2, v4, v1
	s_waitcnt lgkmcnt(0)
	v_add_f32_e32 v1, v1, v2
	;; [unrolled: 3-line block ×3, first 2 shown]
	s_or_b64 exec, exec, s[0:1]
	v_cmp_eq_u32_e32 vcc, 0, v0
	s_and_saveexec_b64 s[0:1], vcc
	s_cbranch_execz .LBB93_11
.LBB93_14:
	s_cmp_lg_u32 s16, 1
	s_mov_b64 s[0:1], -1
	s_cbranch_scc0 .LBB93_16
; %bb.15:
	s_mul_hi_u32 s1, s16, s2
	s_mul_i32 s0, s16, s2
	s_lshl_b64 s[0:1], s[0:1], 2
	s_mov_b32 s7, 0
	s_add_u32 s4, s8, s0
	s_addc_u32 s5, s9, s1
	s_lshl_b64 s[0:1], s[6:7], 2
	s_add_u32 s0, s4, s0
	s_addc_u32 s1, s5, s1
	v_mov_b32_e32 v0, 0
	s_waitcnt lgkmcnt(0)
	global_store_dword v0, v2, s[0:1]
	s_mov_b64 s[0:1], 0
.LBB93_16:
	s_andn2_b64 vcc, exec, s[0:1]
	s_cbranch_vccnz .LBB93_11
; %bb.17:
	s_lshl_b64 s[0:1], s[2:3], 2
	s_add_u32 s0, s10, s0
	s_addc_u32 s1, s11, s1
	v_mov_b32_e32 v0, 0
	s_waitcnt lgkmcnt(0)
	global_store_dword v0, v2, s[0:1]
	s_endpgm
	.section	.rodata,"a",@progbits
	.p2align	6, 0x0
	.amdhsa_kernel _ZL24rocblas_dot_kernel_magsqIiLb0ELi512ELi4ELb0EfPKPKffEviT5_lT_liPT6_PT4_
		.amdhsa_group_segment_fixed_size 256
		.amdhsa_private_segment_fixed_size 0
		.amdhsa_kernarg_size 320
		.amdhsa_user_sgpr_count 6
		.amdhsa_user_sgpr_private_segment_buffer 1
		.amdhsa_user_sgpr_dispatch_ptr 0
		.amdhsa_user_sgpr_queue_ptr 0
		.amdhsa_user_sgpr_kernarg_segment_ptr 1
		.amdhsa_user_sgpr_dispatch_id 0
		.amdhsa_user_sgpr_flat_scratch_init 0
		.amdhsa_user_sgpr_private_segment_size 0
		.amdhsa_uses_dynamic_stack 0
		.amdhsa_system_sgpr_private_segment_wavefront_offset 0
		.amdhsa_system_sgpr_workgroup_id_x 1
		.amdhsa_system_sgpr_workgroup_id_y 0
		.amdhsa_system_sgpr_workgroup_id_z 1
		.amdhsa_system_sgpr_workgroup_info 0
		.amdhsa_system_vgpr_workitem_id 0
		.amdhsa_next_free_vgpr 9
		.amdhsa_next_free_sgpr 24
		.amdhsa_reserve_vcc 1
		.amdhsa_reserve_flat_scratch 0
		.amdhsa_float_round_mode_32 0
		.amdhsa_float_round_mode_16_64 0
		.amdhsa_float_denorm_mode_32 3
		.amdhsa_float_denorm_mode_16_64 3
		.amdhsa_dx10_clamp 1
		.amdhsa_ieee_mode 1
		.amdhsa_fp16_overflow 0
		.amdhsa_exception_fp_ieee_invalid_op 0
		.amdhsa_exception_fp_denorm_src 0
		.amdhsa_exception_fp_ieee_div_zero 0
		.amdhsa_exception_fp_ieee_overflow 0
		.amdhsa_exception_fp_ieee_underflow 0
		.amdhsa_exception_fp_ieee_inexact 0
		.amdhsa_exception_int_div_zero 0
	.end_amdhsa_kernel
	.section	.text._ZL24rocblas_dot_kernel_magsqIiLb0ELi512ELi4ELb0EfPKPKffEviT5_lT_liPT6_PT4_,"axG",@progbits,_ZL24rocblas_dot_kernel_magsqIiLb0ELi512ELi4ELb0EfPKPKffEviT5_lT_liPT6_PT4_,comdat
.Lfunc_end93:
	.size	_ZL24rocblas_dot_kernel_magsqIiLb0ELi512ELi4ELb0EfPKPKffEviT5_lT_liPT6_PT4_, .Lfunc_end93-_ZL24rocblas_dot_kernel_magsqIiLb0ELi512ELi4ELb0EfPKPKffEviT5_lT_liPT6_PT4_
                                        ; -- End function
	.set _ZL24rocblas_dot_kernel_magsqIiLb0ELi512ELi4ELb0EfPKPKffEviT5_lT_liPT6_PT4_.num_vgpr, 9
	.set _ZL24rocblas_dot_kernel_magsqIiLb0ELi512ELi4ELb0EfPKPKffEviT5_lT_liPT6_PT4_.num_agpr, 0
	.set _ZL24rocblas_dot_kernel_magsqIiLb0ELi512ELi4ELb0EfPKPKffEviT5_lT_liPT6_PT4_.numbered_sgpr, 24
	.set _ZL24rocblas_dot_kernel_magsqIiLb0ELi512ELi4ELb0EfPKPKffEviT5_lT_liPT6_PT4_.num_named_barrier, 0
	.set _ZL24rocblas_dot_kernel_magsqIiLb0ELi512ELi4ELb0EfPKPKffEviT5_lT_liPT6_PT4_.private_seg_size, 0
	.set _ZL24rocblas_dot_kernel_magsqIiLb0ELi512ELi4ELb0EfPKPKffEviT5_lT_liPT6_PT4_.uses_vcc, 1
	.set _ZL24rocblas_dot_kernel_magsqIiLb0ELi512ELi4ELb0EfPKPKffEviT5_lT_liPT6_PT4_.uses_flat_scratch, 0
	.set _ZL24rocblas_dot_kernel_magsqIiLb0ELi512ELi4ELb0EfPKPKffEviT5_lT_liPT6_PT4_.has_dyn_sized_stack, 0
	.set _ZL24rocblas_dot_kernel_magsqIiLb0ELi512ELi4ELb0EfPKPKffEviT5_lT_liPT6_PT4_.has_recursion, 0
	.set _ZL24rocblas_dot_kernel_magsqIiLb0ELi512ELi4ELb0EfPKPKffEviT5_lT_liPT6_PT4_.has_indirect_call, 0
	.section	.AMDGPU.csdata,"",@progbits
; Kernel info:
; codeLenInByte = 840
; TotalNumSgprs: 28
; NumVgprs: 9
; ScratchSize: 0
; MemoryBound: 0
; FloatMode: 240
; IeeeMode: 1
; LDSByteSize: 256 bytes/workgroup (compile time only)
; SGPRBlocks: 3
; VGPRBlocks: 2
; NumSGPRsForWavesPerEU: 28
; NumVGPRsForWavesPerEU: 9
; Occupancy: 10
; WaveLimiterHint : 0
; COMPUTE_PGM_RSRC2:SCRATCH_EN: 0
; COMPUTE_PGM_RSRC2:USER_SGPR: 6
; COMPUTE_PGM_RSRC2:TRAP_HANDLER: 0
; COMPUTE_PGM_RSRC2:TGID_X_EN: 1
; COMPUTE_PGM_RSRC2:TGID_Y_EN: 0
; COMPUTE_PGM_RSRC2:TGID_Z_EN: 1
; COMPUTE_PGM_RSRC2:TIDIG_COMP_CNT: 0
	.section	.text._ZL28rocblas_dot_batched_4_kernelIiLi32ELi4ELb0EddPKPKdEviT5_lT_lS4_lS5_liPT4_,"axG",@progbits,_ZL28rocblas_dot_batched_4_kernelIiLi32ELi4ELb0EddPKPKdEviT5_lT_lS4_lS5_liPT4_,comdat
	.globl	_ZL28rocblas_dot_batched_4_kernelIiLi32ELi4ELb0EddPKPKdEviT5_lT_lS4_lS5_liPT4_ ; -- Begin function _ZL28rocblas_dot_batched_4_kernelIiLi32ELi4ELb0EddPKPKdEviT5_lT_lS4_lS5_liPT4_
	.p2align	8
	.type	_ZL28rocblas_dot_batched_4_kernelIiLi32ELi4ELb0EddPKPKdEviT5_lT_lS4_lS5_liPT4_,@function
_ZL28rocblas_dot_batched_4_kernelIiLi32ELi4ELb0EddPKPKdEviT5_lT_lS4_lS5_liPT4_: ; @_ZL28rocblas_dot_batched_4_kernelIiLi32ELi4ELb0EddPKPKdEviT5_lT_lS4_lS5_liPT4_
; %bb.0:
	s_load_dword s0, s[4:5], 0x48
	v_lshl_add_u32 v1, s6, 2, v1
	s_waitcnt lgkmcnt(0)
	v_cmp_gt_u32_e32 vcc, s0, v1
	s_and_saveexec_b64 s[0:1], vcc
	s_cbranch_execz .LBB94_7
; %bb.1:
	s_load_dword s14, s[4:5], 0x0
	s_load_dwordx2 s[6:7], s[4:5], 0x50
	v_mov_b32_e32 v2, 0
	v_mov_b32_e32 v3, 0
	v_lshlrev_b64 v[1:2], 3, v[1:2]
	v_mov_b32_e32 v4, 0
	s_waitcnt lgkmcnt(0)
	v_cmp_gt_i32_e32 vcc, s14, v0
	s_and_saveexec_b64 s[12:13], vcc
	s_cbranch_execz .LBB94_5
; %bb.2:
	s_load_dwordx4 s[0:3], s[4:5], 0x8
	s_load_dwordx4 s[8:11], s[4:5], 0x28
	s_load_dword s16, s[4:5], 0x18
	s_waitcnt lgkmcnt(0)
	v_mov_b32_e32 v4, s1
	v_add_co_u32_e32 v3, vcc, s0, v1
	v_addc_co_u32_e32 v4, vcc, v4, v2, vcc
	global_load_dwordx2 v[5:6], v[3:4], off
	v_mov_b32_e32 v4, s9
	v_add_co_u32_e32 v3, vcc, s8, v1
	v_addc_co_u32_e32 v4, vcc, v4, v2, vcc
	global_load_dwordx2 v[7:8], v[3:4], off
	s_load_dword s0, s[4:5], 0x38
	v_mad_i64_i32 v[9:10], s[8:9], s16, v0, 0
	s_lshl_b64 s[18:19], s[2:3], 3
	v_mov_b32_e32 v13, s19
	s_waitcnt lgkmcnt(0)
	v_mad_i64_i32 v[11:12], s[2:3], s0, v0, 0
	v_lshlrev_b64 v[9:10], 3, v[9:10]
	s_lshl_b64 s[10:11], s[10:11], 3
	v_lshlrev_b64 v[11:12], 3, v[11:12]
	v_add_co_u32_e32 v9, vcc, s18, v9
	v_addc_co_u32_e32 v10, vcc, v10, v13, vcc
	v_mov_b32_e32 v14, s11
	v_add_co_u32_e32 v11, vcc, s10, v11
	v_addc_co_u32_e32 v12, vcc, v12, v14, vcc
	v_mov_b32_e32 v3, 0
	s_ashr_i32 s17, s16, 31
	s_ashr_i32 s1, s0, 31
	v_mov_b32_e32 v4, 0
	s_mov_b64 s[4:5], 0
	s_lshl_b64 s[2:3], s[16:17], 8
	s_lshl_b64 s[8:9], s[0:1], 8
	s_waitcnt vmcnt(1)
	v_add_co_u32_e32 v5, vcc, v5, v9
	v_addc_co_u32_e32 v6, vcc, v6, v10, vcc
	v_mov_b32_e32 v9, v0
	s_waitcnt vmcnt(0)
	v_add_co_u32_e32 v7, vcc, v7, v11
	v_addc_co_u32_e32 v8, vcc, v8, v12, vcc
.LBB94_3:                               ; =>This Inner Loop Header: Depth=1
	flat_load_dwordx2 v[10:11], v[5:6]
	flat_load_dwordx2 v[12:13], v[7:8]
	v_mov_b32_e32 v14, s3
	v_add_co_u32_e64 v5, s[0:1], s2, v5
	v_add_u32_e32 v9, 32, v9
	v_addc_co_u32_e64 v6, s[0:1], v6, v14, s[0:1]
	v_mov_b32_e32 v15, s9
	v_add_co_u32_e32 v7, vcc, s8, v7
	v_cmp_le_i32_e64 s[0:1], s14, v9
	s_or_b64 s[4:5], s[0:1], s[4:5]
	v_addc_co_u32_e32 v8, vcc, v8, v15, vcc
	s_waitcnt vmcnt(0) lgkmcnt(0)
	v_fma_f64 v[3:4], v[10:11], v[12:13], v[3:4]
	s_andn2_b64 exec, exec, s[4:5]
	s_cbranch_execnz .LBB94_3
; %bb.4:
	s_or_b64 exec, exec, s[4:5]
.LBB94_5:
	s_or_b64 exec, exec, s[12:13]
	v_mbcnt_lo_u32_b32 v5, -1, 0
	v_mbcnt_hi_u32_b32 v7, -1, v5
	v_and_b32_e32 v8, 63, v7
	v_cmp_gt_u32_e32 vcc, 48, v8
	v_cndmask_b32_e64 v5, 0, 16, vcc
	v_add_lshl_u32 v6, v5, v7, 2
	ds_bpermute_b32 v5, v6, v3
	ds_bpermute_b32 v6, v6, v4
	v_cmp_gt_u32_e32 vcc, 56, v8
	s_waitcnt lgkmcnt(0)
	s_barrier
	v_add_f64 v[3:4], v[3:4], v[5:6]
	v_cndmask_b32_e64 v5, 0, 8, vcc
	v_add_lshl_u32 v6, v5, v7, 2
	v_cmp_gt_u32_e32 vcc, 60, v8
	ds_bpermute_b32 v5, v6, v3
	ds_bpermute_b32 v6, v6, v4
	s_waitcnt lgkmcnt(0)
	v_add_f64 v[3:4], v[3:4], v[5:6]
	v_cndmask_b32_e64 v5, 0, 4, vcc
	v_add_lshl_u32 v6, v5, v7, 2
	v_cmp_gt_u32_e32 vcc, 62, v8
	ds_bpermute_b32 v5, v6, v3
	ds_bpermute_b32 v6, v6, v4
	s_waitcnt lgkmcnt(0)
	v_add_f64 v[3:4], v[3:4], v[5:6]
	v_cndmask_b32_e64 v5, 0, 2, vcc
	v_add_lshl_u32 v6, v5, v7, 2
	v_cmp_ne_u32_e32 vcc, 63, v8
	ds_bpermute_b32 v5, v6, v3
	ds_bpermute_b32 v6, v6, v4
	s_waitcnt lgkmcnt(0)
	v_add_f64 v[3:4], v[3:4], v[5:6]
	v_addc_co_u32_e32 v5, vcc, 0, v7, vcc
	v_lshlrev_b32_e32 v6, 2, v5
	v_cmp_eq_u32_e32 vcc, 0, v0
	ds_bpermute_b32 v5, v6, v3
	ds_bpermute_b32 v6, v6, v4
	s_and_b64 exec, exec, vcc
	s_cbranch_execz .LBB94_7
; %bb.6:
	s_waitcnt lgkmcnt(0)
	v_add_f64 v[3:4], v[3:4], v[5:6]
	v_mov_b32_e32 v5, s7
	v_add_co_u32_e32 v0, vcc, s6, v1
	v_addc_co_u32_e32 v1, vcc, v5, v2, vcc
	global_store_dwordx2 v[0:1], v[3:4], off
.LBB94_7:
	s_endpgm
	.section	.rodata,"a",@progbits
	.p2align	6, 0x0
	.amdhsa_kernel _ZL28rocblas_dot_batched_4_kernelIiLi32ELi4ELb0EddPKPKdEviT5_lT_lS4_lS5_liPT4_
		.amdhsa_group_segment_fixed_size 0
		.amdhsa_private_segment_fixed_size 0
		.amdhsa_kernarg_size 88
		.amdhsa_user_sgpr_count 6
		.amdhsa_user_sgpr_private_segment_buffer 1
		.amdhsa_user_sgpr_dispatch_ptr 0
		.amdhsa_user_sgpr_queue_ptr 0
		.amdhsa_user_sgpr_kernarg_segment_ptr 1
		.amdhsa_user_sgpr_dispatch_id 0
		.amdhsa_user_sgpr_flat_scratch_init 0
		.amdhsa_user_sgpr_private_segment_size 0
		.amdhsa_uses_dynamic_stack 0
		.amdhsa_system_sgpr_private_segment_wavefront_offset 0
		.amdhsa_system_sgpr_workgroup_id_x 1
		.amdhsa_system_sgpr_workgroup_id_y 0
		.amdhsa_system_sgpr_workgroup_id_z 0
		.amdhsa_system_sgpr_workgroup_info 0
		.amdhsa_system_vgpr_workitem_id 1
		.amdhsa_next_free_vgpr 16
		.amdhsa_next_free_sgpr 20
		.amdhsa_reserve_vcc 1
		.amdhsa_reserve_flat_scratch 0
		.amdhsa_float_round_mode_32 0
		.amdhsa_float_round_mode_16_64 0
		.amdhsa_float_denorm_mode_32 3
		.amdhsa_float_denorm_mode_16_64 3
		.amdhsa_dx10_clamp 1
		.amdhsa_ieee_mode 1
		.amdhsa_fp16_overflow 0
		.amdhsa_exception_fp_ieee_invalid_op 0
		.amdhsa_exception_fp_denorm_src 0
		.amdhsa_exception_fp_ieee_div_zero 0
		.amdhsa_exception_fp_ieee_overflow 0
		.amdhsa_exception_fp_ieee_underflow 0
		.amdhsa_exception_fp_ieee_inexact 0
		.amdhsa_exception_int_div_zero 0
	.end_amdhsa_kernel
	.section	.text._ZL28rocblas_dot_batched_4_kernelIiLi32ELi4ELb0EddPKPKdEviT5_lT_lS4_lS5_liPT4_,"axG",@progbits,_ZL28rocblas_dot_batched_4_kernelIiLi32ELi4ELb0EddPKPKdEviT5_lT_lS4_lS5_liPT4_,comdat
.Lfunc_end94:
	.size	_ZL28rocblas_dot_batched_4_kernelIiLi32ELi4ELb0EddPKPKdEviT5_lT_lS4_lS5_liPT4_, .Lfunc_end94-_ZL28rocblas_dot_batched_4_kernelIiLi32ELi4ELb0EddPKPKdEviT5_lT_lS4_lS5_liPT4_
                                        ; -- End function
	.set _ZL28rocblas_dot_batched_4_kernelIiLi32ELi4ELb0EddPKPKdEviT5_lT_lS4_lS5_liPT4_.num_vgpr, 16
	.set _ZL28rocblas_dot_batched_4_kernelIiLi32ELi4ELb0EddPKPKdEviT5_lT_lS4_lS5_liPT4_.num_agpr, 0
	.set _ZL28rocblas_dot_batched_4_kernelIiLi32ELi4ELb0EddPKPKdEviT5_lT_lS4_lS5_liPT4_.numbered_sgpr, 20
	.set _ZL28rocblas_dot_batched_4_kernelIiLi32ELi4ELb0EddPKPKdEviT5_lT_lS4_lS5_liPT4_.num_named_barrier, 0
	.set _ZL28rocblas_dot_batched_4_kernelIiLi32ELi4ELb0EddPKPKdEviT5_lT_lS4_lS5_liPT4_.private_seg_size, 0
	.set _ZL28rocblas_dot_batched_4_kernelIiLi32ELi4ELb0EddPKPKdEviT5_lT_lS4_lS5_liPT4_.uses_vcc, 1
	.set _ZL28rocblas_dot_batched_4_kernelIiLi32ELi4ELb0EddPKPKdEviT5_lT_lS4_lS5_liPT4_.uses_flat_scratch, 0
	.set _ZL28rocblas_dot_batched_4_kernelIiLi32ELi4ELb0EddPKPKdEviT5_lT_lS4_lS5_liPT4_.has_dyn_sized_stack, 0
	.set _ZL28rocblas_dot_batched_4_kernelIiLi32ELi4ELb0EddPKPKdEviT5_lT_lS4_lS5_liPT4_.has_recursion, 0
	.set _ZL28rocblas_dot_batched_4_kernelIiLi32ELi4ELb0EddPKPKdEviT5_lT_lS4_lS5_liPT4_.has_indirect_call, 0
	.section	.AMDGPU.csdata,"",@progbits
; Kernel info:
; codeLenInByte = 668
; TotalNumSgprs: 24
; NumVgprs: 16
; ScratchSize: 0
; MemoryBound: 0
; FloatMode: 240
; IeeeMode: 1
; LDSByteSize: 0 bytes/workgroup (compile time only)
; SGPRBlocks: 2
; VGPRBlocks: 3
; NumSGPRsForWavesPerEU: 24
; NumVGPRsForWavesPerEU: 16
; Occupancy: 10
; WaveLimiterHint : 0
; COMPUTE_PGM_RSRC2:SCRATCH_EN: 0
; COMPUTE_PGM_RSRC2:USER_SGPR: 6
; COMPUTE_PGM_RSRC2:TRAP_HANDLER: 0
; COMPUTE_PGM_RSRC2:TGID_X_EN: 1
; COMPUTE_PGM_RSRC2:TGID_Y_EN: 0
; COMPUTE_PGM_RSRC2:TGID_Z_EN: 0
; COMPUTE_PGM_RSRC2:TIDIG_COMP_CNT: 1
	.section	.text._ZL28rocblas_dot_batched_4_kernelIiLi64ELi4ELb0EddPKPKdEviT5_lT_lS4_lS5_liPT4_,"axG",@progbits,_ZL28rocblas_dot_batched_4_kernelIiLi64ELi4ELb0EddPKPKdEviT5_lT_lS4_lS5_liPT4_,comdat
	.globl	_ZL28rocblas_dot_batched_4_kernelIiLi64ELi4ELb0EddPKPKdEviT5_lT_lS4_lS5_liPT4_ ; -- Begin function _ZL28rocblas_dot_batched_4_kernelIiLi64ELi4ELb0EddPKPKdEviT5_lT_lS4_lS5_liPT4_
	.p2align	8
	.type	_ZL28rocblas_dot_batched_4_kernelIiLi64ELi4ELb0EddPKPKdEviT5_lT_lS4_lS5_liPT4_,@function
_ZL28rocblas_dot_batched_4_kernelIiLi64ELi4ELb0EddPKPKdEviT5_lT_lS4_lS5_liPT4_: ; @_ZL28rocblas_dot_batched_4_kernelIiLi64ELi4ELb0EddPKPKdEviT5_lT_lS4_lS5_liPT4_
; %bb.0:
	s_load_dword s0, s[4:5], 0x48
	v_lshl_add_u32 v1, s6, 2, v1
	s_waitcnt lgkmcnt(0)
	v_cmp_gt_u32_e32 vcc, s0, v1
	s_and_saveexec_b64 s[0:1], vcc
	s_cbranch_execz .LBB95_7
; %bb.1:
	s_load_dword s14, s[4:5], 0x0
	s_load_dwordx2 s[6:7], s[4:5], 0x50
	v_mov_b32_e32 v2, 0
	v_mov_b32_e32 v3, 0
	v_lshlrev_b64 v[1:2], 3, v[1:2]
	v_mov_b32_e32 v4, 0
	s_waitcnt lgkmcnt(0)
	v_cmp_gt_i32_e32 vcc, s14, v0
	s_and_saveexec_b64 s[12:13], vcc
	s_cbranch_execz .LBB95_5
; %bb.2:
	s_load_dwordx4 s[0:3], s[4:5], 0x8
	s_load_dwordx4 s[8:11], s[4:5], 0x28
	s_load_dword s16, s[4:5], 0x18
	s_waitcnt lgkmcnt(0)
	v_mov_b32_e32 v4, s1
	v_add_co_u32_e32 v3, vcc, s0, v1
	v_addc_co_u32_e32 v4, vcc, v4, v2, vcc
	global_load_dwordx2 v[5:6], v[3:4], off
	v_mov_b32_e32 v4, s9
	v_add_co_u32_e32 v3, vcc, s8, v1
	v_addc_co_u32_e32 v4, vcc, v4, v2, vcc
	global_load_dwordx2 v[7:8], v[3:4], off
	s_load_dword s0, s[4:5], 0x38
	v_mad_i64_i32 v[9:10], s[8:9], s16, v0, 0
	s_lshl_b64 s[18:19], s[2:3], 3
	v_mov_b32_e32 v13, s19
	s_waitcnt lgkmcnt(0)
	v_mad_i64_i32 v[11:12], s[2:3], s0, v0, 0
	v_lshlrev_b64 v[9:10], 3, v[9:10]
	s_lshl_b64 s[10:11], s[10:11], 3
	v_lshlrev_b64 v[11:12], 3, v[11:12]
	v_add_co_u32_e32 v9, vcc, s18, v9
	v_addc_co_u32_e32 v10, vcc, v10, v13, vcc
	v_mov_b32_e32 v14, s11
	v_add_co_u32_e32 v11, vcc, s10, v11
	v_addc_co_u32_e32 v12, vcc, v12, v14, vcc
	v_mov_b32_e32 v3, 0
	s_ashr_i32 s17, s16, 31
	s_ashr_i32 s1, s0, 31
	v_mov_b32_e32 v4, 0
	s_mov_b64 s[4:5], 0
	s_lshl_b64 s[2:3], s[16:17], 9
	s_lshl_b64 s[8:9], s[0:1], 9
	s_waitcnt vmcnt(1)
	v_add_co_u32_e32 v5, vcc, v5, v9
	v_addc_co_u32_e32 v6, vcc, v6, v10, vcc
	v_mov_b32_e32 v9, v0
	s_waitcnt vmcnt(0)
	v_add_co_u32_e32 v7, vcc, v7, v11
	v_addc_co_u32_e32 v8, vcc, v8, v12, vcc
.LBB95_3:                               ; =>This Inner Loop Header: Depth=1
	flat_load_dwordx2 v[10:11], v[5:6]
	flat_load_dwordx2 v[12:13], v[7:8]
	v_mov_b32_e32 v14, s3
	v_add_co_u32_e64 v5, s[0:1], s2, v5
	v_add_u32_e32 v9, 64, v9
	v_addc_co_u32_e64 v6, s[0:1], v6, v14, s[0:1]
	v_mov_b32_e32 v15, s9
	v_add_co_u32_e32 v7, vcc, s8, v7
	v_cmp_le_i32_e64 s[0:1], s14, v9
	s_or_b64 s[4:5], s[0:1], s[4:5]
	v_addc_co_u32_e32 v8, vcc, v8, v15, vcc
	s_waitcnt vmcnt(0) lgkmcnt(0)
	v_fma_f64 v[3:4], v[10:11], v[12:13], v[3:4]
	s_andn2_b64 exec, exec, s[4:5]
	s_cbranch_execnz .LBB95_3
; %bb.4:
	s_or_b64 exec, exec, s[4:5]
.LBB95_5:
	s_or_b64 exec, exec, s[12:13]
	v_mbcnt_lo_u32_b32 v5, -1, 0
	v_mbcnt_hi_u32_b32 v7, -1, v5
	v_mov_b32_e32 v5, 0x80
	v_lshl_or_b32 v6, v7, 2, v5
	ds_bpermute_b32 v5, v6, v3
	ds_bpermute_b32 v6, v6, v4
	v_and_b32_e32 v8, 63, v7
	v_cmp_gt_u32_e32 vcc, 48, v8
	s_waitcnt lgkmcnt(0)
	s_barrier
	v_add_f64 v[3:4], v[3:4], v[5:6]
	v_cndmask_b32_e64 v5, 0, 16, vcc
	v_add_lshl_u32 v6, v5, v7, 2
	v_cmp_gt_u32_e32 vcc, 56, v8
	ds_bpermute_b32 v5, v6, v3
	ds_bpermute_b32 v6, v6, v4
	s_waitcnt lgkmcnt(0)
	v_add_f64 v[3:4], v[3:4], v[5:6]
	v_cndmask_b32_e64 v5, 0, 8, vcc
	v_add_lshl_u32 v6, v5, v7, 2
	v_cmp_gt_u32_e32 vcc, 60, v8
	ds_bpermute_b32 v5, v6, v3
	ds_bpermute_b32 v6, v6, v4
	s_waitcnt lgkmcnt(0)
	v_add_f64 v[3:4], v[3:4], v[5:6]
	v_cndmask_b32_e64 v5, 0, 4, vcc
	v_add_lshl_u32 v6, v5, v7, 2
	v_cmp_gt_u32_e32 vcc, 62, v8
	ds_bpermute_b32 v5, v6, v3
	ds_bpermute_b32 v6, v6, v4
	s_waitcnt lgkmcnt(0)
	v_add_f64 v[3:4], v[3:4], v[5:6]
	v_cndmask_b32_e64 v5, 0, 2, vcc
	v_add_lshl_u32 v6, v5, v7, 2
	v_cmp_ne_u32_e32 vcc, 63, v8
	ds_bpermute_b32 v5, v6, v3
	ds_bpermute_b32 v6, v6, v4
	s_waitcnt lgkmcnt(0)
	v_add_f64 v[3:4], v[3:4], v[5:6]
	v_addc_co_u32_e32 v5, vcc, 0, v7, vcc
	v_lshlrev_b32_e32 v6, 2, v5
	v_cmp_eq_u32_e32 vcc, 0, v0
	ds_bpermute_b32 v5, v6, v3
	ds_bpermute_b32 v6, v6, v4
	s_and_b64 exec, exec, vcc
	s_cbranch_execz .LBB95_7
; %bb.6:
	s_waitcnt lgkmcnt(0)
	v_add_f64 v[3:4], v[3:4], v[5:6]
	v_mov_b32_e32 v5, s7
	v_add_co_u32_e32 v0, vcc, s6, v1
	v_addc_co_u32_e32 v1, vcc, v5, v2, vcc
	global_store_dwordx2 v[0:1], v[3:4], off
.LBB95_7:
	s_endpgm
	.section	.rodata,"a",@progbits
	.p2align	6, 0x0
	.amdhsa_kernel _ZL28rocblas_dot_batched_4_kernelIiLi64ELi4ELb0EddPKPKdEviT5_lT_lS4_lS5_liPT4_
		.amdhsa_group_segment_fixed_size 0
		.amdhsa_private_segment_fixed_size 0
		.amdhsa_kernarg_size 88
		.amdhsa_user_sgpr_count 6
		.amdhsa_user_sgpr_private_segment_buffer 1
		.amdhsa_user_sgpr_dispatch_ptr 0
		.amdhsa_user_sgpr_queue_ptr 0
		.amdhsa_user_sgpr_kernarg_segment_ptr 1
		.amdhsa_user_sgpr_dispatch_id 0
		.amdhsa_user_sgpr_flat_scratch_init 0
		.amdhsa_user_sgpr_private_segment_size 0
		.amdhsa_uses_dynamic_stack 0
		.amdhsa_system_sgpr_private_segment_wavefront_offset 0
		.amdhsa_system_sgpr_workgroup_id_x 1
		.amdhsa_system_sgpr_workgroup_id_y 0
		.amdhsa_system_sgpr_workgroup_id_z 0
		.amdhsa_system_sgpr_workgroup_info 0
		.amdhsa_system_vgpr_workitem_id 1
		.amdhsa_next_free_vgpr 16
		.amdhsa_next_free_sgpr 20
		.amdhsa_reserve_vcc 1
		.amdhsa_reserve_flat_scratch 0
		.amdhsa_float_round_mode_32 0
		.amdhsa_float_round_mode_16_64 0
		.amdhsa_float_denorm_mode_32 3
		.amdhsa_float_denorm_mode_16_64 3
		.amdhsa_dx10_clamp 1
		.amdhsa_ieee_mode 1
		.amdhsa_fp16_overflow 0
		.amdhsa_exception_fp_ieee_invalid_op 0
		.amdhsa_exception_fp_denorm_src 0
		.amdhsa_exception_fp_ieee_div_zero 0
		.amdhsa_exception_fp_ieee_overflow 0
		.amdhsa_exception_fp_ieee_underflow 0
		.amdhsa_exception_fp_ieee_inexact 0
		.amdhsa_exception_int_div_zero 0
	.end_amdhsa_kernel
	.section	.text._ZL28rocblas_dot_batched_4_kernelIiLi64ELi4ELb0EddPKPKdEviT5_lT_lS4_lS5_liPT4_,"axG",@progbits,_ZL28rocblas_dot_batched_4_kernelIiLi64ELi4ELb0EddPKPKdEviT5_lT_lS4_lS5_liPT4_,comdat
.Lfunc_end95:
	.size	_ZL28rocblas_dot_batched_4_kernelIiLi64ELi4ELb0EddPKPKdEviT5_lT_lS4_lS5_liPT4_, .Lfunc_end95-_ZL28rocblas_dot_batched_4_kernelIiLi64ELi4ELb0EddPKPKdEviT5_lT_lS4_lS5_liPT4_
                                        ; -- End function
	.set _ZL28rocblas_dot_batched_4_kernelIiLi64ELi4ELb0EddPKPKdEviT5_lT_lS4_lS5_liPT4_.num_vgpr, 16
	.set _ZL28rocblas_dot_batched_4_kernelIiLi64ELi4ELb0EddPKPKdEviT5_lT_lS4_lS5_liPT4_.num_agpr, 0
	.set _ZL28rocblas_dot_batched_4_kernelIiLi64ELi4ELb0EddPKPKdEviT5_lT_lS4_lS5_liPT4_.numbered_sgpr, 20
	.set _ZL28rocblas_dot_batched_4_kernelIiLi64ELi4ELb0EddPKPKdEviT5_lT_lS4_lS5_liPT4_.num_named_barrier, 0
	.set _ZL28rocblas_dot_batched_4_kernelIiLi64ELi4ELb0EddPKPKdEviT5_lT_lS4_lS5_liPT4_.private_seg_size, 0
	.set _ZL28rocblas_dot_batched_4_kernelIiLi64ELi4ELb0EddPKPKdEviT5_lT_lS4_lS5_liPT4_.uses_vcc, 1
	.set _ZL28rocblas_dot_batched_4_kernelIiLi64ELi4ELb0EddPKPKdEviT5_lT_lS4_lS5_liPT4_.uses_flat_scratch, 0
	.set _ZL28rocblas_dot_batched_4_kernelIiLi64ELi4ELb0EddPKPKdEviT5_lT_lS4_lS5_liPT4_.has_dyn_sized_stack, 0
	.set _ZL28rocblas_dot_batched_4_kernelIiLi64ELi4ELb0EddPKPKdEviT5_lT_lS4_lS5_liPT4_.has_recursion, 0
	.set _ZL28rocblas_dot_batched_4_kernelIiLi64ELi4ELb0EddPKPKdEviT5_lT_lS4_lS5_liPT4_.has_indirect_call, 0
	.section	.AMDGPU.csdata,"",@progbits
; Kernel info:
; codeLenInByte = 712
; TotalNumSgprs: 24
; NumVgprs: 16
; ScratchSize: 0
; MemoryBound: 0
; FloatMode: 240
; IeeeMode: 1
; LDSByteSize: 0 bytes/workgroup (compile time only)
; SGPRBlocks: 2
; VGPRBlocks: 3
; NumSGPRsForWavesPerEU: 24
; NumVGPRsForWavesPerEU: 16
; Occupancy: 10
; WaveLimiterHint : 0
; COMPUTE_PGM_RSRC2:SCRATCH_EN: 0
; COMPUTE_PGM_RSRC2:USER_SGPR: 6
; COMPUTE_PGM_RSRC2:TRAP_HANDLER: 0
; COMPUTE_PGM_RSRC2:TGID_X_EN: 1
; COMPUTE_PGM_RSRC2:TGID_Y_EN: 0
; COMPUTE_PGM_RSRC2:TGID_Z_EN: 0
; COMPUTE_PGM_RSRC2:TIDIG_COMP_CNT: 1
	.section	.text._ZL26rocblas_dot_kernel_inc1by2ILb1ELi1024ELi32ELb0EdPKPKddEviT4_llS4_lliPT5_PT3_,"axG",@progbits,_ZL26rocblas_dot_kernel_inc1by2ILb1ELi1024ELi32ELb0EdPKPKddEviT4_llS4_lliPT5_PT3_,comdat
	.globl	_ZL26rocblas_dot_kernel_inc1by2ILb1ELi1024ELi32ELb0EdPKPKddEviT4_llS4_lliPT5_PT3_ ; -- Begin function _ZL26rocblas_dot_kernel_inc1by2ILb1ELi1024ELi32ELb0EdPKPKddEviT4_llS4_lliPT5_PT3_
	.p2align	8
	.type	_ZL26rocblas_dot_kernel_inc1by2ILb1ELi1024ELi32ELb0EdPKPKddEviT4_llS4_lliPT5_PT3_,@function
_ZL26rocblas_dot_kernel_inc1by2ILb1ELi1024ELi32ELb0EdPKPKddEviT4_llS4_lliPT5_PT3_: ; @_ZL26rocblas_dot_kernel_inc1by2ILb1ELi1024ELi32ELb0EdPKPKddEviT4_llS4_lliPT5_PT3_
; %bb.0:
	s_mov_b32 s2, s7
	s_load_dword s10, s[4:5], 0x0
	s_load_dwordx2 s[6:7], s[4:5], 0x48
	v_mov_b32_e32 v1, 0
	s_mov_b32 s3, 0
	v_mov_b32_e32 v2, 0
	s_waitcnt lgkmcnt(0)
	v_cmp_gt_i32_e32 vcc, s10, v0
	s_and_saveexec_b64 s[8:9], vcc
	s_cbranch_execz .LBB96_4
; %bb.1:
	s_load_dwordx4 s[12:15], s[4:5], 0x8
	s_load_dwordx4 s[16:19], s[4:5], 0x20
	s_lshl_b64 s[0:1], s[2:3], 3
	v_lshlrev_b32_e32 v1, 3, v0
	v_or_b32_e32 v7, 0x400, v0
	s_waitcnt lgkmcnt(0)
	s_add_u32 s4, s12, s0
	s_addc_u32 s5, s13, s1
	s_add_u32 s0, s16, s0
	s_addc_u32 s1, s17, s1
	s_load_dwordx2 s[0:1], s[0:1], 0x0
	s_lshl_b64 s[12:13], s[18:19], 3
	s_load_dwordx2 s[4:5], s[4:5], 0x0
	s_mov_b32 s11, s3
	s_waitcnt lgkmcnt(0)
	s_add_u32 s0, s0, s12
	s_addc_u32 s1, s1, s13
	v_mov_b32_e32 v2, s1
	v_add_co_u32_e32 v3, vcc, s0, v1
	s_lshl_b64 s[0:1], s[14:15], 3
	s_add_u32 s0, s4, s0
	v_addc_co_u32_e32 v4, vcc, 0, v2, vcc
	s_addc_u32 s1, s5, s1
	v_mov_b32_e32 v2, s1
	v_add_co_u32_e32 v5, vcc, s0, v1
	v_addc_co_u32_e32 v6, vcc, 0, v2, vcc
	v_mov_b32_e32 v1, 0
	v_mov_b32_e32 v2, 0
	s_mov_b64 s[4:5], 0
.LBB96_2:                               ; =>This Inner Loop Header: Depth=1
	flat_load_dwordx2 v[8:9], v[3:4]
	flat_load_dwordx2 v[10:11], v[5:6]
	s_add_i32 s12, s11, 1
	s_cmp_gt_u32 s11, 30
	v_cmp_le_i32_e64 s[0:1], s10, v7
	v_add_co_u32_e32 v3, vcc, 0x2000, v3
	s_mov_b32 s11, s12
	s_cselect_b64 s[12:13], -1, 0
	v_addc_co_u32_e32 v4, vcc, 0, v4, vcc
	s_or_b64 s[0:1], s[12:13], s[0:1]
	v_add_co_u32_e32 v5, vcc, 0x2000, v5
	s_and_b64 s[0:1], exec, s[0:1]
	v_add_u32_e32 v7, 0x400, v7
	s_or_b64 s[4:5], s[0:1], s[4:5]
	v_addc_co_u32_e32 v6, vcc, 0, v6, vcc
	s_waitcnt vmcnt(0) lgkmcnt(0)
	v_fma_f64 v[1:2], v[8:9], v[10:11], v[1:2]
	s_andn2_b64 exec, exec, s[4:5]
	s_cbranch_execnz .LBB96_2
; %bb.3:
	s_or_b64 exec, exec, s[4:5]
.LBB96_4:
	s_or_b64 exec, exec, s[8:9]
	v_and_b32_e32 v8, 63, v0
	v_cmp_gt_u32_e32 vcc, 64, v0
	v_lshlrev_b32_e32 v5, 3, v8
	s_and_saveexec_b64 s[0:1], vcc
; %bb.5:
	v_mov_b32_e32 v3, 0
	v_mov_b32_e32 v4, v3
	ds_write_b64 v5, v[3:4]
; %bb.6:
	s_or_b64 exec, exec, s[0:1]
	v_mbcnt_lo_u32_b32 v3, -1, 0
	v_mbcnt_hi_u32_b32 v10, -1, v3
	v_mov_b32_e32 v3, 0x80
	v_lshl_or_b32 v4, v10, 2, v3
	ds_bpermute_b32 v3, v4, v1
	ds_bpermute_b32 v4, v4, v2
	v_and_b32_e32 v11, 63, v10
	v_cmp_gt_u32_e64 s[0:1], 48, v11
	s_waitcnt lgkmcnt(0)
	s_barrier
	v_add_f64 v[1:2], v[1:2], v[3:4]
	v_cndmask_b32_e64 v3, 0, 16, s[0:1]
	v_add_lshl_u32 v4, v3, v10, 2
	v_cmp_gt_u32_e64 s[0:1], 56, v11
	ds_bpermute_b32 v3, v4, v1
	ds_bpermute_b32 v4, v4, v2
	s_waitcnt lgkmcnt(0)
	v_add_f64 v[1:2], v[1:2], v[3:4]
	v_cndmask_b32_e64 v3, 0, 8, s[0:1]
	v_add_lshl_u32 v6, v3, v10, 2
	v_cmp_gt_u32_e64 s[0:1], 60, v11
	ds_bpermute_b32 v3, v6, v1
	ds_bpermute_b32 v4, v6, v2
	s_waitcnt lgkmcnt(0)
	;; [unrolled: 7-line block ×3, first 2 shown]
	v_add_f64 v[1:2], v[1:2], v[3:4]
	v_cndmask_b32_e64 v3, 0, 2, s[0:1]
	v_add_lshl_u32 v9, v3, v10, 2
	v_cmp_ne_u32_e64 s[0:1], 63, v11
	ds_bpermute_b32 v3, v9, v1
	ds_bpermute_b32 v4, v9, v2
	s_waitcnt lgkmcnt(0)
	v_add_f64 v[1:2], v[1:2], v[3:4]
	v_addc_co_u32_e64 v3, s[0:1], 0, v10, s[0:1]
	v_lshlrev_b32_e32 v10, 2, v3
	v_cmp_eq_u32_e64 s[0:1], 0, v8
	ds_bpermute_b32 v3, v10, v1
	ds_bpermute_b32 v4, v10, v2
	s_and_saveexec_b64 s[4:5], s[0:1]
	s_cbranch_execz .LBB96_8
; %bb.7:
	s_waitcnt lgkmcnt(0)
	v_add_f64 v[1:2], v[1:2], v[3:4]
	v_lshrrev_b32_e32 v3, 3, v0
	v_and_b32_e32 v3, 0x78, v3
	ds_write_b64 v3, v[1:2]
.LBB96_8:
	s_or_b64 exec, exec, s[4:5]
	v_mov_b32_e32 v1, 0
	v_mov_b32_e32 v2, 0
	v_cmp_gt_u32_e64 s[0:1], 16, v0
	s_waitcnt lgkmcnt(0)
	s_barrier
	s_and_saveexec_b64 s[4:5], s[0:1]
	s_cbranch_execnz .LBB96_12
; %bb.9:
	s_or_b64 exec, exec, s[4:5]
	s_and_saveexec_b64 s[0:1], vcc
	s_cbranch_execnz .LBB96_13
.LBB96_10:
	s_or_b64 exec, exec, s[0:1]
	v_cmp_eq_u32_e32 vcc, 0, v0
	s_and_saveexec_b64 s[0:1], vcc
	s_cbranch_execnz .LBB96_14
.LBB96_11:
	s_endpgm
.LBB96_12:
	ds_read_b64 v[1:2], v5
	s_or_b64 exec, exec, s[4:5]
	s_and_saveexec_b64 s[0:1], vcc
	s_cbranch_execz .LBB96_10
.LBB96_13:
	s_waitcnt lgkmcnt(0)
	ds_bpermute_b32 v3, v6, v1
	ds_bpermute_b32 v4, v6, v2
	s_waitcnt lgkmcnt(0)
	v_add_f64 v[1:2], v[1:2], v[3:4]
	ds_bpermute_b32 v3, v7, v1
	ds_bpermute_b32 v4, v7, v2
	s_waitcnt lgkmcnt(0)
	v_add_f64 v[1:2], v[1:2], v[3:4]
	;; [unrolled: 4-line block ×4, first 2 shown]
	s_or_b64 exec, exec, s[0:1]
	v_cmp_eq_u32_e32 vcc, 0, v0
	s_and_saveexec_b64 s[0:1], vcc
	s_cbranch_execz .LBB96_11
.LBB96_14:
	s_lshl_b64 s[0:1], s[2:3], 3
	s_add_u32 s0, s6, s0
	s_addc_u32 s1, s7, s1
	v_mov_b32_e32 v0, 0
	s_waitcnt lgkmcnt(0)
	global_store_dwordx2 v0, v[1:2], s[0:1]
	s_endpgm
	.section	.rodata,"a",@progbits
	.p2align	6, 0x0
	.amdhsa_kernel _ZL26rocblas_dot_kernel_inc1by2ILb1ELi1024ELi32ELb0EdPKPKddEviT4_llS4_lliPT5_PT3_
		.amdhsa_group_segment_fixed_size 512
		.amdhsa_private_segment_fixed_size 0
		.amdhsa_kernarg_size 80
		.amdhsa_user_sgpr_count 6
		.amdhsa_user_sgpr_private_segment_buffer 1
		.amdhsa_user_sgpr_dispatch_ptr 0
		.amdhsa_user_sgpr_queue_ptr 0
		.amdhsa_user_sgpr_kernarg_segment_ptr 1
		.amdhsa_user_sgpr_dispatch_id 0
		.amdhsa_user_sgpr_flat_scratch_init 0
		.amdhsa_user_sgpr_private_segment_size 0
		.amdhsa_uses_dynamic_stack 0
		.amdhsa_system_sgpr_private_segment_wavefront_offset 0
		.amdhsa_system_sgpr_workgroup_id_x 1
		.amdhsa_system_sgpr_workgroup_id_y 0
		.amdhsa_system_sgpr_workgroup_id_z 1
		.amdhsa_system_sgpr_workgroup_info 0
		.amdhsa_system_vgpr_workitem_id 0
		.amdhsa_next_free_vgpr 12
		.amdhsa_next_free_sgpr 20
		.amdhsa_reserve_vcc 1
		.amdhsa_reserve_flat_scratch 0
		.amdhsa_float_round_mode_32 0
		.amdhsa_float_round_mode_16_64 0
		.amdhsa_float_denorm_mode_32 3
		.amdhsa_float_denorm_mode_16_64 3
		.amdhsa_dx10_clamp 1
		.amdhsa_ieee_mode 1
		.amdhsa_fp16_overflow 0
		.amdhsa_exception_fp_ieee_invalid_op 0
		.amdhsa_exception_fp_denorm_src 0
		.amdhsa_exception_fp_ieee_div_zero 0
		.amdhsa_exception_fp_ieee_overflow 0
		.amdhsa_exception_fp_ieee_underflow 0
		.amdhsa_exception_fp_ieee_inexact 0
		.amdhsa_exception_int_div_zero 0
	.end_amdhsa_kernel
	.section	.text._ZL26rocblas_dot_kernel_inc1by2ILb1ELi1024ELi32ELb0EdPKPKddEviT4_llS4_lliPT5_PT3_,"axG",@progbits,_ZL26rocblas_dot_kernel_inc1by2ILb1ELi1024ELi32ELb0EdPKPKddEviT4_llS4_lliPT5_PT3_,comdat
.Lfunc_end96:
	.size	_ZL26rocblas_dot_kernel_inc1by2ILb1ELi1024ELi32ELb0EdPKPKddEviT4_llS4_lliPT5_PT3_, .Lfunc_end96-_ZL26rocblas_dot_kernel_inc1by2ILb1ELi1024ELi32ELb0EdPKPKddEviT4_llS4_lliPT5_PT3_
                                        ; -- End function
	.set _ZL26rocblas_dot_kernel_inc1by2ILb1ELi1024ELi32ELb0EdPKPKddEviT4_llS4_lliPT5_PT3_.num_vgpr, 12
	.set _ZL26rocblas_dot_kernel_inc1by2ILb1ELi1024ELi32ELb0EdPKPKddEviT4_llS4_lliPT5_PT3_.num_agpr, 0
	.set _ZL26rocblas_dot_kernel_inc1by2ILb1ELi1024ELi32ELb0EdPKPKddEviT4_llS4_lliPT5_PT3_.numbered_sgpr, 20
	.set _ZL26rocblas_dot_kernel_inc1by2ILb1ELi1024ELi32ELb0EdPKPKddEviT4_llS4_lliPT5_PT3_.num_named_barrier, 0
	.set _ZL26rocblas_dot_kernel_inc1by2ILb1ELi1024ELi32ELb0EdPKPKddEviT4_llS4_lliPT5_PT3_.private_seg_size, 0
	.set _ZL26rocblas_dot_kernel_inc1by2ILb1ELi1024ELi32ELb0EdPKPKddEviT4_llS4_lliPT5_PT3_.uses_vcc, 1
	.set _ZL26rocblas_dot_kernel_inc1by2ILb1ELi1024ELi32ELb0EdPKPKddEviT4_llS4_lliPT5_PT3_.uses_flat_scratch, 0
	.set _ZL26rocblas_dot_kernel_inc1by2ILb1ELi1024ELi32ELb0EdPKPKddEviT4_llS4_lliPT5_PT3_.has_dyn_sized_stack, 0
	.set _ZL26rocblas_dot_kernel_inc1by2ILb1ELi1024ELi32ELb0EdPKPKddEviT4_llS4_lliPT5_PT3_.has_recursion, 0
	.set _ZL26rocblas_dot_kernel_inc1by2ILb1ELi1024ELi32ELb0EdPKPKddEviT4_llS4_lliPT5_PT3_.has_indirect_call, 0
	.section	.AMDGPU.csdata,"",@progbits
; Kernel info:
; codeLenInByte = 944
; TotalNumSgprs: 24
; NumVgprs: 12
; ScratchSize: 0
; MemoryBound: 0
; FloatMode: 240
; IeeeMode: 1
; LDSByteSize: 512 bytes/workgroup (compile time only)
; SGPRBlocks: 2
; VGPRBlocks: 2
; NumSGPRsForWavesPerEU: 24
; NumVGPRsForWavesPerEU: 12
; Occupancy: 10
; WaveLimiterHint : 0
; COMPUTE_PGM_RSRC2:SCRATCH_EN: 0
; COMPUTE_PGM_RSRC2:USER_SGPR: 6
; COMPUTE_PGM_RSRC2:TRAP_HANDLER: 0
; COMPUTE_PGM_RSRC2:TGID_X_EN: 1
; COMPUTE_PGM_RSRC2:TGID_Y_EN: 0
; COMPUTE_PGM_RSRC2:TGID_Z_EN: 1
; COMPUTE_PGM_RSRC2:TIDIG_COMP_CNT: 0
	.section	.text._ZL18rocblas_dot_kernelIiLb1ELi1024ELi32ELb0EdPKPKddEviT5_lT_lS4_lS5_liPT6_PT4_,"axG",@progbits,_ZL18rocblas_dot_kernelIiLb1ELi1024ELi32ELb0EdPKPKddEviT5_lT_lS4_lS5_liPT6_PT4_,comdat
	.globl	_ZL18rocblas_dot_kernelIiLb1ELi1024ELi32ELb0EdPKPKddEviT5_lT_lS4_lS5_liPT6_PT4_ ; -- Begin function _ZL18rocblas_dot_kernelIiLb1ELi1024ELi32ELb0EdPKPKddEviT5_lT_lS4_lS5_liPT6_PT4_
	.p2align	8
	.type	_ZL18rocblas_dot_kernelIiLb1ELi1024ELi32ELb0EdPKPKddEviT5_lT_lS4_lS5_liPT6_PT4_,@function
_ZL18rocblas_dot_kernelIiLb1ELi1024ELi32ELb0EdPKPKddEviT5_lT_lS4_lS5_liPT6_PT4_: ; @_ZL18rocblas_dot_kernelIiLb1ELi1024ELi32ELb0EdPKPKddEviT5_lT_lS4_lS5_liPT6_PT4_
; %bb.0:
	s_load_dword s14, s[4:5], 0x0
	s_load_dwordx2 s[8:9], s[4:5], 0x58
	v_mov_b32_e32 v1, 0
	s_mov_b32 s6, s7
	s_mov_b32 s7, 0
	v_mov_b32_e32 v2, 0
	s_waitcnt lgkmcnt(0)
	v_cmp_gt_i32_e32 vcc, s14, v0
	s_and_saveexec_b64 s[10:11], vcc
	s_cbranch_execz .LBB97_4
; %bb.1:
	s_load_dwordx4 s[16:19], s[4:5], 0x8
	s_load_dwordx4 s[0:3], s[4:5], 0x28
	s_load_dword s22, s[4:5], 0x18
	s_lshl_b64 s[12:13], s[6:7], 3
	s_waitcnt lgkmcnt(0)
	s_add_u32 s16, s16, s12
	s_addc_u32 s17, s17, s13
	s_load_dwordx2 s[20:21], s[16:17], 0x0
	s_load_dword s23, s[4:5], 0x38
	s_load_dword s15, s[4:5], 0x60
	v_mad_i64_i32 v[1:2], s[4:5], s22, v0, 0
	s_add_u32 s0, s0, s12
	s_addc_u32 s1, s1, s13
	s_waitcnt lgkmcnt(0)
	s_lshl_b32 s15, s15, 10
	s_lshl_b64 s[4:5], s[18:19], 3
	v_lshlrev_b64 v[1:2], 3, v[1:2]
	s_add_u32 s4, s20, s4
	s_addc_u32 s5, s21, s5
	s_load_dwordx2 s[0:1], s[0:1], 0x0
	v_mov_b32_e32 v4, s5
	v_add_co_u32_e32 v3, vcc, s4, v1
	v_addc_co_u32_e32 v4, vcc, v4, v2, vcc
	v_mad_i64_i32 v[1:2], s[4:5], s23, v0, 0
	s_mul_hi_i32 s5, s22, s15
	s_mul_i32 s4, s22, s15
	s_lshl_b64 s[4:5], s[4:5], 3
	s_lshl_b64 s[2:3], s[2:3], 3
	v_lshlrev_b64 v[1:2], 3, v[1:2]
	s_waitcnt lgkmcnt(0)
	s_add_u32 s0, s0, s2
	s_addc_u32 s1, s1, s3
	v_mov_b32_e32 v6, s1
	v_add_co_u32_e32 v5, vcc, s0, v1
	s_mul_hi_i32 s1, s23, s15
	s_mul_i32 s0, s23, s15
	v_addc_co_u32_e32 v6, vcc, v6, v2, vcc
	s_lshl_b64 s[2:3], s[0:1], 3
	v_mov_b32_e32 v1, 0
	v_or_b32_e32 v7, s15, v0
	v_mov_b32_e32 v2, 0
	s_mov_b64 s[12:13], 0
	v_mov_b32_e32 v8, s5
	v_mov_b32_e32 v9, s3
	s_mov_b32 s3, s7
.LBB97_2:                               ; =>This Inner Loop Header: Depth=1
	flat_load_dwordx2 v[10:11], v[5:6]
	flat_load_dwordx2 v[12:13], v[3:4]
	v_add_co_u32_e64 v3, s[0:1], s4, v3
	v_addc_co_u32_e64 v4, s[0:1], v4, v8, s[0:1]
	s_add_i32 s5, s3, 1
	v_add_co_u32_e64 v5, s[0:1], s2, v5
	v_addc_co_u32_e64 v6, s[0:1], v6, v9, s[0:1]
	s_cmp_gt_u32 s3, 30
	v_cmp_le_i32_e32 vcc, s14, v7
	s_cselect_b64 s[0:1], -1, 0
	s_or_b64 s[0:1], s[0:1], vcc
	s_and_b64 s[0:1], exec, s[0:1]
	v_add_u32_e32 v7, s15, v7
	s_or_b64 s[12:13], s[0:1], s[12:13]
	s_mov_b32 s3, s5
	s_waitcnt vmcnt(0) lgkmcnt(0)
	v_fma_f64 v[1:2], v[10:11], v[12:13], v[1:2]
	s_andn2_b64 exec, exec, s[12:13]
	s_cbranch_execnz .LBB97_2
; %bb.3:
	s_or_b64 exec, exec, s[12:13]
.LBB97_4:
	s_or_b64 exec, exec, s[10:11]
	v_and_b32_e32 v8, 63, v0
	v_cmp_gt_u32_e32 vcc, 64, v0
	v_lshlrev_b32_e32 v5, 3, v8
	s_and_saveexec_b64 s[0:1], vcc
; %bb.5:
	v_mov_b32_e32 v3, 0
	v_mov_b32_e32 v4, v3
	ds_write_b64 v5, v[3:4]
; %bb.6:
	s_or_b64 exec, exec, s[0:1]
	v_mbcnt_lo_u32_b32 v3, -1, 0
	v_mbcnt_hi_u32_b32 v10, -1, v3
	v_mov_b32_e32 v3, 0x80
	v_lshl_or_b32 v4, v10, 2, v3
	ds_bpermute_b32 v3, v4, v1
	ds_bpermute_b32 v4, v4, v2
	v_and_b32_e32 v11, 63, v10
	v_cmp_gt_u32_e64 s[0:1], 48, v11
	s_waitcnt lgkmcnt(0)
	s_barrier
	v_add_f64 v[1:2], v[1:2], v[3:4]
	v_cndmask_b32_e64 v3, 0, 16, s[0:1]
	v_add_lshl_u32 v4, v3, v10, 2
	v_cmp_gt_u32_e64 s[0:1], 56, v11
	ds_bpermute_b32 v3, v4, v1
	ds_bpermute_b32 v4, v4, v2
	s_waitcnt lgkmcnt(0)
	v_add_f64 v[1:2], v[1:2], v[3:4]
	v_cndmask_b32_e64 v3, 0, 8, s[0:1]
	v_add_lshl_u32 v6, v3, v10, 2
	v_cmp_gt_u32_e64 s[0:1], 60, v11
	ds_bpermute_b32 v3, v6, v1
	ds_bpermute_b32 v4, v6, v2
	s_waitcnt lgkmcnt(0)
	;; [unrolled: 7-line block ×3, first 2 shown]
	v_add_f64 v[1:2], v[1:2], v[3:4]
	v_cndmask_b32_e64 v3, 0, 2, s[0:1]
	v_add_lshl_u32 v9, v3, v10, 2
	v_cmp_ne_u32_e64 s[0:1], 63, v11
	ds_bpermute_b32 v3, v9, v1
	ds_bpermute_b32 v4, v9, v2
	s_waitcnt lgkmcnt(0)
	v_add_f64 v[1:2], v[1:2], v[3:4]
	v_addc_co_u32_e64 v3, s[0:1], 0, v10, s[0:1]
	v_lshlrev_b32_e32 v10, 2, v3
	v_cmp_eq_u32_e64 s[0:1], 0, v8
	ds_bpermute_b32 v3, v10, v1
	ds_bpermute_b32 v4, v10, v2
	s_and_saveexec_b64 s[2:3], s[0:1]
	s_cbranch_execz .LBB97_8
; %bb.7:
	s_waitcnt lgkmcnt(0)
	v_add_f64 v[1:2], v[1:2], v[3:4]
	v_lshrrev_b32_e32 v3, 3, v0
	v_and_b32_e32 v3, 0x78, v3
	ds_write_b64 v3, v[1:2]
.LBB97_8:
	s_or_b64 exec, exec, s[2:3]
	v_mov_b32_e32 v1, 0
	v_mov_b32_e32 v2, 0
	v_cmp_gt_u32_e64 s[0:1], 16, v0
	s_waitcnt lgkmcnt(0)
	s_barrier
	s_and_saveexec_b64 s[2:3], s[0:1]
	s_cbranch_execnz .LBB97_12
; %bb.9:
	s_or_b64 exec, exec, s[2:3]
	s_and_saveexec_b64 s[0:1], vcc
	s_cbranch_execnz .LBB97_13
.LBB97_10:
	s_or_b64 exec, exec, s[0:1]
	v_cmp_eq_u32_e32 vcc, 0, v0
	s_and_saveexec_b64 s[0:1], vcc
	s_cbranch_execnz .LBB97_14
.LBB97_11:
	s_endpgm
.LBB97_12:
	ds_read_b64 v[1:2], v5
	s_or_b64 exec, exec, s[2:3]
	s_and_saveexec_b64 s[0:1], vcc
	s_cbranch_execz .LBB97_10
.LBB97_13:
	s_waitcnt lgkmcnt(0)
	ds_bpermute_b32 v3, v6, v1
	ds_bpermute_b32 v4, v6, v2
	s_waitcnt lgkmcnt(0)
	v_add_f64 v[1:2], v[1:2], v[3:4]
	ds_bpermute_b32 v3, v7, v1
	ds_bpermute_b32 v4, v7, v2
	s_waitcnt lgkmcnt(0)
	v_add_f64 v[1:2], v[1:2], v[3:4]
	ds_bpermute_b32 v3, v9, v1
	ds_bpermute_b32 v4, v9, v2
	s_waitcnt lgkmcnt(0)
	v_add_f64 v[1:2], v[1:2], v[3:4]
	ds_bpermute_b32 v3, v10, v1
	ds_bpermute_b32 v4, v10, v2
	s_waitcnt lgkmcnt(0)
	v_add_f64 v[1:2], v[1:2], v[3:4]
	s_or_b64 exec, exec, s[0:1]
	v_cmp_eq_u32_e32 vcc, 0, v0
	s_and_saveexec_b64 s[0:1], vcc
	s_cbranch_execz .LBB97_11
.LBB97_14:
	s_lshl_b64 s[0:1], s[6:7], 3
	s_add_u32 s0, s8, s0
	s_addc_u32 s1, s9, s1
	v_mov_b32_e32 v0, 0
	s_waitcnt lgkmcnt(0)
	global_store_dwordx2 v0, v[1:2], s[0:1]
	s_endpgm
	.section	.rodata,"a",@progbits
	.p2align	6, 0x0
	.amdhsa_kernel _ZL18rocblas_dot_kernelIiLb1ELi1024ELi32ELb0EdPKPKddEviT5_lT_lS4_lS5_liPT6_PT4_
		.amdhsa_group_segment_fixed_size 512
		.amdhsa_private_segment_fixed_size 0
		.amdhsa_kernarg_size 352
		.amdhsa_user_sgpr_count 6
		.amdhsa_user_sgpr_private_segment_buffer 1
		.amdhsa_user_sgpr_dispatch_ptr 0
		.amdhsa_user_sgpr_queue_ptr 0
		.amdhsa_user_sgpr_kernarg_segment_ptr 1
		.amdhsa_user_sgpr_dispatch_id 0
		.amdhsa_user_sgpr_flat_scratch_init 0
		.amdhsa_user_sgpr_private_segment_size 0
		.amdhsa_uses_dynamic_stack 0
		.amdhsa_system_sgpr_private_segment_wavefront_offset 0
		.amdhsa_system_sgpr_workgroup_id_x 1
		.amdhsa_system_sgpr_workgroup_id_y 0
		.amdhsa_system_sgpr_workgroup_id_z 1
		.amdhsa_system_sgpr_workgroup_info 0
		.amdhsa_system_vgpr_workitem_id 0
		.amdhsa_next_free_vgpr 14
		.amdhsa_next_free_sgpr 24
		.amdhsa_reserve_vcc 1
		.amdhsa_reserve_flat_scratch 0
		.amdhsa_float_round_mode_32 0
		.amdhsa_float_round_mode_16_64 0
		.amdhsa_float_denorm_mode_32 3
		.amdhsa_float_denorm_mode_16_64 3
		.amdhsa_dx10_clamp 1
		.amdhsa_ieee_mode 1
		.amdhsa_fp16_overflow 0
		.amdhsa_exception_fp_ieee_invalid_op 0
		.amdhsa_exception_fp_denorm_src 0
		.amdhsa_exception_fp_ieee_div_zero 0
		.amdhsa_exception_fp_ieee_overflow 0
		.amdhsa_exception_fp_ieee_underflow 0
		.amdhsa_exception_fp_ieee_inexact 0
		.amdhsa_exception_int_div_zero 0
	.end_amdhsa_kernel
	.section	.text._ZL18rocblas_dot_kernelIiLb1ELi1024ELi32ELb0EdPKPKddEviT5_lT_lS4_lS5_liPT6_PT4_,"axG",@progbits,_ZL18rocblas_dot_kernelIiLb1ELi1024ELi32ELb0EdPKPKddEviT5_lT_lS4_lS5_liPT6_PT4_,comdat
.Lfunc_end97:
	.size	_ZL18rocblas_dot_kernelIiLb1ELi1024ELi32ELb0EdPKPKddEviT5_lT_lS4_lS5_liPT6_PT4_, .Lfunc_end97-_ZL18rocblas_dot_kernelIiLb1ELi1024ELi32ELb0EdPKPKddEviT5_lT_lS4_lS5_liPT6_PT4_
                                        ; -- End function
	.set _ZL18rocblas_dot_kernelIiLb1ELi1024ELi32ELb0EdPKPKddEviT5_lT_lS4_lS5_liPT6_PT4_.num_vgpr, 14
	.set _ZL18rocblas_dot_kernelIiLb1ELi1024ELi32ELb0EdPKPKddEviT5_lT_lS4_lS5_liPT6_PT4_.num_agpr, 0
	.set _ZL18rocblas_dot_kernelIiLb1ELi1024ELi32ELb0EdPKPKddEviT5_lT_lS4_lS5_liPT6_PT4_.numbered_sgpr, 24
	.set _ZL18rocblas_dot_kernelIiLb1ELi1024ELi32ELb0EdPKPKddEviT5_lT_lS4_lS5_liPT6_PT4_.num_named_barrier, 0
	.set _ZL18rocblas_dot_kernelIiLb1ELi1024ELi32ELb0EdPKPKddEviT5_lT_lS4_lS5_liPT6_PT4_.private_seg_size, 0
	.set _ZL18rocblas_dot_kernelIiLb1ELi1024ELi32ELb0EdPKPKddEviT5_lT_lS4_lS5_liPT6_PT4_.uses_vcc, 1
	.set _ZL18rocblas_dot_kernelIiLb1ELi1024ELi32ELb0EdPKPKddEviT5_lT_lS4_lS5_liPT6_PT4_.uses_flat_scratch, 0
	.set _ZL18rocblas_dot_kernelIiLb1ELi1024ELi32ELb0EdPKPKddEviT5_lT_lS4_lS5_liPT6_PT4_.has_dyn_sized_stack, 0
	.set _ZL18rocblas_dot_kernelIiLb1ELi1024ELi32ELb0EdPKPKddEviT5_lT_lS4_lS5_liPT6_PT4_.has_recursion, 0
	.set _ZL18rocblas_dot_kernelIiLb1ELi1024ELi32ELb0EdPKPKddEviT5_lT_lS4_lS5_liPT6_PT4_.has_indirect_call, 0
	.section	.AMDGPU.csdata,"",@progbits
; Kernel info:
; codeLenInByte = 1032
; TotalNumSgprs: 28
; NumVgprs: 14
; ScratchSize: 0
; MemoryBound: 0
; FloatMode: 240
; IeeeMode: 1
; LDSByteSize: 512 bytes/workgroup (compile time only)
; SGPRBlocks: 3
; VGPRBlocks: 3
; NumSGPRsForWavesPerEU: 28
; NumVGPRsForWavesPerEU: 14
; Occupancy: 10
; WaveLimiterHint : 0
; COMPUTE_PGM_RSRC2:SCRATCH_EN: 0
; COMPUTE_PGM_RSRC2:USER_SGPR: 6
; COMPUTE_PGM_RSRC2:TRAP_HANDLER: 0
; COMPUTE_PGM_RSRC2:TGID_X_EN: 1
; COMPUTE_PGM_RSRC2:TGID_Y_EN: 0
; COMPUTE_PGM_RSRC2:TGID_Z_EN: 1
; COMPUTE_PGM_RSRC2:TIDIG_COMP_CNT: 0
	.section	.text._ZL24rocblas_dot_kernel_magsqIiLb1ELi1024ELi32ELb0EdPKPKddEviT5_lT_liPT6_PT4_,"axG",@progbits,_ZL24rocblas_dot_kernel_magsqIiLb1ELi1024ELi32ELb0EdPKPKddEviT5_lT_liPT6_PT4_,comdat
	.globl	_ZL24rocblas_dot_kernel_magsqIiLb1ELi1024ELi32ELb0EdPKPKddEviT5_lT_liPT6_PT4_ ; -- Begin function _ZL24rocblas_dot_kernel_magsqIiLb1ELi1024ELi32ELb0EdPKPKddEviT5_lT_liPT6_PT4_
	.p2align	8
	.type	_ZL24rocblas_dot_kernel_magsqIiLb1ELi1024ELi32ELb0EdPKPKddEviT5_lT_liPT6_PT4_,@function
_ZL24rocblas_dot_kernel_magsqIiLb1ELi1024ELi32ELb0EdPKPKddEviT5_lT_liPT6_PT4_: ; @_ZL24rocblas_dot_kernel_magsqIiLb1ELi1024ELi32ELb0EdPKPKddEviT5_lT_liPT6_PT4_
; %bb.0:
	s_mov_b32 s2, s7
	s_load_dword s12, s[4:5], 0x0
	s_load_dwordx2 s[6:7], s[4:5], 0x38
	v_mov_b32_e32 v1, 0
	s_mov_b32 s3, 0
	v_mov_b32_e32 v2, 0
	s_waitcnt lgkmcnt(0)
	v_cmp_gt_i32_e32 vcc, s12, v0
	s_and_saveexec_b64 s[8:9], vcc
	s_cbranch_execz .LBB98_4
; %bb.1:
	s_load_dwordx4 s[16:19], s[4:5], 0x8
	s_lshl_b64 s[0:1], s[2:3], 3
	s_load_dword s10, s[4:5], 0x18
	s_load_dword s11, s[4:5], 0x40
	s_waitcnt lgkmcnt(0)
	s_add_u32 s0, s16, s0
	s_addc_u32 s1, s17, s1
	s_load_dwordx2 s[0:1], s[0:1], 0x0
	v_mad_i64_i32 v[1:2], s[4:5], s10, v0, 0
	s_lshl_b32 s13, s11, 10
	s_lshl_b64 s[4:5], s[18:19], 3
	v_lshlrev_b64 v[1:2], 3, v[1:2]
	s_waitcnt lgkmcnt(0)
	s_add_u32 s0, s0, s4
	s_addc_u32 s1, s1, s5
	v_mov_b32_e32 v4, s1
	v_add_co_u32_e32 v3, vcc, s0, v1
	s_mul_hi_i32 s1, s10, s13
	s_mul_i32 s0, s10, s13
	v_addc_co_u32_e32 v4, vcc, v4, v2, vcc
	s_lshl_b64 s[4:5], s[0:1], 3
	v_mov_b32_e32 v1, 0
	v_or_b32_e32 v5, s13, v0
	v_mov_b32_e32 v2, 0
	s_mov_b64 s[10:11], 0
	v_mov_b32_e32 v6, s5
	s_mov_b32 s5, s3
.LBB98_2:                               ; =>This Inner Loop Header: Depth=1
	flat_load_dwordx2 v[7:8], v[3:4]
	s_add_i32 s14, s5, 1
	v_add_co_u32_e64 v3, s[0:1], s4, v3
	v_addc_co_u32_e64 v4, s[0:1], v4, v6, s[0:1]
	s_cmp_gt_u32 s5, 30
	v_cmp_le_i32_e32 vcc, s12, v5
	s_cselect_b64 s[0:1], -1, 0
	s_or_b64 s[0:1], s[0:1], vcc
	s_and_b64 s[0:1], exec, s[0:1]
	v_add_u32_e32 v5, s13, v5
	s_or_b64 s[10:11], s[0:1], s[10:11]
	s_mov_b32 s5, s14
	s_waitcnt vmcnt(0) lgkmcnt(0)
	v_fma_f64 v[1:2], v[7:8], v[7:8], v[1:2]
	s_andn2_b64 exec, exec, s[10:11]
	s_cbranch_execnz .LBB98_2
; %bb.3:
	s_or_b64 exec, exec, s[10:11]
.LBB98_4:
	s_or_b64 exec, exec, s[8:9]
	v_and_b32_e32 v8, 63, v0
	v_cmp_gt_u32_e32 vcc, 64, v0
	v_lshlrev_b32_e32 v5, 3, v8
	s_and_saveexec_b64 s[0:1], vcc
; %bb.5:
	v_mov_b32_e32 v3, 0
	v_mov_b32_e32 v4, v3
	ds_write_b64 v5, v[3:4]
; %bb.6:
	s_or_b64 exec, exec, s[0:1]
	v_mbcnt_lo_u32_b32 v3, -1, 0
	v_mbcnt_hi_u32_b32 v10, -1, v3
	v_mov_b32_e32 v3, 0x80
	v_lshl_or_b32 v4, v10, 2, v3
	ds_bpermute_b32 v3, v4, v1
	ds_bpermute_b32 v4, v4, v2
	v_and_b32_e32 v11, 63, v10
	v_cmp_gt_u32_e64 s[0:1], 48, v11
	s_waitcnt lgkmcnt(0)
	s_barrier
	v_add_f64 v[1:2], v[1:2], v[3:4]
	v_cndmask_b32_e64 v3, 0, 16, s[0:1]
	v_add_lshl_u32 v4, v3, v10, 2
	v_cmp_gt_u32_e64 s[0:1], 56, v11
	ds_bpermute_b32 v3, v4, v1
	ds_bpermute_b32 v4, v4, v2
	s_waitcnt lgkmcnt(0)
	v_add_f64 v[1:2], v[1:2], v[3:4]
	v_cndmask_b32_e64 v3, 0, 8, s[0:1]
	v_add_lshl_u32 v6, v3, v10, 2
	v_cmp_gt_u32_e64 s[0:1], 60, v11
	ds_bpermute_b32 v3, v6, v1
	ds_bpermute_b32 v4, v6, v2
	s_waitcnt lgkmcnt(0)
	;; [unrolled: 7-line block ×3, first 2 shown]
	v_add_f64 v[1:2], v[1:2], v[3:4]
	v_cndmask_b32_e64 v3, 0, 2, s[0:1]
	v_add_lshl_u32 v9, v3, v10, 2
	v_cmp_ne_u32_e64 s[0:1], 63, v11
	ds_bpermute_b32 v3, v9, v1
	ds_bpermute_b32 v4, v9, v2
	s_waitcnt lgkmcnt(0)
	v_add_f64 v[1:2], v[1:2], v[3:4]
	v_addc_co_u32_e64 v3, s[0:1], 0, v10, s[0:1]
	v_lshlrev_b32_e32 v10, 2, v3
	v_cmp_eq_u32_e64 s[0:1], 0, v8
	ds_bpermute_b32 v3, v10, v1
	ds_bpermute_b32 v4, v10, v2
	s_and_saveexec_b64 s[4:5], s[0:1]
	s_cbranch_execz .LBB98_8
; %bb.7:
	s_waitcnt lgkmcnt(0)
	v_add_f64 v[1:2], v[1:2], v[3:4]
	v_lshrrev_b32_e32 v3, 3, v0
	v_and_b32_e32 v3, 0x78, v3
	ds_write_b64 v3, v[1:2]
.LBB98_8:
	s_or_b64 exec, exec, s[4:5]
	v_mov_b32_e32 v1, 0
	v_mov_b32_e32 v2, 0
	v_cmp_gt_u32_e64 s[0:1], 16, v0
	s_waitcnt lgkmcnt(0)
	s_barrier
	s_and_saveexec_b64 s[4:5], s[0:1]
	s_cbranch_execnz .LBB98_12
; %bb.9:
	s_or_b64 exec, exec, s[4:5]
	s_and_saveexec_b64 s[0:1], vcc
	s_cbranch_execnz .LBB98_13
.LBB98_10:
	s_or_b64 exec, exec, s[0:1]
	v_cmp_eq_u32_e32 vcc, 0, v0
	s_and_saveexec_b64 s[0:1], vcc
	s_cbranch_execnz .LBB98_14
.LBB98_11:
	s_endpgm
.LBB98_12:
	ds_read_b64 v[1:2], v5
	s_or_b64 exec, exec, s[4:5]
	s_and_saveexec_b64 s[0:1], vcc
	s_cbranch_execz .LBB98_10
.LBB98_13:
	s_waitcnt lgkmcnt(0)
	ds_bpermute_b32 v3, v6, v1
	ds_bpermute_b32 v4, v6, v2
	s_waitcnt lgkmcnt(0)
	v_add_f64 v[1:2], v[1:2], v[3:4]
	ds_bpermute_b32 v3, v7, v1
	ds_bpermute_b32 v4, v7, v2
	s_waitcnt lgkmcnt(0)
	v_add_f64 v[1:2], v[1:2], v[3:4]
	ds_bpermute_b32 v3, v9, v1
	ds_bpermute_b32 v4, v9, v2
	s_waitcnt lgkmcnt(0)
	v_add_f64 v[1:2], v[1:2], v[3:4]
	ds_bpermute_b32 v3, v10, v1
	ds_bpermute_b32 v4, v10, v2
	s_waitcnt lgkmcnt(0)
	v_add_f64 v[1:2], v[1:2], v[3:4]
	s_or_b64 exec, exec, s[0:1]
	v_cmp_eq_u32_e32 vcc, 0, v0
	s_and_saveexec_b64 s[0:1], vcc
	s_cbranch_execz .LBB98_11
.LBB98_14:
	s_lshl_b64 s[0:1], s[2:3], 3
	s_add_u32 s0, s6, s0
	s_addc_u32 s1, s7, s1
	v_mov_b32_e32 v0, 0
	s_waitcnt lgkmcnt(0)
	global_store_dwordx2 v0, v[1:2], s[0:1]
	s_endpgm
	.section	.rodata,"a",@progbits
	.p2align	6, 0x0
	.amdhsa_kernel _ZL24rocblas_dot_kernel_magsqIiLb1ELi1024ELi32ELb0EdPKPKddEviT5_lT_liPT6_PT4_
		.amdhsa_group_segment_fixed_size 512
		.amdhsa_private_segment_fixed_size 0
		.amdhsa_kernarg_size 320
		.amdhsa_user_sgpr_count 6
		.amdhsa_user_sgpr_private_segment_buffer 1
		.amdhsa_user_sgpr_dispatch_ptr 0
		.amdhsa_user_sgpr_queue_ptr 0
		.amdhsa_user_sgpr_kernarg_segment_ptr 1
		.amdhsa_user_sgpr_dispatch_id 0
		.amdhsa_user_sgpr_flat_scratch_init 0
		.amdhsa_user_sgpr_private_segment_size 0
		.amdhsa_uses_dynamic_stack 0
		.amdhsa_system_sgpr_private_segment_wavefront_offset 0
		.amdhsa_system_sgpr_workgroup_id_x 1
		.amdhsa_system_sgpr_workgroup_id_y 0
		.amdhsa_system_sgpr_workgroup_id_z 1
		.amdhsa_system_sgpr_workgroup_info 0
		.amdhsa_system_vgpr_workitem_id 0
		.amdhsa_next_free_vgpr 12
		.amdhsa_next_free_sgpr 20
		.amdhsa_reserve_vcc 1
		.amdhsa_reserve_flat_scratch 0
		.amdhsa_float_round_mode_32 0
		.amdhsa_float_round_mode_16_64 0
		.amdhsa_float_denorm_mode_32 3
		.amdhsa_float_denorm_mode_16_64 3
		.amdhsa_dx10_clamp 1
		.amdhsa_ieee_mode 1
		.amdhsa_fp16_overflow 0
		.amdhsa_exception_fp_ieee_invalid_op 0
		.amdhsa_exception_fp_denorm_src 0
		.amdhsa_exception_fp_ieee_div_zero 0
		.amdhsa_exception_fp_ieee_overflow 0
		.amdhsa_exception_fp_ieee_underflow 0
		.amdhsa_exception_fp_ieee_inexact 0
		.amdhsa_exception_int_div_zero 0
	.end_amdhsa_kernel
	.section	.text._ZL24rocblas_dot_kernel_magsqIiLb1ELi1024ELi32ELb0EdPKPKddEviT5_lT_liPT6_PT4_,"axG",@progbits,_ZL24rocblas_dot_kernel_magsqIiLb1ELi1024ELi32ELb0EdPKPKddEviT5_lT_liPT6_PT4_,comdat
.Lfunc_end98:
	.size	_ZL24rocblas_dot_kernel_magsqIiLb1ELi1024ELi32ELb0EdPKPKddEviT5_lT_liPT6_PT4_, .Lfunc_end98-_ZL24rocblas_dot_kernel_magsqIiLb1ELi1024ELi32ELb0EdPKPKddEviT5_lT_liPT6_PT4_
                                        ; -- End function
	.set _ZL24rocblas_dot_kernel_magsqIiLb1ELi1024ELi32ELb0EdPKPKddEviT5_lT_liPT6_PT4_.num_vgpr, 12
	.set _ZL24rocblas_dot_kernel_magsqIiLb1ELi1024ELi32ELb0EdPKPKddEviT5_lT_liPT6_PT4_.num_agpr, 0
	.set _ZL24rocblas_dot_kernel_magsqIiLb1ELi1024ELi32ELb0EdPKPKddEviT5_lT_liPT6_PT4_.numbered_sgpr, 20
	.set _ZL24rocblas_dot_kernel_magsqIiLb1ELi1024ELi32ELb0EdPKPKddEviT5_lT_liPT6_PT4_.num_named_barrier, 0
	.set _ZL24rocblas_dot_kernel_magsqIiLb1ELi1024ELi32ELb0EdPKPKddEviT5_lT_liPT6_PT4_.private_seg_size, 0
	.set _ZL24rocblas_dot_kernel_magsqIiLb1ELi1024ELi32ELb0EdPKPKddEviT5_lT_liPT6_PT4_.uses_vcc, 1
	.set _ZL24rocblas_dot_kernel_magsqIiLb1ELi1024ELi32ELb0EdPKPKddEviT5_lT_liPT6_PT4_.uses_flat_scratch, 0
	.set _ZL24rocblas_dot_kernel_magsqIiLb1ELi1024ELi32ELb0EdPKPKddEviT5_lT_liPT6_PT4_.has_dyn_sized_stack, 0
	.set _ZL24rocblas_dot_kernel_magsqIiLb1ELi1024ELi32ELb0EdPKPKddEviT5_lT_liPT6_PT4_.has_recursion, 0
	.set _ZL24rocblas_dot_kernel_magsqIiLb1ELi1024ELi32ELb0EdPKPKddEviT5_lT_liPT6_PT4_.has_indirect_call, 0
	.section	.AMDGPU.csdata,"",@progbits
; Kernel info:
; codeLenInByte = 916
; TotalNumSgprs: 24
; NumVgprs: 12
; ScratchSize: 0
; MemoryBound: 0
; FloatMode: 240
; IeeeMode: 1
; LDSByteSize: 512 bytes/workgroup (compile time only)
; SGPRBlocks: 2
; VGPRBlocks: 2
; NumSGPRsForWavesPerEU: 24
; NumVGPRsForWavesPerEU: 12
; Occupancy: 10
; WaveLimiterHint : 0
; COMPUTE_PGM_RSRC2:SCRATCH_EN: 0
; COMPUTE_PGM_RSRC2:USER_SGPR: 6
; COMPUTE_PGM_RSRC2:TRAP_HANDLER: 0
; COMPUTE_PGM_RSRC2:TGID_X_EN: 1
; COMPUTE_PGM_RSRC2:TGID_Y_EN: 0
; COMPUTE_PGM_RSRC2:TGID_Z_EN: 1
; COMPUTE_PGM_RSRC2:TIDIG_COMP_CNT: 0
	.section	.text._ZL23rocblas_dot_kernel_inc1ILb0ELi512ELi2ELb0EdPKPKddEviT4_llS4_lliPT5_PT3_,"axG",@progbits,_ZL23rocblas_dot_kernel_inc1ILb0ELi512ELi2ELb0EdPKPKddEviT4_llS4_lliPT5_PT3_,comdat
	.globl	_ZL23rocblas_dot_kernel_inc1ILb0ELi512ELi2ELb0EdPKPKddEviT4_llS4_lliPT5_PT3_ ; -- Begin function _ZL23rocblas_dot_kernel_inc1ILb0ELi512ELi2ELb0EdPKPKddEviT4_llS4_lliPT5_PT3_
	.p2align	8
	.type	_ZL23rocblas_dot_kernel_inc1ILb0ELi512ELi2ELb0EdPKPKddEviT4_llS4_lliPT5_PT3_,@function
_ZL23rocblas_dot_kernel_inc1ILb0ELi512ELi2ELb0EdPKPKddEviT4_llS4_lliPT5_PT3_: ; @_ZL23rocblas_dot_kernel_inc1ILb0ELi512ELi2ELb0EdPKPKddEviT4_llS4_lliPT5_PT3_
; %bb.0:
	s_mov_b32 s2, s7
	s_load_dword s7, s[4:5], 0x0
	s_load_dword s10, s[4:5], 0x50
	v_lshl_or_b32 v3, s6, 9, v0
	v_mov_b32_e32 v1, 0
	s_mov_b32 s3, 0
	v_mov_b32_e32 v2, 0
	s_waitcnt lgkmcnt(0)
	v_cmp_gt_i32_e32 vcc, s7, v3
	s_and_saveexec_b64 s[0:1], vcc
	s_cbranch_execz .LBB99_4
; %bb.1:
	s_load_dwordx4 s[12:15], s[4:5], 0x8
	s_load_dwordx4 s[16:19], s[4:5], 0x20
	s_lshl_b64 s[8:9], s[2:3], 3
	v_ashrrev_i32_e32 v4, 31, v3
	v_lshlrev_b64 v[1:2], 3, v[3:4]
	s_waitcnt lgkmcnt(0)
	s_add_u32 s12, s12, s8
	s_addc_u32 s13, s13, s9
	s_load_dwordx2 s[12:13], s[12:13], 0x0
	s_lshl_b64 s[14:15], s[14:15], 3
	s_waitcnt lgkmcnt(0)
	s_add_u32 s11, s12, s14
	s_addc_u32 s12, s13, s15
	s_add_u32 s8, s16, s8
	s_addc_u32 s9, s17, s9
	s_load_dwordx2 s[8:9], s[8:9], 0x0
	s_lshl_b64 s[14:15], s[18:19], 3
	v_mov_b32_e32 v5, s12
	s_waitcnt lgkmcnt(0)
	s_add_u32 s13, s8, s14
	s_addc_u32 s14, s9, s15
	v_mov_b32_e32 v4, s14
	v_add_co_u32_e32 v3, vcc, s13, v1
	v_addc_co_u32_e32 v4, vcc, v4, v2, vcc
	v_add_co_u32_e32 v1, vcc, s11, v1
	v_addc_co_u32_e32 v2, vcc, v5, v2, vcc
	flat_load_dwordx2 v[3:4], v[3:4]
	s_add_i32 s8, s6, s10
	flat_load_dwordx2 v[1:2], v[1:2]
	s_waitcnt vmcnt(0) lgkmcnt(0)
	v_fma_f64 v[1:2], v[3:4], v[1:2], 0
	v_lshl_or_b32 v3, s8, 9, v0
	v_cmp_gt_i32_e32 vcc, s7, v3
	s_and_saveexec_b64 s[8:9], vcc
	s_cbranch_execz .LBB99_3
; %bb.2:
	v_ashrrev_i32_e32 v4, 31, v3
	v_lshlrev_b64 v[3:4], 3, v[3:4]
	v_mov_b32_e32 v6, s14
	v_add_co_u32_e32 v5, vcc, s13, v3
	v_addc_co_u32_e32 v6, vcc, v6, v4, vcc
	v_mov_b32_e32 v7, s12
	v_add_co_u32_e32 v3, vcc, s11, v3
	v_addc_co_u32_e32 v4, vcc, v7, v4, vcc
	flat_load_dwordx2 v[5:6], v[5:6]
	s_nop 0
	flat_load_dwordx2 v[3:4], v[3:4]
	s_waitcnt vmcnt(0) lgkmcnt(0)
	v_fma_f64 v[1:2], v[5:6], v[3:4], v[1:2]
.LBB99_3:
	s_or_b64 exec, exec, s[8:9]
.LBB99_4:
	s_or_b64 exec, exec, s[0:1]
	v_and_b32_e32 v6, 63, v0
	v_cmp_gt_u32_e32 vcc, 64, v0
	v_lshlrev_b32_e32 v5, 3, v6
	s_and_saveexec_b64 s[0:1], vcc
; %bb.5:
	v_mov_b32_e32 v3, 0
	v_mov_b32_e32 v4, v3
	ds_write_b64 v5, v[3:4]
; %bb.6:
	s_or_b64 exec, exec, s[0:1]
	v_mbcnt_lo_u32_b32 v3, -1, 0
	v_mbcnt_hi_u32_b32 v9, -1, v3
	v_mov_b32_e32 v3, 0x80
	v_lshl_or_b32 v4, v9, 2, v3
	ds_bpermute_b32 v3, v4, v1
	ds_bpermute_b32 v4, v4, v2
	v_and_b32_e32 v10, 63, v9
	v_cmp_gt_u32_e64 s[0:1], 48, v10
	s_waitcnt lgkmcnt(0)
	s_barrier
	v_add_f64 v[1:2], v[1:2], v[3:4]
	v_cndmask_b32_e64 v3, 0, 16, s[0:1]
	v_add_lshl_u32 v4, v3, v9, 2
	v_cmp_gt_u32_e64 s[0:1], 56, v10
	ds_bpermute_b32 v3, v4, v1
	ds_bpermute_b32 v4, v4, v2
	s_waitcnt lgkmcnt(0)
	v_add_f64 v[1:2], v[1:2], v[3:4]
	v_cndmask_b32_e64 v3, 0, 8, s[0:1]
	v_add_lshl_u32 v4, v3, v9, 2
	v_cmp_gt_u32_e64 s[0:1], 60, v10
	ds_bpermute_b32 v3, v4, v1
	ds_bpermute_b32 v4, v4, v2
	s_waitcnt lgkmcnt(0)
	;; [unrolled: 7-line block ×3, first 2 shown]
	v_add_f64 v[1:2], v[1:2], v[3:4]
	v_cndmask_b32_e64 v3, 0, 2, s[0:1]
	v_add_lshl_u32 v8, v3, v9, 2
	v_cmp_ne_u32_e64 s[0:1], 63, v10
	ds_bpermute_b32 v3, v8, v1
	ds_bpermute_b32 v4, v8, v2
	s_waitcnt lgkmcnt(0)
	v_add_f64 v[1:2], v[1:2], v[3:4]
	v_addc_co_u32_e64 v3, s[0:1], 0, v9, s[0:1]
	v_lshlrev_b32_e32 v9, 2, v3
	v_cmp_eq_u32_e64 s[0:1], 0, v6
	ds_bpermute_b32 v3, v9, v1
	ds_bpermute_b32 v4, v9, v2
	s_and_saveexec_b64 s[8:9], s[0:1]
	s_cbranch_execz .LBB99_8
; %bb.7:
	s_waitcnt lgkmcnt(0)
	v_add_f64 v[1:2], v[1:2], v[3:4]
	v_lshrrev_b32_e32 v3, 3, v0
	v_and_b32_e32 v3, 56, v3
	ds_write_b64 v3, v[1:2]
.LBB99_8:
	s_or_b64 exec, exec, s[8:9]
	v_mov_b32_e32 v1, 0
	v_mov_b32_e32 v2, 0
	v_cmp_gt_u32_e64 s[0:1], 8, v0
	s_waitcnt lgkmcnt(0)
	s_barrier
	s_and_saveexec_b64 s[8:9], s[0:1]
	s_cbranch_execnz .LBB99_12
; %bb.9:
	s_or_b64 exec, exec, s[8:9]
	s_and_saveexec_b64 s[0:1], vcc
	s_cbranch_execnz .LBB99_13
.LBB99_10:
	s_or_b64 exec, exec, s[0:1]
	v_cmp_eq_u32_e32 vcc, 0, v0
	s_and_saveexec_b64 s[0:1], vcc
	s_cbranch_execnz .LBB99_14
.LBB99_11:
	s_endpgm
.LBB99_12:
	ds_read_b64 v[1:2], v5
	s_or_b64 exec, exec, s[8:9]
	s_and_saveexec_b64 s[0:1], vcc
	s_cbranch_execz .LBB99_10
.LBB99_13:
	s_waitcnt lgkmcnt(0)
	ds_bpermute_b32 v3, v7, v1
	ds_bpermute_b32 v4, v7, v2
	s_waitcnt lgkmcnt(0)
	v_add_f64 v[1:2], v[1:2], v[3:4]
	ds_bpermute_b32 v3, v8, v1
	ds_bpermute_b32 v4, v8, v2
	s_waitcnt lgkmcnt(0)
	v_add_f64 v[1:2], v[1:2], v[3:4]
	;; [unrolled: 4-line block ×3, first 2 shown]
	s_or_b64 exec, exec, s[0:1]
	v_cmp_eq_u32_e32 vcc, 0, v0
	s_and_saveexec_b64 s[0:1], vcc
	s_cbranch_execz .LBB99_11
.LBB99_14:
	s_cmp_lg_u32 s10, 1
	s_mov_b64 s[0:1], -1
	s_cbranch_scc0 .LBB99_16
; %bb.15:
	s_load_dwordx2 s[0:1], s[4:5], 0x40
	s_mul_hi_u32 s9, s10, s2
	s_mul_i32 s8, s10, s2
	s_lshl_b64 s[8:9], s[8:9], 3
	s_mov_b32 s7, 0
	s_waitcnt lgkmcnt(0)
	s_add_u32 s8, s0, s8
	s_addc_u32 s9, s1, s9
	s_lshl_b64 s[0:1], s[6:7], 3
	s_add_u32 s0, s8, s0
	s_addc_u32 s1, s9, s1
	v_mov_b32_e32 v0, 0
	global_store_dwordx2 v0, v[1:2], s[0:1]
	s_mov_b64 s[0:1], 0
.LBB99_16:
	s_andn2_b64 vcc, exec, s[0:1]
	s_cbranch_vccnz .LBB99_11
; %bb.17:
	s_load_dwordx2 s[0:1], s[4:5], 0x48
	s_lshl_b64 s[2:3], s[2:3], 3
	v_mov_b32_e32 v0, 0
	s_waitcnt lgkmcnt(0)
	s_add_u32 s0, s0, s2
	s_addc_u32 s1, s1, s3
	global_store_dwordx2 v0, v[1:2], s[0:1]
	s_endpgm
	.section	.rodata,"a",@progbits
	.p2align	6, 0x0
	.amdhsa_kernel _ZL23rocblas_dot_kernel_inc1ILb0ELi512ELi2ELb0EdPKPKddEviT4_llS4_lliPT5_PT3_
		.amdhsa_group_segment_fixed_size 512
		.amdhsa_private_segment_fixed_size 0
		.amdhsa_kernarg_size 336
		.amdhsa_user_sgpr_count 6
		.amdhsa_user_sgpr_private_segment_buffer 1
		.amdhsa_user_sgpr_dispatch_ptr 0
		.amdhsa_user_sgpr_queue_ptr 0
		.amdhsa_user_sgpr_kernarg_segment_ptr 1
		.amdhsa_user_sgpr_dispatch_id 0
		.amdhsa_user_sgpr_flat_scratch_init 0
		.amdhsa_user_sgpr_private_segment_size 0
		.amdhsa_uses_dynamic_stack 0
		.amdhsa_system_sgpr_private_segment_wavefront_offset 0
		.amdhsa_system_sgpr_workgroup_id_x 1
		.amdhsa_system_sgpr_workgroup_id_y 0
		.amdhsa_system_sgpr_workgroup_id_z 1
		.amdhsa_system_sgpr_workgroup_info 0
		.amdhsa_system_vgpr_workitem_id 0
		.amdhsa_next_free_vgpr 11
		.amdhsa_next_free_sgpr 20
		.amdhsa_reserve_vcc 1
		.amdhsa_reserve_flat_scratch 0
		.amdhsa_float_round_mode_32 0
		.amdhsa_float_round_mode_16_64 0
		.amdhsa_float_denorm_mode_32 3
		.amdhsa_float_denorm_mode_16_64 3
		.amdhsa_dx10_clamp 1
		.amdhsa_ieee_mode 1
		.amdhsa_fp16_overflow 0
		.amdhsa_exception_fp_ieee_invalid_op 0
		.amdhsa_exception_fp_denorm_src 0
		.amdhsa_exception_fp_ieee_div_zero 0
		.amdhsa_exception_fp_ieee_overflow 0
		.amdhsa_exception_fp_ieee_underflow 0
		.amdhsa_exception_fp_ieee_inexact 0
		.amdhsa_exception_int_div_zero 0
	.end_amdhsa_kernel
	.section	.text._ZL23rocblas_dot_kernel_inc1ILb0ELi512ELi2ELb0EdPKPKddEviT4_llS4_lliPT5_PT3_,"axG",@progbits,_ZL23rocblas_dot_kernel_inc1ILb0ELi512ELi2ELb0EdPKPKddEviT4_llS4_lliPT5_PT3_,comdat
.Lfunc_end99:
	.size	_ZL23rocblas_dot_kernel_inc1ILb0ELi512ELi2ELb0EdPKPKddEviT4_llS4_lliPT5_PT3_, .Lfunc_end99-_ZL23rocblas_dot_kernel_inc1ILb0ELi512ELi2ELb0EdPKPKddEviT4_llS4_lliPT5_PT3_
                                        ; -- End function
	.set _ZL23rocblas_dot_kernel_inc1ILb0ELi512ELi2ELb0EdPKPKddEviT4_llS4_lliPT5_PT3_.num_vgpr, 11
	.set _ZL23rocblas_dot_kernel_inc1ILb0ELi512ELi2ELb0EdPKPKddEviT4_llS4_lliPT5_PT3_.num_agpr, 0
	.set _ZL23rocblas_dot_kernel_inc1ILb0ELi512ELi2ELb0EdPKPKddEviT4_llS4_lliPT5_PT3_.numbered_sgpr, 20
	.set _ZL23rocblas_dot_kernel_inc1ILb0ELi512ELi2ELb0EdPKPKddEviT4_llS4_lliPT5_PT3_.num_named_barrier, 0
	.set _ZL23rocblas_dot_kernel_inc1ILb0ELi512ELi2ELb0EdPKPKddEviT4_llS4_lliPT5_PT3_.private_seg_size, 0
	.set _ZL23rocblas_dot_kernel_inc1ILb0ELi512ELi2ELb0EdPKPKddEviT4_llS4_lliPT5_PT3_.uses_vcc, 1
	.set _ZL23rocblas_dot_kernel_inc1ILb0ELi512ELi2ELb0EdPKPKddEviT4_llS4_lliPT5_PT3_.uses_flat_scratch, 0
	.set _ZL23rocblas_dot_kernel_inc1ILb0ELi512ELi2ELb0EdPKPKddEviT4_llS4_lliPT5_PT3_.has_dyn_sized_stack, 0
	.set _ZL23rocblas_dot_kernel_inc1ILb0ELi512ELi2ELb0EdPKPKddEviT4_llS4_lliPT5_PT3_.has_recursion, 0
	.set _ZL23rocblas_dot_kernel_inc1ILb0ELi512ELi2ELb0EdPKPKddEviT4_llS4_lliPT5_PT3_.has_indirect_call, 0
	.section	.AMDGPU.csdata,"",@progbits
; Kernel info:
; codeLenInByte = 1016
; TotalNumSgprs: 24
; NumVgprs: 11
; ScratchSize: 0
; MemoryBound: 0
; FloatMode: 240
; IeeeMode: 1
; LDSByteSize: 512 bytes/workgroup (compile time only)
; SGPRBlocks: 2
; VGPRBlocks: 2
; NumSGPRsForWavesPerEU: 24
; NumVGPRsForWavesPerEU: 11
; Occupancy: 10
; WaveLimiterHint : 1
; COMPUTE_PGM_RSRC2:SCRATCH_EN: 0
; COMPUTE_PGM_RSRC2:USER_SGPR: 6
; COMPUTE_PGM_RSRC2:TRAP_HANDLER: 0
; COMPUTE_PGM_RSRC2:TGID_X_EN: 1
; COMPUTE_PGM_RSRC2:TGID_Y_EN: 0
; COMPUTE_PGM_RSRC2:TGID_Z_EN: 1
; COMPUTE_PGM_RSRC2:TIDIG_COMP_CNT: 0
	.section	.text._ZL18rocblas_dot_kernelIiLb0ELi512ELi2ELb0EdPKPKddEviT5_lT_lS4_lS5_liPT6_PT4_,"axG",@progbits,_ZL18rocblas_dot_kernelIiLb0ELi512ELi2ELb0EdPKPKddEviT5_lT_lS4_lS5_liPT6_PT4_,comdat
	.globl	_ZL18rocblas_dot_kernelIiLb0ELi512ELi2ELb0EdPKPKddEviT5_lT_lS4_lS5_liPT6_PT4_ ; -- Begin function _ZL18rocblas_dot_kernelIiLb0ELi512ELi2ELb0EdPKPKddEviT5_lT_lS4_lS5_liPT6_PT4_
	.p2align	8
	.type	_ZL18rocblas_dot_kernelIiLb0ELi512ELi2ELb0EdPKPKddEviT5_lT_lS4_lS5_liPT6_PT4_,@function
_ZL18rocblas_dot_kernelIiLb0ELi512ELi2ELb0EdPKPKddEviT5_lT_lS4_lS5_liPT6_PT4_: ; @_ZL18rocblas_dot_kernelIiLb0ELi512ELi2ELb0EdPKPKddEviT5_lT_lS4_lS5_liPT6_PT4_
; %bb.0:
	s_mov_b32 s2, s7
	s_load_dword s7, s[4:5], 0x0
	s_load_dword s10, s[4:5], 0x60
	v_lshl_or_b32 v3, s6, 9, v0
	v_mov_b32_e32 v1, 0
	s_mov_b32 s3, 0
	v_mov_b32_e32 v2, 0
	s_waitcnt lgkmcnt(0)
	v_cmp_gt_i32_e32 vcc, s7, v3
	s_and_saveexec_b64 s[0:1], vcc
	s_cbranch_execz .LBB100_4
; %bb.1:
	s_load_dwordx4 s[16:19], s[4:5], 0x8
	s_load_dword s11, s[4:5], 0x18
	s_load_dword s12, s[4:5], 0x38
	s_lshl_b64 s[8:9], s[2:3], 3
	s_waitcnt lgkmcnt(0)
	s_add_u32 s14, s16, s8
	s_addc_u32 s15, s17, s9
	s_load_dwordx2 s[16:17], s[14:15], 0x0
	s_load_dwordx4 s[20:23], s[4:5], 0x28
	v_mad_i64_i32 v[1:2], s[14:15], v3, s12, 0
	s_lshl_b64 s[14:15], s[18:19], 3
	s_waitcnt lgkmcnt(0)
	s_add_u32 s13, s16, s14
	s_addc_u32 s14, s17, s15
	s_add_u32 s8, s20, s8
	s_addc_u32 s9, s21, s9
	s_load_dwordx2 s[8:9], s[8:9], 0x0
	v_mad_i64_i32 v[3:4], s[16:17], v3, s11, 0
	s_lshl_b64 s[16:17], s[22:23], 3
	v_lshlrev_b64 v[1:2], 3, v[1:2]
	s_waitcnt lgkmcnt(0)
	s_add_u32 s15, s8, s16
	s_addc_u32 s16, s9, s17
	v_mov_b32_e32 v5, s16
	v_add_co_u32_e32 v1, vcc, s15, v1
	v_lshlrev_b64 v[3:4], 3, v[3:4]
	v_addc_co_u32_e32 v2, vcc, v5, v2, vcc
	v_mov_b32_e32 v5, s14
	v_add_co_u32_e32 v3, vcc, s13, v3
	v_addc_co_u32_e32 v4, vcc, v5, v4, vcc
	flat_load_dwordx2 v[1:2], v[1:2]
	s_add_i32 s8, s6, s10
	flat_load_dwordx2 v[3:4], v[3:4]
	s_waitcnt vmcnt(0) lgkmcnt(0)
	v_fma_f64 v[1:2], v[1:2], v[3:4], 0
	v_lshl_or_b32 v3, s8, 9, v0
	v_cmp_gt_i32_e32 vcc, s7, v3
	s_and_saveexec_b64 s[8:9], vcc
	s_cbranch_execz .LBB100_3
; %bb.2:
	v_mad_i64_i32 v[4:5], s[18:19], v3, s12, 0
	v_mov_b32_e32 v8, s16
	v_mad_i64_i32 v[6:7], s[16:17], v3, s11, 0
	v_lshlrev_b64 v[4:5], 3, v[4:5]
	v_add_co_u32_e32 v3, vcc, s15, v4
	v_addc_co_u32_e32 v4, vcc, v8, v5, vcc
	v_lshlrev_b64 v[5:6], 3, v[6:7]
	v_mov_b32_e32 v7, s14
	v_add_co_u32_e32 v5, vcc, s13, v5
	v_addc_co_u32_e32 v6, vcc, v7, v6, vcc
	flat_load_dwordx2 v[3:4], v[3:4]
	s_nop 0
	flat_load_dwordx2 v[5:6], v[5:6]
	s_waitcnt vmcnt(0) lgkmcnt(0)
	v_fma_f64 v[1:2], v[3:4], v[5:6], v[1:2]
.LBB100_3:
	s_or_b64 exec, exec, s[8:9]
.LBB100_4:
	s_or_b64 exec, exec, s[0:1]
	v_and_b32_e32 v6, 63, v0
	v_cmp_gt_u32_e32 vcc, 64, v0
	v_lshlrev_b32_e32 v5, 3, v6
	s_and_saveexec_b64 s[0:1], vcc
; %bb.5:
	v_mov_b32_e32 v3, 0
	v_mov_b32_e32 v4, v3
	ds_write_b64 v5, v[3:4]
; %bb.6:
	s_or_b64 exec, exec, s[0:1]
	v_mbcnt_lo_u32_b32 v3, -1, 0
	v_mbcnt_hi_u32_b32 v9, -1, v3
	v_mov_b32_e32 v3, 0x80
	v_lshl_or_b32 v4, v9, 2, v3
	ds_bpermute_b32 v3, v4, v1
	ds_bpermute_b32 v4, v4, v2
	v_and_b32_e32 v10, 63, v9
	v_cmp_gt_u32_e64 s[0:1], 48, v10
	s_waitcnt lgkmcnt(0)
	s_barrier
	v_add_f64 v[1:2], v[1:2], v[3:4]
	v_cndmask_b32_e64 v3, 0, 16, s[0:1]
	v_add_lshl_u32 v4, v3, v9, 2
	v_cmp_gt_u32_e64 s[0:1], 56, v10
	ds_bpermute_b32 v3, v4, v1
	ds_bpermute_b32 v4, v4, v2
	s_waitcnt lgkmcnt(0)
	v_add_f64 v[1:2], v[1:2], v[3:4]
	v_cndmask_b32_e64 v3, 0, 8, s[0:1]
	v_add_lshl_u32 v4, v3, v9, 2
	v_cmp_gt_u32_e64 s[0:1], 60, v10
	ds_bpermute_b32 v3, v4, v1
	ds_bpermute_b32 v4, v4, v2
	s_waitcnt lgkmcnt(0)
	;; [unrolled: 7-line block ×3, first 2 shown]
	v_add_f64 v[1:2], v[1:2], v[3:4]
	v_cndmask_b32_e64 v3, 0, 2, s[0:1]
	v_add_lshl_u32 v8, v3, v9, 2
	v_cmp_ne_u32_e64 s[0:1], 63, v10
	ds_bpermute_b32 v3, v8, v1
	ds_bpermute_b32 v4, v8, v2
	s_waitcnt lgkmcnt(0)
	v_add_f64 v[1:2], v[1:2], v[3:4]
	v_addc_co_u32_e64 v3, s[0:1], 0, v9, s[0:1]
	v_lshlrev_b32_e32 v9, 2, v3
	v_cmp_eq_u32_e64 s[0:1], 0, v6
	ds_bpermute_b32 v3, v9, v1
	ds_bpermute_b32 v4, v9, v2
	s_and_saveexec_b64 s[8:9], s[0:1]
	s_cbranch_execz .LBB100_8
; %bb.7:
	s_waitcnt lgkmcnt(0)
	v_add_f64 v[1:2], v[1:2], v[3:4]
	v_lshrrev_b32_e32 v3, 3, v0
	v_and_b32_e32 v3, 56, v3
	ds_write_b64 v3, v[1:2]
.LBB100_8:
	s_or_b64 exec, exec, s[8:9]
	v_mov_b32_e32 v1, 0
	v_mov_b32_e32 v2, 0
	v_cmp_gt_u32_e64 s[0:1], 8, v0
	s_waitcnt lgkmcnt(0)
	s_barrier
	s_and_saveexec_b64 s[8:9], s[0:1]
	s_cbranch_execnz .LBB100_12
; %bb.9:
	s_or_b64 exec, exec, s[8:9]
	s_and_saveexec_b64 s[0:1], vcc
	s_cbranch_execnz .LBB100_13
.LBB100_10:
	s_or_b64 exec, exec, s[0:1]
	v_cmp_eq_u32_e32 vcc, 0, v0
	s_and_saveexec_b64 s[0:1], vcc
	s_cbranch_execnz .LBB100_14
.LBB100_11:
	s_endpgm
.LBB100_12:
	ds_read_b64 v[1:2], v5
	s_or_b64 exec, exec, s[8:9]
	s_and_saveexec_b64 s[0:1], vcc
	s_cbranch_execz .LBB100_10
.LBB100_13:
	s_waitcnt lgkmcnt(0)
	ds_bpermute_b32 v3, v7, v1
	ds_bpermute_b32 v4, v7, v2
	s_waitcnt lgkmcnt(0)
	v_add_f64 v[1:2], v[1:2], v[3:4]
	ds_bpermute_b32 v3, v8, v1
	ds_bpermute_b32 v4, v8, v2
	s_waitcnt lgkmcnt(0)
	v_add_f64 v[1:2], v[1:2], v[3:4]
	ds_bpermute_b32 v3, v9, v1
	ds_bpermute_b32 v4, v9, v2
	s_waitcnt lgkmcnt(0)
	v_add_f64 v[1:2], v[1:2], v[3:4]
	s_or_b64 exec, exec, s[0:1]
	v_cmp_eq_u32_e32 vcc, 0, v0
	s_and_saveexec_b64 s[0:1], vcc
	s_cbranch_execz .LBB100_11
.LBB100_14:
	s_cmp_lg_u32 s10, 1
	s_mov_b64 s[0:1], -1
	s_cbranch_scc0 .LBB100_16
; %bb.15:
	s_load_dwordx2 s[0:1], s[4:5], 0x50
	s_mul_hi_u32 s9, s10, s2
	s_mul_i32 s8, s10, s2
	s_lshl_b64 s[8:9], s[8:9], 3
	s_mov_b32 s7, 0
	s_waitcnt lgkmcnt(0)
	s_add_u32 s8, s0, s8
	s_addc_u32 s9, s1, s9
	s_lshl_b64 s[0:1], s[6:7], 3
	s_add_u32 s0, s8, s0
	s_addc_u32 s1, s9, s1
	v_mov_b32_e32 v0, 0
	global_store_dwordx2 v0, v[1:2], s[0:1]
	s_mov_b64 s[0:1], 0
.LBB100_16:
	s_andn2_b64 vcc, exec, s[0:1]
	s_cbranch_vccnz .LBB100_11
; %bb.17:
	s_load_dwordx2 s[0:1], s[4:5], 0x58
	s_lshl_b64 s[2:3], s[2:3], 3
	v_mov_b32_e32 v0, 0
	s_waitcnt lgkmcnt(0)
	s_add_u32 s0, s0, s2
	s_addc_u32 s1, s1, s3
	global_store_dwordx2 v0, v[1:2], s[0:1]
	s_endpgm
	.section	.rodata,"a",@progbits
	.p2align	6, 0x0
	.amdhsa_kernel _ZL18rocblas_dot_kernelIiLb0ELi512ELi2ELb0EdPKPKddEviT5_lT_lS4_lS5_liPT6_PT4_
		.amdhsa_group_segment_fixed_size 512
		.amdhsa_private_segment_fixed_size 0
		.amdhsa_kernarg_size 352
		.amdhsa_user_sgpr_count 6
		.amdhsa_user_sgpr_private_segment_buffer 1
		.amdhsa_user_sgpr_dispatch_ptr 0
		.amdhsa_user_sgpr_queue_ptr 0
		.amdhsa_user_sgpr_kernarg_segment_ptr 1
		.amdhsa_user_sgpr_dispatch_id 0
		.amdhsa_user_sgpr_flat_scratch_init 0
		.amdhsa_user_sgpr_private_segment_size 0
		.amdhsa_uses_dynamic_stack 0
		.amdhsa_system_sgpr_private_segment_wavefront_offset 0
		.amdhsa_system_sgpr_workgroup_id_x 1
		.amdhsa_system_sgpr_workgroup_id_y 0
		.amdhsa_system_sgpr_workgroup_id_z 1
		.amdhsa_system_sgpr_workgroup_info 0
		.amdhsa_system_vgpr_workitem_id 0
		.amdhsa_next_free_vgpr 11
		.amdhsa_next_free_sgpr 24
		.amdhsa_reserve_vcc 1
		.amdhsa_reserve_flat_scratch 0
		.amdhsa_float_round_mode_32 0
		.amdhsa_float_round_mode_16_64 0
		.amdhsa_float_denorm_mode_32 3
		.amdhsa_float_denorm_mode_16_64 3
		.amdhsa_dx10_clamp 1
		.amdhsa_ieee_mode 1
		.amdhsa_fp16_overflow 0
		.amdhsa_exception_fp_ieee_invalid_op 0
		.amdhsa_exception_fp_denorm_src 0
		.amdhsa_exception_fp_ieee_div_zero 0
		.amdhsa_exception_fp_ieee_overflow 0
		.amdhsa_exception_fp_ieee_underflow 0
		.amdhsa_exception_fp_ieee_inexact 0
		.amdhsa_exception_int_div_zero 0
	.end_amdhsa_kernel
	.section	.text._ZL18rocblas_dot_kernelIiLb0ELi512ELi2ELb0EdPKPKddEviT5_lT_lS4_lS5_liPT6_PT4_,"axG",@progbits,_ZL18rocblas_dot_kernelIiLb0ELi512ELi2ELb0EdPKPKddEviT5_lT_lS4_lS5_liPT6_PT4_,comdat
.Lfunc_end100:
	.size	_ZL18rocblas_dot_kernelIiLb0ELi512ELi2ELb0EdPKPKddEviT5_lT_lS4_lS5_liPT6_PT4_, .Lfunc_end100-_ZL18rocblas_dot_kernelIiLb0ELi512ELi2ELb0EdPKPKddEviT5_lT_lS4_lS5_liPT6_PT4_
                                        ; -- End function
	.set _ZL18rocblas_dot_kernelIiLb0ELi512ELi2ELb0EdPKPKddEviT5_lT_lS4_lS5_liPT6_PT4_.num_vgpr, 11
	.set _ZL18rocblas_dot_kernelIiLb0ELi512ELi2ELb0EdPKPKddEviT5_lT_lS4_lS5_liPT6_PT4_.num_agpr, 0
	.set _ZL18rocblas_dot_kernelIiLb0ELi512ELi2ELb0EdPKPKddEviT5_lT_lS4_lS5_liPT6_PT4_.numbered_sgpr, 24
	.set _ZL18rocblas_dot_kernelIiLb0ELi512ELi2ELb0EdPKPKddEviT5_lT_lS4_lS5_liPT6_PT4_.num_named_barrier, 0
	.set _ZL18rocblas_dot_kernelIiLb0ELi512ELi2ELb0EdPKPKddEviT5_lT_lS4_lS5_liPT6_PT4_.private_seg_size, 0
	.set _ZL18rocblas_dot_kernelIiLb0ELi512ELi2ELb0EdPKPKddEviT5_lT_lS4_lS5_liPT6_PT4_.uses_vcc, 1
	.set _ZL18rocblas_dot_kernelIiLb0ELi512ELi2ELb0EdPKPKddEviT5_lT_lS4_lS5_liPT6_PT4_.uses_flat_scratch, 0
	.set _ZL18rocblas_dot_kernelIiLb0ELi512ELi2ELb0EdPKPKddEviT5_lT_lS4_lS5_liPT6_PT4_.has_dyn_sized_stack, 0
	.set _ZL18rocblas_dot_kernelIiLb0ELi512ELi2ELb0EdPKPKddEviT5_lT_lS4_lS5_liPT6_PT4_.has_recursion, 0
	.set _ZL18rocblas_dot_kernelIiLb0ELi512ELi2ELb0EdPKPKddEviT5_lT_lS4_lS5_liPT6_PT4_.has_indirect_call, 0
	.section	.AMDGPU.csdata,"",@progbits
; Kernel info:
; codeLenInByte = 1072
; TotalNumSgprs: 28
; NumVgprs: 11
; ScratchSize: 0
; MemoryBound: 0
; FloatMode: 240
; IeeeMode: 1
; LDSByteSize: 512 bytes/workgroup (compile time only)
; SGPRBlocks: 3
; VGPRBlocks: 2
; NumSGPRsForWavesPerEU: 28
; NumVGPRsForWavesPerEU: 11
; Occupancy: 10
; WaveLimiterHint : 1
; COMPUTE_PGM_RSRC2:SCRATCH_EN: 0
; COMPUTE_PGM_RSRC2:USER_SGPR: 6
; COMPUTE_PGM_RSRC2:TRAP_HANDLER: 0
; COMPUTE_PGM_RSRC2:TGID_X_EN: 1
; COMPUTE_PGM_RSRC2:TGID_Y_EN: 0
; COMPUTE_PGM_RSRC2:TGID_Z_EN: 1
; COMPUTE_PGM_RSRC2:TIDIG_COMP_CNT: 0
	.section	.text._ZL24rocblas_dot_kernel_magsqIiLb0ELi512ELi2ELb0EdPKPKddEviT5_lT_liPT6_PT4_,"axG",@progbits,_ZL24rocblas_dot_kernel_magsqIiLb0ELi512ELi2ELb0EdPKPKddEviT5_lT_liPT6_PT4_,comdat
	.globl	_ZL24rocblas_dot_kernel_magsqIiLb0ELi512ELi2ELb0EdPKPKddEviT5_lT_liPT6_PT4_ ; -- Begin function _ZL24rocblas_dot_kernel_magsqIiLb0ELi512ELi2ELb0EdPKPKddEviT5_lT_liPT6_PT4_
	.p2align	8
	.type	_ZL24rocblas_dot_kernel_magsqIiLb0ELi512ELi2ELb0EdPKPKddEviT5_lT_liPT6_PT4_,@function
_ZL24rocblas_dot_kernel_magsqIiLb0ELi512ELi2ELb0EdPKPKddEviT5_lT_liPT6_PT4_: ; @_ZL24rocblas_dot_kernel_magsqIiLb0ELi512ELi2ELb0EdPKPKddEviT5_lT_liPT6_PT4_
; %bb.0:
	s_mov_b32 s2, s7
	s_load_dword s7, s[4:5], 0x0
	s_load_dword s10, s[4:5], 0x40
	v_lshl_or_b32 v3, s6, 9, v0
	v_mov_b32_e32 v1, 0
	s_mov_b32 s3, 0
	v_mov_b32_e32 v2, 0
	s_waitcnt lgkmcnt(0)
	v_cmp_gt_i32_e32 vcc, s7, v3
	s_and_saveexec_b64 s[0:1], vcc
	s_cbranch_execz .LBB101_4
; %bb.1:
	s_load_dwordx4 s[12:15], s[4:5], 0x8
	s_load_dword s11, s[4:5], 0x18
	s_lshl_b64 s[8:9], s[2:3], 3
	s_waitcnt lgkmcnt(0)
	s_add_u32 s8, s12, s8
	s_addc_u32 s9, s13, s9
	s_load_dwordx2 s[8:9], s[8:9], 0x0
	v_mad_i64_i32 v[1:2], s[16:17], v3, s11, 0
	s_lshl_b64 s[12:13], s[14:15], 3
	v_lshlrev_b64 v[1:2], 3, v[1:2]
	s_waitcnt lgkmcnt(0)
	s_add_u32 s12, s8, s12
	s_addc_u32 s13, s9, s13
	v_mov_b32_e32 v3, s13
	v_add_co_u32_e32 v1, vcc, s12, v1
	v_addc_co_u32_e32 v2, vcc, v3, v2, vcc
	flat_load_dwordx2 v[1:2], v[1:2]
	s_add_i32 s8, s6, s10
	v_lshl_or_b32 v3, s8, 9, v0
	v_cmp_gt_i32_e32 vcc, s7, v3
	s_waitcnt vmcnt(0) lgkmcnt(0)
	v_mul_f64 v[1:2], v[1:2], v[1:2]
	s_and_saveexec_b64 s[8:9], vcc
	s_cbranch_execz .LBB101_3
; %bb.2:
	v_mad_i64_i32 v[3:4], s[14:15], v3, s11, 0
	v_mov_b32_e32 v5, s13
	v_lshlrev_b64 v[3:4], 3, v[3:4]
	v_add_co_u32_e32 v3, vcc, s12, v3
	v_addc_co_u32_e32 v4, vcc, v5, v4, vcc
	flat_load_dwordx2 v[3:4], v[3:4]
	s_waitcnt vmcnt(0) lgkmcnt(0)
	v_fma_f64 v[1:2], v[3:4], v[3:4], v[1:2]
.LBB101_3:
	s_or_b64 exec, exec, s[8:9]
.LBB101_4:
	s_or_b64 exec, exec, s[0:1]
	v_and_b32_e32 v6, 63, v0
	v_cmp_gt_u32_e32 vcc, 64, v0
	v_lshlrev_b32_e32 v5, 3, v6
	s_and_saveexec_b64 s[0:1], vcc
; %bb.5:
	v_mov_b32_e32 v3, 0
	v_mov_b32_e32 v4, v3
	ds_write_b64 v5, v[3:4]
; %bb.6:
	s_or_b64 exec, exec, s[0:1]
	v_mbcnt_lo_u32_b32 v3, -1, 0
	v_mbcnt_hi_u32_b32 v9, -1, v3
	v_mov_b32_e32 v3, 0x80
	v_lshl_or_b32 v4, v9, 2, v3
	ds_bpermute_b32 v3, v4, v1
	ds_bpermute_b32 v4, v4, v2
	v_and_b32_e32 v10, 63, v9
	v_cmp_gt_u32_e64 s[0:1], 48, v10
	s_waitcnt lgkmcnt(0)
	s_barrier
	v_add_f64 v[1:2], v[1:2], v[3:4]
	v_cndmask_b32_e64 v3, 0, 16, s[0:1]
	v_add_lshl_u32 v4, v3, v9, 2
	v_cmp_gt_u32_e64 s[0:1], 56, v10
	ds_bpermute_b32 v3, v4, v1
	ds_bpermute_b32 v4, v4, v2
	s_waitcnt lgkmcnt(0)
	v_add_f64 v[1:2], v[1:2], v[3:4]
	v_cndmask_b32_e64 v3, 0, 8, s[0:1]
	v_add_lshl_u32 v4, v3, v9, 2
	v_cmp_gt_u32_e64 s[0:1], 60, v10
	ds_bpermute_b32 v3, v4, v1
	ds_bpermute_b32 v4, v4, v2
	s_waitcnt lgkmcnt(0)
	;; [unrolled: 7-line block ×3, first 2 shown]
	v_add_f64 v[1:2], v[1:2], v[3:4]
	v_cndmask_b32_e64 v3, 0, 2, s[0:1]
	v_add_lshl_u32 v8, v3, v9, 2
	v_cmp_ne_u32_e64 s[0:1], 63, v10
	ds_bpermute_b32 v3, v8, v1
	ds_bpermute_b32 v4, v8, v2
	s_waitcnt lgkmcnt(0)
	v_add_f64 v[1:2], v[1:2], v[3:4]
	v_addc_co_u32_e64 v3, s[0:1], 0, v9, s[0:1]
	v_lshlrev_b32_e32 v9, 2, v3
	v_cmp_eq_u32_e64 s[0:1], 0, v6
	ds_bpermute_b32 v3, v9, v1
	ds_bpermute_b32 v4, v9, v2
	s_and_saveexec_b64 s[8:9], s[0:1]
	s_cbranch_execz .LBB101_8
; %bb.7:
	s_waitcnt lgkmcnt(0)
	v_add_f64 v[1:2], v[1:2], v[3:4]
	v_lshrrev_b32_e32 v3, 3, v0
	v_and_b32_e32 v3, 56, v3
	ds_write_b64 v3, v[1:2]
.LBB101_8:
	s_or_b64 exec, exec, s[8:9]
	v_mov_b32_e32 v1, 0
	v_mov_b32_e32 v2, 0
	v_cmp_gt_u32_e64 s[0:1], 8, v0
	s_waitcnt lgkmcnt(0)
	s_barrier
	s_and_saveexec_b64 s[8:9], s[0:1]
	s_cbranch_execnz .LBB101_12
; %bb.9:
	s_or_b64 exec, exec, s[8:9]
	s_and_saveexec_b64 s[0:1], vcc
	s_cbranch_execnz .LBB101_13
.LBB101_10:
	s_or_b64 exec, exec, s[0:1]
	v_cmp_eq_u32_e32 vcc, 0, v0
	s_and_saveexec_b64 s[0:1], vcc
	s_cbranch_execnz .LBB101_14
.LBB101_11:
	s_endpgm
.LBB101_12:
	ds_read_b64 v[1:2], v5
	s_or_b64 exec, exec, s[8:9]
	s_and_saveexec_b64 s[0:1], vcc
	s_cbranch_execz .LBB101_10
.LBB101_13:
	s_waitcnt lgkmcnt(0)
	ds_bpermute_b32 v3, v7, v1
	ds_bpermute_b32 v4, v7, v2
	s_waitcnt lgkmcnt(0)
	v_add_f64 v[1:2], v[1:2], v[3:4]
	ds_bpermute_b32 v3, v8, v1
	ds_bpermute_b32 v4, v8, v2
	s_waitcnt lgkmcnt(0)
	v_add_f64 v[1:2], v[1:2], v[3:4]
	;; [unrolled: 4-line block ×3, first 2 shown]
	s_or_b64 exec, exec, s[0:1]
	v_cmp_eq_u32_e32 vcc, 0, v0
	s_and_saveexec_b64 s[0:1], vcc
	s_cbranch_execz .LBB101_11
.LBB101_14:
	s_cmp_lg_u32 s10, 1
	s_mov_b64 s[0:1], -1
	s_cbranch_scc0 .LBB101_16
; %bb.15:
	s_load_dwordx2 s[0:1], s[4:5], 0x30
	s_mul_hi_u32 s9, s10, s2
	s_mul_i32 s8, s10, s2
	s_lshl_b64 s[8:9], s[8:9], 3
	s_mov_b32 s7, 0
	s_waitcnt lgkmcnt(0)
	s_add_u32 s8, s0, s8
	s_addc_u32 s9, s1, s9
	s_lshl_b64 s[0:1], s[6:7], 3
	s_add_u32 s0, s8, s0
	s_addc_u32 s1, s9, s1
	v_mov_b32_e32 v0, 0
	global_store_dwordx2 v0, v[1:2], s[0:1]
	s_mov_b64 s[0:1], 0
.LBB101_16:
	s_andn2_b64 vcc, exec, s[0:1]
	s_cbranch_vccnz .LBB101_11
; %bb.17:
	s_load_dwordx2 s[0:1], s[4:5], 0x38
	s_lshl_b64 s[2:3], s[2:3], 3
	v_mov_b32_e32 v0, 0
	s_waitcnt lgkmcnt(0)
	s_add_u32 s0, s0, s2
	s_addc_u32 s1, s1, s3
	global_store_dwordx2 v0, v[1:2], s[0:1]
	s_endpgm
	.section	.rodata,"a",@progbits
	.p2align	6, 0x0
	.amdhsa_kernel _ZL24rocblas_dot_kernel_magsqIiLb0ELi512ELi2ELb0EdPKPKddEviT5_lT_liPT6_PT4_
		.amdhsa_group_segment_fixed_size 512
		.amdhsa_private_segment_fixed_size 0
		.amdhsa_kernarg_size 320
		.amdhsa_user_sgpr_count 6
		.amdhsa_user_sgpr_private_segment_buffer 1
		.amdhsa_user_sgpr_dispatch_ptr 0
		.amdhsa_user_sgpr_queue_ptr 0
		.amdhsa_user_sgpr_kernarg_segment_ptr 1
		.amdhsa_user_sgpr_dispatch_id 0
		.amdhsa_user_sgpr_flat_scratch_init 0
		.amdhsa_user_sgpr_private_segment_size 0
		.amdhsa_uses_dynamic_stack 0
		.amdhsa_system_sgpr_private_segment_wavefront_offset 0
		.amdhsa_system_sgpr_workgroup_id_x 1
		.amdhsa_system_sgpr_workgroup_id_y 0
		.amdhsa_system_sgpr_workgroup_id_z 1
		.amdhsa_system_sgpr_workgroup_info 0
		.amdhsa_system_vgpr_workitem_id 0
		.amdhsa_next_free_vgpr 11
		.amdhsa_next_free_sgpr 18
		.amdhsa_reserve_vcc 1
		.amdhsa_reserve_flat_scratch 0
		.amdhsa_float_round_mode_32 0
		.amdhsa_float_round_mode_16_64 0
		.amdhsa_float_denorm_mode_32 3
		.amdhsa_float_denorm_mode_16_64 3
		.amdhsa_dx10_clamp 1
		.amdhsa_ieee_mode 1
		.amdhsa_fp16_overflow 0
		.amdhsa_exception_fp_ieee_invalid_op 0
		.amdhsa_exception_fp_denorm_src 0
		.amdhsa_exception_fp_ieee_div_zero 0
		.amdhsa_exception_fp_ieee_overflow 0
		.amdhsa_exception_fp_ieee_underflow 0
		.amdhsa_exception_fp_ieee_inexact 0
		.amdhsa_exception_int_div_zero 0
	.end_amdhsa_kernel
	.section	.text._ZL24rocblas_dot_kernel_magsqIiLb0ELi512ELi2ELb0EdPKPKddEviT5_lT_liPT6_PT4_,"axG",@progbits,_ZL24rocblas_dot_kernel_magsqIiLb0ELi512ELi2ELb0EdPKPKddEviT5_lT_liPT6_PT4_,comdat
.Lfunc_end101:
	.size	_ZL24rocblas_dot_kernel_magsqIiLb0ELi512ELi2ELb0EdPKPKddEviT5_lT_liPT6_PT4_, .Lfunc_end101-_ZL24rocblas_dot_kernel_magsqIiLb0ELi512ELi2ELb0EdPKPKddEviT5_lT_liPT6_PT4_
                                        ; -- End function
	.set _ZL24rocblas_dot_kernel_magsqIiLb0ELi512ELi2ELb0EdPKPKddEviT5_lT_liPT6_PT4_.num_vgpr, 11
	.set _ZL24rocblas_dot_kernel_magsqIiLb0ELi512ELi2ELb0EdPKPKddEviT5_lT_liPT6_PT4_.num_agpr, 0
	.set _ZL24rocblas_dot_kernel_magsqIiLb0ELi512ELi2ELb0EdPKPKddEviT5_lT_liPT6_PT4_.numbered_sgpr, 18
	.set _ZL24rocblas_dot_kernel_magsqIiLb0ELi512ELi2ELb0EdPKPKddEviT5_lT_liPT6_PT4_.num_named_barrier, 0
	.set _ZL24rocblas_dot_kernel_magsqIiLb0ELi512ELi2ELb0EdPKPKddEviT5_lT_liPT6_PT4_.private_seg_size, 0
	.set _ZL24rocblas_dot_kernel_magsqIiLb0ELi512ELi2ELb0EdPKPKddEviT5_lT_liPT6_PT4_.uses_vcc, 1
	.set _ZL24rocblas_dot_kernel_magsqIiLb0ELi512ELi2ELb0EdPKPKddEviT5_lT_liPT6_PT4_.uses_flat_scratch, 0
	.set _ZL24rocblas_dot_kernel_magsqIiLb0ELi512ELi2ELb0EdPKPKddEviT5_lT_liPT6_PT4_.has_dyn_sized_stack, 0
	.set _ZL24rocblas_dot_kernel_magsqIiLb0ELi512ELi2ELb0EdPKPKddEviT5_lT_liPT6_PT4_.has_recursion, 0
	.set _ZL24rocblas_dot_kernel_magsqIiLb0ELi512ELi2ELb0EdPKPKddEviT5_lT_liPT6_PT4_.has_indirect_call, 0
	.section	.AMDGPU.csdata,"",@progbits
; Kernel info:
; codeLenInByte = 948
; TotalNumSgprs: 22
; NumVgprs: 11
; ScratchSize: 0
; MemoryBound: 0
; FloatMode: 240
; IeeeMode: 1
; LDSByteSize: 512 bytes/workgroup (compile time only)
; SGPRBlocks: 2
; VGPRBlocks: 2
; NumSGPRsForWavesPerEU: 22
; NumVGPRsForWavesPerEU: 11
; Occupancy: 10
; WaveLimiterHint : 1
; COMPUTE_PGM_RSRC2:SCRATCH_EN: 0
; COMPUTE_PGM_RSRC2:USER_SGPR: 6
; COMPUTE_PGM_RSRC2:TRAP_HANDLER: 0
; COMPUTE_PGM_RSRC2:TGID_X_EN: 1
; COMPUTE_PGM_RSRC2:TGID_Y_EN: 0
; COMPUTE_PGM_RSRC2:TGID_Z_EN: 1
; COMPUTE_PGM_RSRC2:TIDIG_COMP_CNT: 0
	.section	.text._ZL28rocblas_dot_batched_4_kernelIiLi32ELi4ELb0E19rocblas_complex_numIfES1_PKPKS1_EviT5_lT_lS6_lS7_liPT4_,"axG",@progbits,_ZL28rocblas_dot_batched_4_kernelIiLi32ELi4ELb0E19rocblas_complex_numIfES1_PKPKS1_EviT5_lT_lS6_lS7_liPT4_,comdat
	.globl	_ZL28rocblas_dot_batched_4_kernelIiLi32ELi4ELb0E19rocblas_complex_numIfES1_PKPKS1_EviT5_lT_lS6_lS7_liPT4_ ; -- Begin function _ZL28rocblas_dot_batched_4_kernelIiLi32ELi4ELb0E19rocblas_complex_numIfES1_PKPKS1_EviT5_lT_lS6_lS7_liPT4_
	.p2align	8
	.type	_ZL28rocblas_dot_batched_4_kernelIiLi32ELi4ELb0E19rocblas_complex_numIfES1_PKPKS1_EviT5_lT_lS6_lS7_liPT4_,@function
_ZL28rocblas_dot_batched_4_kernelIiLi32ELi4ELb0E19rocblas_complex_numIfES1_PKPKS1_EviT5_lT_lS6_lS7_liPT4_: ; @_ZL28rocblas_dot_batched_4_kernelIiLi32ELi4ELb0E19rocblas_complex_numIfES1_PKPKS1_EviT5_lT_lS6_lS7_liPT4_
; %bb.0:
	s_load_dword s0, s[4:5], 0x48
	v_lshl_add_u32 v2, s6, 2, v1
	s_waitcnt lgkmcnt(0)
	v_cmp_gt_u32_e32 vcc, s0, v2
	s_and_saveexec_b64 s[0:1], vcc
	s_cbranch_execz .LBB102_7
; %bb.1:
	s_load_dword s14, s[4:5], 0x0
	s_load_dwordx2 s[6:7], s[4:5], 0x50
	v_mov_b32_e32 v3, 0
	v_lshlrev_b64 v[1:2], 3, v[2:3]
	v_mov_b32_e32 v8, v3
	s_waitcnt lgkmcnt(0)
	v_cmp_gt_i32_e32 vcc, s14, v0
	s_and_saveexec_b64 s[12:13], vcc
	s_cbranch_execz .LBB102_5
; %bb.2:
	s_load_dwordx4 s[0:3], s[4:5], 0x8
	s_load_dwordx4 s[8:11], s[4:5], 0x28
	s_load_dword s16, s[4:5], 0x18
	v_mov_b32_e32 v9, v0
	s_load_dword s4, s[4:5], 0x38
	s_waitcnt lgkmcnt(0)
	v_mov_b32_e32 v4, s1
	v_add_co_u32_e32 v3, vcc, s0, v1
	v_addc_co_u32_e32 v4, vcc, v4, v2, vcc
	global_load_dwordx2 v[4:5], v[3:4], off
	v_mov_b32_e32 v3, s9
	v_add_co_u32_e32 v6, vcc, s8, v1
	v_addc_co_u32_e32 v7, vcc, v3, v2, vcc
	global_load_dwordx2 v[6:7], v[6:7], off
	v_mad_i64_i32 v[12:13], s[8:9], s16, v0, 0
	s_lshl_b64 s[8:9], s[2:3], 3
	v_mad_i64_i32 v[14:15], s[2:3], s4, v0, 0
	v_lshlrev_b64 v[12:13], 3, v[12:13]
	v_mov_b32_e32 v8, s9
	v_lshlrev_b64 v[14:15], 3, v[14:15]
	v_add_co_u32_e32 v12, vcc, s8, v12
	s_lshl_b64 s[10:11], s[10:11], 3
	v_addc_co_u32_e32 v8, vcc, v13, v8, vcc
	v_mov_b32_e32 v16, s11
	v_add_co_u32_e32 v13, vcc, s10, v14
	v_addc_co_u32_e32 v14, vcc, v15, v16, vcc
	s_ashr_i32 s17, s16, 31
	s_ashr_i32 s5, s4, 31
	s_lshl_b64 s[2:3], s[16:17], 8
	s_lshl_b64 s[4:5], s[4:5], 8
	v_mov_b32_e32 v3, 0
	s_mov_b64 s[0:1], 0
	v_mov_b32_e32 v10, s3
	v_mov_b32_e32 v11, s5
	s_waitcnt vmcnt(1)
	v_add_co_u32_e32 v4, vcc, v4, v12
	v_addc_co_u32_e32 v5, vcc, v5, v8, vcc
	v_mov_b32_e32 v8, 0
	s_waitcnt vmcnt(0)
	v_add_co_u32_e32 v6, vcc, v6, v13
	v_addc_co_u32_e32 v7, vcc, v7, v14, vcc
.LBB102_3:                              ; =>This Inner Loop Header: Depth=1
	flat_load_dwordx2 v[12:13], v[4:5]
	flat_load_dwordx2 v[14:15], v[6:7]
	v_add_co_u32_e32 v4, vcc, s2, v4
	v_addc_co_u32_e32 v5, vcc, v5, v10, vcc
	v_add_co_u32_e32 v6, vcc, s4, v6
	v_add_u32_e32 v9, 32, v9
	v_addc_co_u32_e32 v7, vcc, v7, v11, vcc
	v_cmp_le_i32_e32 vcc, s14, v9
	s_or_b64 s[0:1], vcc, s[0:1]
	s_waitcnt vmcnt(0) lgkmcnt(0)
	v_mul_f32_e32 v16, v13, v15
	v_mul_f32_e32 v15, v12, v15
	v_fma_f32 v12, v12, v14, -v16
	v_fmac_f32_e32 v15, v13, v14
	v_add_f32_e32 v3, v3, v12
	v_add_f32_e32 v8, v8, v15
	s_andn2_b64 exec, exec, s[0:1]
	s_cbranch_execnz .LBB102_3
; %bb.4:
	s_or_b64 exec, exec, s[0:1]
.LBB102_5:
	s_or_b64 exec, exec, s[12:13]
	v_mbcnt_lo_u32_b32 v4, -1, 0
	v_mbcnt_hi_u32_b32 v5, -1, v4
	v_and_b32_e32 v6, 63, v5
	v_cmp_gt_u32_e32 vcc, 48, v6
	v_cndmask_b32_e64 v4, 0, 16, vcc
	v_add_lshl_u32 v4, v4, v5, 2
	ds_bpermute_b32 v7, v4, v3
	ds_bpermute_b32 v4, v4, v8
	v_cmp_gt_u32_e32 vcc, 56, v6
	s_waitcnt lgkmcnt(0)
	s_barrier
	v_add_f32_e32 v3, v3, v7
	v_cndmask_b32_e64 v7, 0, 8, vcc
	v_add_f32_e32 v4, v8, v4
	v_add_lshl_u32 v7, v7, v5, 2
	ds_bpermute_b32 v8, v7, v3
	ds_bpermute_b32 v7, v7, v4
	v_cmp_gt_u32_e32 vcc, 60, v6
	s_waitcnt lgkmcnt(0)
	v_add_f32_e32 v3, v3, v8
	v_add_f32_e32 v4, v4, v7
	v_cndmask_b32_e64 v7, 0, 4, vcc
	v_add_lshl_u32 v7, v7, v5, 2
	ds_bpermute_b32 v8, v7, v3
	ds_bpermute_b32 v7, v7, v4
	v_cmp_gt_u32_e32 vcc, 62, v6
	s_waitcnt lgkmcnt(1)
	v_add_f32_e32 v3, v3, v8
	s_waitcnt lgkmcnt(0)
	v_add_f32_e32 v4, v4, v7
	v_cndmask_b32_e64 v7, 0, 2, vcc
	v_add_lshl_u32 v7, v7, v5, 2
	ds_bpermute_b32 v8, v7, v3
	ds_bpermute_b32 v7, v7, v4
	v_cmp_ne_u32_e32 vcc, 63, v6
	v_addc_co_u32_e32 v5, vcc, 0, v5, vcc
	s_waitcnt lgkmcnt(1)
	v_add_f32_e32 v3, v3, v8
	s_waitcnt lgkmcnt(0)
	v_add_f32_e32 v4, v4, v7
	v_lshlrev_b32_e32 v6, 2, v5
	ds_bpermute_b32 v5, v6, v3
	ds_bpermute_b32 v6, v6, v4
	v_cmp_eq_u32_e32 vcc, 0, v0
	s_and_b64 exec, exec, vcc
	s_cbranch_execz .LBB102_7
; %bb.6:
	v_mov_b32_e32 v7, s7
	v_add_co_u32_e32 v0, vcc, s6, v1
	v_addc_co_u32_e32 v1, vcc, v7, v2, vcc
	s_waitcnt lgkmcnt(0)
	v_add_f32_e32 v4, v4, v6
	v_add_f32_e32 v3, v3, v5
	global_store_dwordx2 v[0:1], v[3:4], off
.LBB102_7:
	s_endpgm
	.section	.rodata,"a",@progbits
	.p2align	6, 0x0
	.amdhsa_kernel _ZL28rocblas_dot_batched_4_kernelIiLi32ELi4ELb0E19rocblas_complex_numIfES1_PKPKS1_EviT5_lT_lS6_lS7_liPT4_
		.amdhsa_group_segment_fixed_size 0
		.amdhsa_private_segment_fixed_size 0
		.amdhsa_kernarg_size 88
		.amdhsa_user_sgpr_count 6
		.amdhsa_user_sgpr_private_segment_buffer 1
		.amdhsa_user_sgpr_dispatch_ptr 0
		.amdhsa_user_sgpr_queue_ptr 0
		.amdhsa_user_sgpr_kernarg_segment_ptr 1
		.amdhsa_user_sgpr_dispatch_id 0
		.amdhsa_user_sgpr_flat_scratch_init 0
		.amdhsa_user_sgpr_private_segment_size 0
		.amdhsa_uses_dynamic_stack 0
		.amdhsa_system_sgpr_private_segment_wavefront_offset 0
		.amdhsa_system_sgpr_workgroup_id_x 1
		.amdhsa_system_sgpr_workgroup_id_y 0
		.amdhsa_system_sgpr_workgroup_id_z 0
		.amdhsa_system_sgpr_workgroup_info 0
		.amdhsa_system_vgpr_workitem_id 1
		.amdhsa_next_free_vgpr 17
		.amdhsa_next_free_sgpr 18
		.amdhsa_reserve_vcc 1
		.amdhsa_reserve_flat_scratch 0
		.amdhsa_float_round_mode_32 0
		.amdhsa_float_round_mode_16_64 0
		.amdhsa_float_denorm_mode_32 3
		.amdhsa_float_denorm_mode_16_64 3
		.amdhsa_dx10_clamp 1
		.amdhsa_ieee_mode 1
		.amdhsa_fp16_overflow 0
		.amdhsa_exception_fp_ieee_invalid_op 0
		.amdhsa_exception_fp_denorm_src 0
		.amdhsa_exception_fp_ieee_div_zero 0
		.amdhsa_exception_fp_ieee_overflow 0
		.amdhsa_exception_fp_ieee_underflow 0
		.amdhsa_exception_fp_ieee_inexact 0
		.amdhsa_exception_int_div_zero 0
	.end_amdhsa_kernel
	.section	.text._ZL28rocblas_dot_batched_4_kernelIiLi32ELi4ELb0E19rocblas_complex_numIfES1_PKPKS1_EviT5_lT_lS6_lS7_liPT4_,"axG",@progbits,_ZL28rocblas_dot_batched_4_kernelIiLi32ELi4ELb0E19rocblas_complex_numIfES1_PKPKS1_EviT5_lT_lS6_lS7_liPT4_,comdat
.Lfunc_end102:
	.size	_ZL28rocblas_dot_batched_4_kernelIiLi32ELi4ELb0E19rocblas_complex_numIfES1_PKPKS1_EviT5_lT_lS6_lS7_liPT4_, .Lfunc_end102-_ZL28rocblas_dot_batched_4_kernelIiLi32ELi4ELb0E19rocblas_complex_numIfES1_PKPKS1_EviT5_lT_lS6_lS7_liPT4_
                                        ; -- End function
	.set _ZL28rocblas_dot_batched_4_kernelIiLi32ELi4ELb0E19rocblas_complex_numIfES1_PKPKS1_EviT5_lT_lS6_lS7_liPT4_.num_vgpr, 17
	.set _ZL28rocblas_dot_batched_4_kernelIiLi32ELi4ELb0E19rocblas_complex_numIfES1_PKPKS1_EviT5_lT_lS6_lS7_liPT4_.num_agpr, 0
	.set _ZL28rocblas_dot_batched_4_kernelIiLi32ELi4ELb0E19rocblas_complex_numIfES1_PKPKS1_EviT5_lT_lS6_lS7_liPT4_.numbered_sgpr, 18
	.set _ZL28rocblas_dot_batched_4_kernelIiLi32ELi4ELb0E19rocblas_complex_numIfES1_PKPKS1_EviT5_lT_lS6_lS7_liPT4_.num_named_barrier, 0
	.set _ZL28rocblas_dot_batched_4_kernelIiLi32ELi4ELb0E19rocblas_complex_numIfES1_PKPKS1_EviT5_lT_lS6_lS7_liPT4_.private_seg_size, 0
	.set _ZL28rocblas_dot_batched_4_kernelIiLi32ELi4ELb0E19rocblas_complex_numIfES1_PKPKS1_EviT5_lT_lS6_lS7_liPT4_.uses_vcc, 1
	.set _ZL28rocblas_dot_batched_4_kernelIiLi32ELi4ELb0E19rocblas_complex_numIfES1_PKPKS1_EviT5_lT_lS6_lS7_liPT4_.uses_flat_scratch, 0
	.set _ZL28rocblas_dot_batched_4_kernelIiLi32ELi4ELb0E19rocblas_complex_numIfES1_PKPKS1_EviT5_lT_lS6_lS7_liPT4_.has_dyn_sized_stack, 0
	.set _ZL28rocblas_dot_batched_4_kernelIiLi32ELi4ELb0E19rocblas_complex_numIfES1_PKPKS1_EviT5_lT_lS6_lS7_liPT4_.has_recursion, 0
	.set _ZL28rocblas_dot_batched_4_kernelIiLi32ELi4ELb0E19rocblas_complex_numIfES1_PKPKS1_EviT5_lT_lS6_lS7_liPT4_.has_indirect_call, 0
	.section	.AMDGPU.csdata,"",@progbits
; Kernel info:
; codeLenInByte = 676
; TotalNumSgprs: 22
; NumVgprs: 17
; ScratchSize: 0
; MemoryBound: 0
; FloatMode: 240
; IeeeMode: 1
; LDSByteSize: 0 bytes/workgroup (compile time only)
; SGPRBlocks: 2
; VGPRBlocks: 4
; NumSGPRsForWavesPerEU: 22
; NumVGPRsForWavesPerEU: 17
; Occupancy: 10
; WaveLimiterHint : 0
; COMPUTE_PGM_RSRC2:SCRATCH_EN: 0
; COMPUTE_PGM_RSRC2:USER_SGPR: 6
; COMPUTE_PGM_RSRC2:TRAP_HANDLER: 0
; COMPUTE_PGM_RSRC2:TGID_X_EN: 1
; COMPUTE_PGM_RSRC2:TGID_Y_EN: 0
; COMPUTE_PGM_RSRC2:TGID_Z_EN: 0
; COMPUTE_PGM_RSRC2:TIDIG_COMP_CNT: 1
	.section	.text._ZL28rocblas_dot_batched_4_kernelIiLi64ELi4ELb0E19rocblas_complex_numIfES1_PKPKS1_EviT5_lT_lS6_lS7_liPT4_,"axG",@progbits,_ZL28rocblas_dot_batched_4_kernelIiLi64ELi4ELb0E19rocblas_complex_numIfES1_PKPKS1_EviT5_lT_lS6_lS7_liPT4_,comdat
	.globl	_ZL28rocblas_dot_batched_4_kernelIiLi64ELi4ELb0E19rocblas_complex_numIfES1_PKPKS1_EviT5_lT_lS6_lS7_liPT4_ ; -- Begin function _ZL28rocblas_dot_batched_4_kernelIiLi64ELi4ELb0E19rocblas_complex_numIfES1_PKPKS1_EviT5_lT_lS6_lS7_liPT4_
	.p2align	8
	.type	_ZL28rocblas_dot_batched_4_kernelIiLi64ELi4ELb0E19rocblas_complex_numIfES1_PKPKS1_EviT5_lT_lS6_lS7_liPT4_,@function
_ZL28rocblas_dot_batched_4_kernelIiLi64ELi4ELb0E19rocblas_complex_numIfES1_PKPKS1_EviT5_lT_lS6_lS7_liPT4_: ; @_ZL28rocblas_dot_batched_4_kernelIiLi64ELi4ELb0E19rocblas_complex_numIfES1_PKPKS1_EviT5_lT_lS6_lS7_liPT4_
; %bb.0:
	s_load_dword s0, s[4:5], 0x48
	v_lshl_add_u32 v2, s6, 2, v1
	s_waitcnt lgkmcnt(0)
	v_cmp_gt_u32_e32 vcc, s0, v2
	s_and_saveexec_b64 s[0:1], vcc
	s_cbranch_execz .LBB103_7
; %bb.1:
	s_load_dword s14, s[4:5], 0x0
	s_load_dwordx2 s[6:7], s[4:5], 0x50
	v_mov_b32_e32 v3, 0
	v_lshlrev_b64 v[1:2], 3, v[2:3]
	v_mov_b32_e32 v8, v3
	s_waitcnt lgkmcnt(0)
	v_cmp_gt_i32_e32 vcc, s14, v0
	s_and_saveexec_b64 s[12:13], vcc
	s_cbranch_execz .LBB103_5
; %bb.2:
	s_load_dwordx4 s[0:3], s[4:5], 0x8
	s_load_dwordx4 s[8:11], s[4:5], 0x28
	s_load_dword s16, s[4:5], 0x18
	v_mov_b32_e32 v9, v0
	s_waitcnt lgkmcnt(0)
	v_mov_b32_e32 v4, s1
	v_add_co_u32_e32 v3, vcc, s0, v1
	v_addc_co_u32_e32 v4, vcc, v4, v2, vcc
	global_load_dwordx2 v[4:5], v[3:4], off
	v_mov_b32_e32 v3, s9
	v_add_co_u32_e32 v6, vcc, s8, v1
	v_addc_co_u32_e32 v7, vcc, v3, v2, vcc
	global_load_dwordx2 v[6:7], v[6:7], off
	s_load_dword s0, s[4:5], 0x38
	v_mad_i64_i32 v[10:11], s[8:9], s16, v0, 0
	s_lshl_b64 s[18:19], s[2:3], 3
	v_mov_b32_e32 v8, s19
	s_waitcnt lgkmcnt(0)
	v_mad_i64_i32 v[12:13], s[2:3], s0, v0, 0
	v_lshlrev_b64 v[10:11], 3, v[10:11]
	s_lshl_b64 s[10:11], s[10:11], 3
	v_lshlrev_b64 v[12:13], 3, v[12:13]
	v_add_co_u32_e32 v10, vcc, s18, v10
	v_addc_co_u32_e32 v8, vcc, v11, v8, vcc
	v_mov_b32_e32 v14, s11
	v_add_co_u32_e32 v11, vcc, s10, v12
	v_addc_co_u32_e32 v12, vcc, v13, v14, vcc
	s_ashr_i32 s17, s16, 31
	s_ashr_i32 s1, s0, 31
	v_mov_b32_e32 v3, 0
	s_mov_b64 s[4:5], 0
	s_lshl_b64 s[2:3], s[16:17], 9
	s_lshl_b64 s[8:9], s[0:1], 9
	s_waitcnt vmcnt(1)
	v_add_co_u32_e32 v4, vcc, v4, v10
	v_addc_co_u32_e32 v5, vcc, v5, v8, vcc
	v_mov_b32_e32 v8, 0
	s_waitcnt vmcnt(0)
	v_add_co_u32_e32 v6, vcc, v6, v11
	v_addc_co_u32_e32 v7, vcc, v7, v12, vcc
.LBB103_3:                              ; =>This Inner Loop Header: Depth=1
	flat_load_dwordx2 v[10:11], v[4:5]
	flat_load_dwordx2 v[12:13], v[6:7]
	v_mov_b32_e32 v14, s3
	v_mov_b32_e32 v15, s9
	v_add_co_u32_e32 v6, vcc, s8, v6
	v_add_co_u32_e64 v4, s[0:1], s2, v4
	v_add_u32_e32 v9, 64, v9
	v_addc_co_u32_e64 v5, s[0:1], v5, v14, s[0:1]
	v_addc_co_u32_e32 v7, vcc, v7, v15, vcc
	v_cmp_le_i32_e32 vcc, s14, v9
	s_or_b64 s[4:5], vcc, s[4:5]
	s_waitcnt vmcnt(0) lgkmcnt(0)
	v_mul_f32_e32 v14, v11, v13
	v_mul_f32_e32 v13, v10, v13
	v_fma_f32 v10, v10, v12, -v14
	v_fmac_f32_e32 v13, v11, v12
	v_add_f32_e32 v3, v3, v10
	v_add_f32_e32 v8, v8, v13
	s_andn2_b64 exec, exec, s[4:5]
	s_cbranch_execnz .LBB103_3
; %bb.4:
	s_or_b64 exec, exec, s[4:5]
.LBB103_5:
	s_or_b64 exec, exec, s[12:13]
	v_mbcnt_lo_u32_b32 v4, -1, 0
	v_mbcnt_hi_u32_b32 v5, -1, v4
	v_mov_b32_e32 v4, 0x80
	v_lshl_or_b32 v4, v5, 2, v4
	ds_bpermute_b32 v6, v4, v3
	ds_bpermute_b32 v4, v4, v8
	v_and_b32_e32 v7, 63, v5
	v_cmp_gt_u32_e32 vcc, 48, v7
	s_waitcnt lgkmcnt(0)
	v_add_f32_e32 v3, v3, v6
	v_cndmask_b32_e64 v6, 0, 16, vcc
	v_add_f32_e32 v4, v8, v4
	v_add_lshl_u32 v6, v6, v5, 2
	ds_bpermute_b32 v8, v6, v3
	ds_bpermute_b32 v6, v6, v4
	v_cmp_gt_u32_e32 vcc, 56, v7
	s_waitcnt lgkmcnt(0)
	s_barrier
	v_add_f32_e32 v3, v3, v8
	v_add_f32_e32 v4, v4, v6
	v_cndmask_b32_e64 v6, 0, 8, vcc
	v_add_lshl_u32 v6, v6, v5, 2
	ds_bpermute_b32 v8, v6, v3
	ds_bpermute_b32 v6, v6, v4
	v_cmp_gt_u32_e32 vcc, 60, v7
	s_waitcnt lgkmcnt(1)
	v_add_f32_e32 v3, v3, v8
	s_waitcnt lgkmcnt(0)
	v_add_f32_e32 v4, v4, v6
	v_cndmask_b32_e64 v6, 0, 4, vcc
	v_add_lshl_u32 v6, v6, v5, 2
	ds_bpermute_b32 v8, v6, v3
	ds_bpermute_b32 v6, v6, v4
	v_cmp_gt_u32_e32 vcc, 62, v7
	s_waitcnt lgkmcnt(1)
	v_add_f32_e32 v3, v3, v8
	s_waitcnt lgkmcnt(0)
	v_add_f32_e32 v4, v4, v6
	v_cndmask_b32_e64 v6, 0, 2, vcc
	v_add_lshl_u32 v6, v6, v5, 2
	ds_bpermute_b32 v8, v6, v3
	ds_bpermute_b32 v6, v6, v4
	v_cmp_ne_u32_e32 vcc, 63, v7
	v_addc_co_u32_e32 v5, vcc, 0, v5, vcc
	s_waitcnt lgkmcnt(1)
	v_add_f32_e32 v3, v3, v8
	s_waitcnt lgkmcnt(0)
	v_add_f32_e32 v4, v4, v6
	v_lshlrev_b32_e32 v6, 2, v5
	ds_bpermute_b32 v5, v6, v3
	ds_bpermute_b32 v6, v6, v4
	v_cmp_eq_u32_e32 vcc, 0, v0
	s_and_b64 exec, exec, vcc
	s_cbranch_execz .LBB103_7
; %bb.6:
	v_mov_b32_e32 v7, s7
	v_add_co_u32_e32 v0, vcc, s6, v1
	v_addc_co_u32_e32 v1, vcc, v7, v2, vcc
	s_waitcnt lgkmcnt(0)
	v_add_f32_e32 v4, v4, v6
	v_add_f32_e32 v3, v3, v5
	global_store_dwordx2 v[0:1], v[3:4], off
.LBB103_7:
	s_endpgm
	.section	.rodata,"a",@progbits
	.p2align	6, 0x0
	.amdhsa_kernel _ZL28rocblas_dot_batched_4_kernelIiLi64ELi4ELb0E19rocblas_complex_numIfES1_PKPKS1_EviT5_lT_lS6_lS7_liPT4_
		.amdhsa_group_segment_fixed_size 0
		.amdhsa_private_segment_fixed_size 0
		.amdhsa_kernarg_size 88
		.amdhsa_user_sgpr_count 6
		.amdhsa_user_sgpr_private_segment_buffer 1
		.amdhsa_user_sgpr_dispatch_ptr 0
		.amdhsa_user_sgpr_queue_ptr 0
		.amdhsa_user_sgpr_kernarg_segment_ptr 1
		.amdhsa_user_sgpr_dispatch_id 0
		.amdhsa_user_sgpr_flat_scratch_init 0
		.amdhsa_user_sgpr_private_segment_size 0
		.amdhsa_uses_dynamic_stack 0
		.amdhsa_system_sgpr_private_segment_wavefront_offset 0
		.amdhsa_system_sgpr_workgroup_id_x 1
		.amdhsa_system_sgpr_workgroup_id_y 0
		.amdhsa_system_sgpr_workgroup_id_z 0
		.amdhsa_system_sgpr_workgroup_info 0
		.amdhsa_system_vgpr_workitem_id 1
		.amdhsa_next_free_vgpr 16
		.amdhsa_next_free_sgpr 20
		.amdhsa_reserve_vcc 1
		.amdhsa_reserve_flat_scratch 0
		.amdhsa_float_round_mode_32 0
		.amdhsa_float_round_mode_16_64 0
		.amdhsa_float_denorm_mode_32 3
		.amdhsa_float_denorm_mode_16_64 3
		.amdhsa_dx10_clamp 1
		.amdhsa_ieee_mode 1
		.amdhsa_fp16_overflow 0
		.amdhsa_exception_fp_ieee_invalid_op 0
		.amdhsa_exception_fp_denorm_src 0
		.amdhsa_exception_fp_ieee_div_zero 0
		.amdhsa_exception_fp_ieee_overflow 0
		.amdhsa_exception_fp_ieee_underflow 0
		.amdhsa_exception_fp_ieee_inexact 0
		.amdhsa_exception_int_div_zero 0
	.end_amdhsa_kernel
	.section	.text._ZL28rocblas_dot_batched_4_kernelIiLi64ELi4ELb0E19rocblas_complex_numIfES1_PKPKS1_EviT5_lT_lS6_lS7_liPT4_,"axG",@progbits,_ZL28rocblas_dot_batched_4_kernelIiLi64ELi4ELb0E19rocblas_complex_numIfES1_PKPKS1_EviT5_lT_lS6_lS7_liPT4_,comdat
.Lfunc_end103:
	.size	_ZL28rocblas_dot_batched_4_kernelIiLi64ELi4ELb0E19rocblas_complex_numIfES1_PKPKS1_EviT5_lT_lS6_lS7_liPT4_, .Lfunc_end103-_ZL28rocblas_dot_batched_4_kernelIiLi64ELi4ELb0E19rocblas_complex_numIfES1_PKPKS1_EviT5_lT_lS6_lS7_liPT4_
                                        ; -- End function
	.set _ZL28rocblas_dot_batched_4_kernelIiLi64ELi4ELb0E19rocblas_complex_numIfES1_PKPKS1_EviT5_lT_lS6_lS7_liPT4_.num_vgpr, 16
	.set _ZL28rocblas_dot_batched_4_kernelIiLi64ELi4ELb0E19rocblas_complex_numIfES1_PKPKS1_EviT5_lT_lS6_lS7_liPT4_.num_agpr, 0
	.set _ZL28rocblas_dot_batched_4_kernelIiLi64ELi4ELb0E19rocblas_complex_numIfES1_PKPKS1_EviT5_lT_lS6_lS7_liPT4_.numbered_sgpr, 20
	.set _ZL28rocblas_dot_batched_4_kernelIiLi64ELi4ELb0E19rocblas_complex_numIfES1_PKPKS1_EviT5_lT_lS6_lS7_liPT4_.num_named_barrier, 0
	.set _ZL28rocblas_dot_batched_4_kernelIiLi64ELi4ELb0E19rocblas_complex_numIfES1_PKPKS1_EviT5_lT_lS6_lS7_liPT4_.private_seg_size, 0
	.set _ZL28rocblas_dot_batched_4_kernelIiLi64ELi4ELb0E19rocblas_complex_numIfES1_PKPKS1_EviT5_lT_lS6_lS7_liPT4_.uses_vcc, 1
	.set _ZL28rocblas_dot_batched_4_kernelIiLi64ELi4ELb0E19rocblas_complex_numIfES1_PKPKS1_EviT5_lT_lS6_lS7_liPT4_.uses_flat_scratch, 0
	.set _ZL28rocblas_dot_batched_4_kernelIiLi64ELi4ELb0E19rocblas_complex_numIfES1_PKPKS1_EviT5_lT_lS6_lS7_liPT4_.has_dyn_sized_stack, 0
	.set _ZL28rocblas_dot_batched_4_kernelIiLi64ELi4ELb0E19rocblas_complex_numIfES1_PKPKS1_EviT5_lT_lS6_lS7_liPT4_.has_recursion, 0
	.set _ZL28rocblas_dot_batched_4_kernelIiLi64ELi4ELb0E19rocblas_complex_numIfES1_PKPKS1_EviT5_lT_lS6_lS7_liPT4_.has_indirect_call, 0
	.section	.AMDGPU.csdata,"",@progbits
; Kernel info:
; codeLenInByte = 736
; TotalNumSgprs: 24
; NumVgprs: 16
; ScratchSize: 0
; MemoryBound: 0
; FloatMode: 240
; IeeeMode: 1
; LDSByteSize: 0 bytes/workgroup (compile time only)
; SGPRBlocks: 2
; VGPRBlocks: 3
; NumSGPRsForWavesPerEU: 24
; NumVGPRsForWavesPerEU: 16
; Occupancy: 10
; WaveLimiterHint : 0
; COMPUTE_PGM_RSRC2:SCRATCH_EN: 0
; COMPUTE_PGM_RSRC2:USER_SGPR: 6
; COMPUTE_PGM_RSRC2:TRAP_HANDLER: 0
; COMPUTE_PGM_RSRC2:TGID_X_EN: 1
; COMPUTE_PGM_RSRC2:TGID_Y_EN: 0
; COMPUTE_PGM_RSRC2:TGID_Z_EN: 0
; COMPUTE_PGM_RSRC2:TIDIG_COMP_CNT: 1
	.section	.text._ZL26rocblas_dot_kernel_inc1by2ILb1ELi1024ELi32ELb0E19rocblas_complex_numIfEPKPKS1_S1_EviT4_llS6_lliPT5_PT3_,"axG",@progbits,_ZL26rocblas_dot_kernel_inc1by2ILb1ELi1024ELi32ELb0E19rocblas_complex_numIfEPKPKS1_S1_EviT4_llS6_lliPT5_PT3_,comdat
	.globl	_ZL26rocblas_dot_kernel_inc1by2ILb1ELi1024ELi32ELb0E19rocblas_complex_numIfEPKPKS1_S1_EviT4_llS6_lliPT5_PT3_ ; -- Begin function _ZL26rocblas_dot_kernel_inc1by2ILb1ELi1024ELi32ELb0E19rocblas_complex_numIfEPKPKS1_S1_EviT4_llS6_lliPT5_PT3_
	.p2align	8
	.type	_ZL26rocblas_dot_kernel_inc1by2ILb1ELi1024ELi32ELb0E19rocblas_complex_numIfEPKPKS1_S1_EviT4_llS6_lliPT5_PT3_,@function
_ZL26rocblas_dot_kernel_inc1by2ILb1ELi1024ELi32ELb0E19rocblas_complex_numIfEPKPKS1_S1_EviT4_llS6_lliPT5_PT3_: ; @_ZL26rocblas_dot_kernel_inc1by2ILb1ELi1024ELi32ELb0E19rocblas_complex_numIfEPKPKS1_S1_EviT4_llS6_lliPT5_PT3_
; %bb.0:
	s_mov_b32 s2, s7
	s_load_dword s10, s[4:5], 0x0
	s_load_dwordx2 s[6:7], s[4:5], 0x48
	s_mov_b32 s3, 0
	v_mov_b32_e32 v5, 0
	v_mov_b32_e32 v6, 0
	s_waitcnt lgkmcnt(0)
	v_cmp_gt_i32_e32 vcc, s10, v0
	s_and_saveexec_b64 s[8:9], vcc
	s_cbranch_execz .LBB104_4
; %bb.1:
	s_load_dwordx4 s[12:15], s[4:5], 0x8
	s_load_dwordx4 s[16:19], s[4:5], 0x20
	s_lshl_b64 s[0:1], s[2:3], 3
	v_lshlrev_b32_e32 v3, 3, v0
	v_or_b32_e32 v7, 0x400, v0
	s_waitcnt lgkmcnt(0)
	s_add_u32 s4, s12, s0
	s_addc_u32 s5, s13, s1
	s_add_u32 s0, s16, s0
	s_addc_u32 s1, s17, s1
	s_load_dwordx2 s[0:1], s[0:1], 0x0
	s_lshl_b64 s[12:13], s[18:19], 3
	s_load_dwordx2 s[4:5], s[4:5], 0x0
	v_mov_b32_e32 v5, 0
	s_mov_b32 s11, s3
	s_waitcnt lgkmcnt(0)
	s_add_u32 s0, s0, s12
	s_addc_u32 s1, s1, s13
	v_mov_b32_e32 v2, s1
	v_add_co_u32_e32 v1, vcc, s0, v3
	s_lshl_b64 s[0:1], s[14:15], 3
	s_add_u32 s0, s4, s0
	v_addc_co_u32_e32 v2, vcc, 0, v2, vcc
	s_addc_u32 s1, s5, s1
	v_mov_b32_e32 v4, s1
	v_add_co_u32_e32 v3, vcc, s0, v3
	v_addc_co_u32_e32 v4, vcc, 0, v4, vcc
	s_mov_b64 s[4:5], 0
	v_mov_b32_e32 v6, 0
.LBB104_2:                              ; =>This Inner Loop Header: Depth=1
	flat_load_dwordx2 v[8:9], v[1:2]
	flat_load_dwordx2 v[10:11], v[3:4]
	s_add_i32 s12, s11, 1
	s_cmp_gt_u32 s11, 30
	v_cmp_le_i32_e64 s[0:1], s10, v7
	v_add_co_u32_e32 v1, vcc, 0x2000, v1
	s_mov_b32 s11, s12
	s_cselect_b64 s[12:13], -1, 0
	v_addc_co_u32_e32 v2, vcc, 0, v2, vcc
	s_or_b64 s[0:1], s[12:13], s[0:1]
	v_add_co_u32_e32 v3, vcc, 0x2000, v3
	s_and_b64 s[0:1], exec, s[0:1]
	v_add_u32_e32 v7, 0x400, v7
	v_addc_co_u32_e32 v4, vcc, 0, v4, vcc
	s_or_b64 s[4:5], s[0:1], s[4:5]
	s_waitcnt vmcnt(0) lgkmcnt(0)
	v_mul_f32_e32 v12, v11, v9
	v_mul_f32_e32 v9, v10, v9
	v_fma_f32 v10, v10, v8, -v12
	v_fmac_f32_e32 v9, v11, v8
	v_add_f32_e32 v6, v6, v10
	v_add_f32_e32 v5, v5, v9
	s_andn2_b64 exec, exec, s[4:5]
	s_cbranch_execnz .LBB104_2
; %bb.3:
	s_or_b64 exec, exec, s[4:5]
.LBB104_4:
	s_or_b64 exec, exec, s[8:9]
	v_and_b32_e32 v1, 63, v0
	v_cmp_gt_u32_e32 vcc, 64, v0
	v_lshlrev_b32_e32 v3, 3, v1
	s_and_saveexec_b64 s[0:1], vcc
; %bb.5:
	v_mov_b32_e32 v7, 0
	v_mov_b32_e32 v8, v7
	ds_write_b64 v3, v[7:8]
; %bb.6:
	s_or_b64 exec, exec, s[0:1]
	v_mbcnt_lo_u32_b32 v2, -1, 0
	v_mbcnt_hi_u32_b32 v7, -1, v2
	v_mov_b32_e32 v2, 0x80
	v_lshl_or_b32 v2, v7, 2, v2
	ds_bpermute_b32 v4, v2, v6
	ds_bpermute_b32 v2, v2, v5
	v_and_b32_e32 v9, 63, v7
	v_cmp_gt_u32_e64 s[0:1], 48, v9
	s_waitcnt lgkmcnt(0)
	v_add_f32_e32 v4, v6, v4
	v_add_f32_e32 v2, v5, v2
	v_cndmask_b32_e64 v5, 0, 16, s[0:1]
	v_add_lshl_u32 v5, v5, v7, 2
	ds_bpermute_b32 v6, v5, v4
	ds_bpermute_b32 v5, v5, v2
	v_cmp_gt_u32_e64 s[0:1], 56, v9
	s_waitcnt lgkmcnt(0)
	s_barrier
	v_add_f32_e32 v6, v4, v6
	v_cndmask_b32_e64 v4, 0, 8, s[0:1]
	v_add_lshl_u32 v4, v4, v7, 2
	v_add_f32_e32 v2, v2, v5
	ds_bpermute_b32 v5, v4, v6
	ds_bpermute_b32 v8, v4, v2
	v_cmp_gt_u32_e64 s[0:1], 60, v9
	s_waitcnt lgkmcnt(1)
	v_add_f32_e32 v6, v6, v5
	v_cndmask_b32_e64 v5, 0, 4, s[0:1]
	s_waitcnt lgkmcnt(0)
	v_add_f32_e32 v2, v2, v8
	v_add_lshl_u32 v5, v5, v7, 2
	ds_bpermute_b32 v10, v5, v2
	ds_bpermute_b32 v8, v5, v6
	v_cmp_gt_u32_e64 s[0:1], 62, v9
	s_waitcnt lgkmcnt(1)
	v_add_f32_e32 v10, v2, v10
	v_cndmask_b32_e64 v2, 0, 2, s[0:1]
	s_waitcnt lgkmcnt(0)
	v_add_f32_e32 v8, v6, v8
	v_add_lshl_u32 v6, v2, v7, 2
	ds_bpermute_b32 v2, v6, v8
	ds_bpermute_b32 v11, v6, v10
	v_cmp_ne_u32_e64 s[0:1], 63, v9
	v_addc_co_u32_e64 v7, s[0:1], 0, v7, s[0:1]
	s_waitcnt lgkmcnt(1)
	v_add_f32_e32 v2, v8, v2
	s_waitcnt lgkmcnt(0)
	v_add_f32_e32 v8, v10, v11
	v_lshlrev_b32_e32 v7, 2, v7
	ds_bpermute_b32 v9, v7, v2
	ds_bpermute_b32 v10, v7, v8
	v_cmp_eq_u32_e64 s[0:1], 0, v1
	s_and_saveexec_b64 s[4:5], s[0:1]
	s_cbranch_execz .LBB104_8
; %bb.7:
	s_waitcnt lgkmcnt(1)
	v_add_f32_e32 v1, v2, v9
	s_waitcnt lgkmcnt(0)
	v_add_f32_e32 v2, v8, v10
	v_lshrrev_b32_e32 v8, 3, v0
	v_and_b32_e32 v8, 0x78, v8
	ds_write_b64 v8, v[1:2]
.LBB104_8:
	s_or_b64 exec, exec, s[4:5]
	v_cmp_gt_u32_e64 s[0:1], 16, v0
	v_mov_b32_e32 v2, 0
	v_mov_b32_e32 v1, 0
	s_waitcnt lgkmcnt(0)
	s_barrier
	s_and_saveexec_b64 s[4:5], s[0:1]
	s_cbranch_execnz .LBB104_12
; %bb.9:
	s_or_b64 exec, exec, s[4:5]
	s_and_saveexec_b64 s[0:1], vcc
	s_cbranch_execnz .LBB104_13
.LBB104_10:
	s_or_b64 exec, exec, s[0:1]
	v_cmp_eq_u32_e32 vcc, 0, v0
	s_and_saveexec_b64 s[0:1], vcc
	s_cbranch_execnz .LBB104_14
.LBB104_11:
	s_endpgm
.LBB104_12:
	ds_read_b64 v[1:2], v3
	s_or_b64 exec, exec, s[4:5]
	s_and_saveexec_b64 s[0:1], vcc
	s_cbranch_execz .LBB104_10
.LBB104_13:
	s_waitcnt lgkmcnt(0)
	ds_bpermute_b32 v3, v4, v1
	ds_bpermute_b32 v4, v4, v2
	s_waitcnt lgkmcnt(1)
	v_add_f32_e32 v1, v1, v3
	s_waitcnt lgkmcnt(0)
	v_add_f32_e32 v2, v2, v4
	ds_bpermute_b32 v3, v5, v1
	ds_bpermute_b32 v4, v5, v2
	s_waitcnt lgkmcnt(1)
	v_add_f32_e32 v1, v1, v3
	s_waitcnt lgkmcnt(0)
	v_add_f32_e32 v2, v2, v4
	ds_bpermute_b32 v3, v6, v1
	ds_bpermute_b32 v4, v6, v2
	s_waitcnt lgkmcnt(1)
	v_add_f32_e32 v1, v1, v3
	s_waitcnt lgkmcnt(0)
	v_add_f32_e32 v2, v2, v4
	ds_bpermute_b32 v3, v7, v1
	ds_bpermute_b32 v4, v7, v2
	s_waitcnt lgkmcnt(1)
	v_add_f32_e32 v1, v1, v3
	s_waitcnt lgkmcnt(0)
	v_add_f32_e32 v2, v2, v4
	s_or_b64 exec, exec, s[0:1]
	v_cmp_eq_u32_e32 vcc, 0, v0
	s_and_saveexec_b64 s[0:1], vcc
	s_cbranch_execz .LBB104_11
.LBB104_14:
	s_lshl_b64 s[0:1], s[2:3], 3
	s_add_u32 s0, s6, s0
	s_addc_u32 s1, s7, s1
	v_mov_b32_e32 v0, 0
	s_waitcnt lgkmcnt(0)
	global_store_dwordx2 v0, v[1:2], s[0:1]
	s_endpgm
	.section	.rodata,"a",@progbits
	.p2align	6, 0x0
	.amdhsa_kernel _ZL26rocblas_dot_kernel_inc1by2ILb1ELi1024ELi32ELb0E19rocblas_complex_numIfEPKPKS1_S1_EviT4_llS6_lliPT5_PT3_
		.amdhsa_group_segment_fixed_size 512
		.amdhsa_private_segment_fixed_size 0
		.amdhsa_kernarg_size 80
		.amdhsa_user_sgpr_count 6
		.amdhsa_user_sgpr_private_segment_buffer 1
		.amdhsa_user_sgpr_dispatch_ptr 0
		.amdhsa_user_sgpr_queue_ptr 0
		.amdhsa_user_sgpr_kernarg_segment_ptr 1
		.amdhsa_user_sgpr_dispatch_id 0
		.amdhsa_user_sgpr_flat_scratch_init 0
		.amdhsa_user_sgpr_private_segment_size 0
		.amdhsa_uses_dynamic_stack 0
		.amdhsa_system_sgpr_private_segment_wavefront_offset 0
		.amdhsa_system_sgpr_workgroup_id_x 1
		.amdhsa_system_sgpr_workgroup_id_y 0
		.amdhsa_system_sgpr_workgroup_id_z 1
		.amdhsa_system_sgpr_workgroup_info 0
		.amdhsa_system_vgpr_workitem_id 0
		.amdhsa_next_free_vgpr 13
		.amdhsa_next_free_sgpr 20
		.amdhsa_reserve_vcc 1
		.amdhsa_reserve_flat_scratch 0
		.amdhsa_float_round_mode_32 0
		.amdhsa_float_round_mode_16_64 0
		.amdhsa_float_denorm_mode_32 3
		.amdhsa_float_denorm_mode_16_64 3
		.amdhsa_dx10_clamp 1
		.amdhsa_ieee_mode 1
		.amdhsa_fp16_overflow 0
		.amdhsa_exception_fp_ieee_invalid_op 0
		.amdhsa_exception_fp_denorm_src 0
		.amdhsa_exception_fp_ieee_div_zero 0
		.amdhsa_exception_fp_ieee_overflow 0
		.amdhsa_exception_fp_ieee_underflow 0
		.amdhsa_exception_fp_ieee_inexact 0
		.amdhsa_exception_int_div_zero 0
	.end_amdhsa_kernel
	.section	.text._ZL26rocblas_dot_kernel_inc1by2ILb1ELi1024ELi32ELb0E19rocblas_complex_numIfEPKPKS1_S1_EviT4_llS6_lliPT5_PT3_,"axG",@progbits,_ZL26rocblas_dot_kernel_inc1by2ILb1ELi1024ELi32ELb0E19rocblas_complex_numIfEPKPKS1_S1_EviT4_llS6_lliPT5_PT3_,comdat
.Lfunc_end104:
	.size	_ZL26rocblas_dot_kernel_inc1by2ILb1ELi1024ELi32ELb0E19rocblas_complex_numIfEPKPKS1_S1_EviT4_llS6_lliPT5_PT3_, .Lfunc_end104-_ZL26rocblas_dot_kernel_inc1by2ILb1ELi1024ELi32ELb0E19rocblas_complex_numIfEPKPKS1_S1_EviT4_llS6_lliPT5_PT3_
                                        ; -- End function
	.set _ZL26rocblas_dot_kernel_inc1by2ILb1ELi1024ELi32ELb0E19rocblas_complex_numIfEPKPKS1_S1_EviT4_llS6_lliPT5_PT3_.num_vgpr, 13
	.set _ZL26rocblas_dot_kernel_inc1by2ILb1ELi1024ELi32ELb0E19rocblas_complex_numIfEPKPKS1_S1_EviT4_llS6_lliPT5_PT3_.num_agpr, 0
	.set _ZL26rocblas_dot_kernel_inc1by2ILb1ELi1024ELi32ELb0E19rocblas_complex_numIfEPKPKS1_S1_EviT4_llS6_lliPT5_PT3_.numbered_sgpr, 20
	.set _ZL26rocblas_dot_kernel_inc1by2ILb1ELi1024ELi32ELb0E19rocblas_complex_numIfEPKPKS1_S1_EviT4_llS6_lliPT5_PT3_.num_named_barrier, 0
	.set _ZL26rocblas_dot_kernel_inc1by2ILb1ELi1024ELi32ELb0E19rocblas_complex_numIfEPKPKS1_S1_EviT4_llS6_lliPT5_PT3_.private_seg_size, 0
	.set _ZL26rocblas_dot_kernel_inc1by2ILb1ELi1024ELi32ELb0E19rocblas_complex_numIfEPKPKS1_S1_EviT4_llS6_lliPT5_PT3_.uses_vcc, 1
	.set _ZL26rocblas_dot_kernel_inc1by2ILb1ELi1024ELi32ELb0E19rocblas_complex_numIfEPKPKS1_S1_EviT4_llS6_lliPT5_PT3_.uses_flat_scratch, 0
	.set _ZL26rocblas_dot_kernel_inc1by2ILb1ELi1024ELi32ELb0E19rocblas_complex_numIfEPKPKS1_S1_EviT4_llS6_lliPT5_PT3_.has_dyn_sized_stack, 0
	.set _ZL26rocblas_dot_kernel_inc1by2ILb1ELi1024ELi32ELb0E19rocblas_complex_numIfEPKPKS1_S1_EviT4_llS6_lliPT5_PT3_.has_recursion, 0
	.set _ZL26rocblas_dot_kernel_inc1by2ILb1ELi1024ELi32ELb0E19rocblas_complex_numIfEPKPKS1_S1_EviT4_llS6_lliPT5_PT3_.has_indirect_call, 0
	.section	.AMDGPU.csdata,"",@progbits
; Kernel info:
; codeLenInByte = 996
; TotalNumSgprs: 24
; NumVgprs: 13
; ScratchSize: 0
; MemoryBound: 0
; FloatMode: 240
; IeeeMode: 1
; LDSByteSize: 512 bytes/workgroup (compile time only)
; SGPRBlocks: 2
; VGPRBlocks: 3
; NumSGPRsForWavesPerEU: 24
; NumVGPRsForWavesPerEU: 13
; Occupancy: 10
; WaveLimiterHint : 0
; COMPUTE_PGM_RSRC2:SCRATCH_EN: 0
; COMPUTE_PGM_RSRC2:USER_SGPR: 6
; COMPUTE_PGM_RSRC2:TRAP_HANDLER: 0
; COMPUTE_PGM_RSRC2:TGID_X_EN: 1
; COMPUTE_PGM_RSRC2:TGID_Y_EN: 0
; COMPUTE_PGM_RSRC2:TGID_Z_EN: 1
; COMPUTE_PGM_RSRC2:TIDIG_COMP_CNT: 0
	.section	.text._ZL18rocblas_dot_kernelIiLb1ELi1024ELi32ELb0E19rocblas_complex_numIfEPKPKS1_S1_EviT5_lT_lS6_lS7_liPT6_PT4_,"axG",@progbits,_ZL18rocblas_dot_kernelIiLb1ELi1024ELi32ELb0E19rocblas_complex_numIfEPKPKS1_S1_EviT5_lT_lS6_lS7_liPT6_PT4_,comdat
	.globl	_ZL18rocblas_dot_kernelIiLb1ELi1024ELi32ELb0E19rocblas_complex_numIfEPKPKS1_S1_EviT5_lT_lS6_lS7_liPT6_PT4_ ; -- Begin function _ZL18rocblas_dot_kernelIiLb1ELi1024ELi32ELb0E19rocblas_complex_numIfEPKPKS1_S1_EviT5_lT_lS6_lS7_liPT6_PT4_
	.p2align	8
	.type	_ZL18rocblas_dot_kernelIiLb1ELi1024ELi32ELb0E19rocblas_complex_numIfEPKPKS1_S1_EviT5_lT_lS6_lS7_liPT6_PT4_,@function
_ZL18rocblas_dot_kernelIiLb1ELi1024ELi32ELb0E19rocblas_complex_numIfEPKPKS1_S1_EviT5_lT_lS6_lS7_liPT6_PT4_: ; @_ZL18rocblas_dot_kernelIiLb1ELi1024ELi32ELb0E19rocblas_complex_numIfEPKPKS1_S1_EviT5_lT_lS6_lS7_liPT6_PT4_
; %bb.0:
	s_load_dword s14, s[4:5], 0x0
	s_load_dwordx2 s[8:9], s[4:5], 0x58
	s_mov_b32 s6, s7
	s_mov_b32 s7, 0
	v_mov_b32_e32 v5, 0
	s_waitcnt lgkmcnt(0)
	v_cmp_gt_i32_e32 vcc, s14, v0
	v_mov_b32_e32 v7, 0
	s_and_saveexec_b64 s[10:11], vcc
	s_cbranch_execz .LBB105_4
; %bb.1:
	s_load_dwordx4 s[16:19], s[4:5], 0x8
	s_load_dwordx4 s[0:3], s[4:5], 0x28
	s_load_dword s22, s[4:5], 0x18
	s_lshl_b64 s[12:13], s[6:7], 3
	v_mov_b32_e32 v7, 0
	s_waitcnt lgkmcnt(0)
	s_add_u32 s16, s16, s12
	s_addc_u32 s17, s17, s13
	s_load_dwordx2 s[20:21], s[16:17], 0x0
	s_load_dword s23, s[4:5], 0x38
	s_load_dword s15, s[4:5], 0x60
	v_mad_i64_i32 v[1:2], s[4:5], s22, v0, 0
	s_add_u32 s0, s0, s12
	s_addc_u32 s1, s1, s13
	s_waitcnt lgkmcnt(0)
	s_lshl_b32 s15, s15, 10
	s_lshl_b64 s[4:5], s[18:19], 3
	v_lshlrev_b64 v[1:2], 3, v[1:2]
	s_add_u32 s4, s20, s4
	s_addc_u32 s5, s21, s5
	s_load_dwordx2 s[0:1], s[0:1], 0x0
	v_mov_b32_e32 v3, s5
	v_add_co_u32_e32 v1, vcc, s4, v1
	v_addc_co_u32_e32 v2, vcc, v3, v2, vcc
	v_mad_i64_i32 v[3:4], s[4:5], s23, v0, 0
	s_mul_hi_i32 s5, s22, s15
	s_mul_i32 s4, s22, s15
	s_lshl_b64 s[4:5], s[4:5], 3
	s_lshl_b64 s[2:3], s[2:3], 3
	v_lshlrev_b64 v[3:4], 3, v[3:4]
	s_waitcnt lgkmcnt(0)
	s_add_u32 s0, s0, s2
	s_addc_u32 s1, s1, s3
	v_mov_b32_e32 v5, s1
	v_add_co_u32_e32 v3, vcc, s0, v3
	s_mul_hi_i32 s1, s23, s15
	s_mul_i32 s0, s23, s15
	s_lshl_b64 s[2:3], s[0:1], 3
	v_or_b32_e32 v6, s15, v0
	v_addc_co_u32_e32 v4, vcc, v5, v4, vcc
	v_mov_b32_e32 v5, 0
	s_mov_b64 s[12:13], 0
	v_mov_b32_e32 v8, s5
	v_mov_b32_e32 v9, s3
	s_mov_b32 s3, s7
.LBB105_2:                              ; =>This Inner Loop Header: Depth=1
	flat_load_dwordx2 v[10:11], v[3:4]
	flat_load_dwordx2 v[12:13], v[1:2]
	v_add_co_u32_e64 v1, s[0:1], s4, v1
	v_addc_co_u32_e64 v2, s[0:1], v2, v8, s[0:1]
	s_add_i32 s5, s3, 1
	v_add_co_u32_e64 v3, s[0:1], s2, v3
	v_addc_co_u32_e64 v4, s[0:1], v4, v9, s[0:1]
	s_cmp_gt_u32 s3, 30
	v_cmp_le_i32_e32 vcc, s14, v6
	s_cselect_b64 s[0:1], -1, 0
	s_or_b64 s[0:1], s[0:1], vcc
	s_and_b64 s[0:1], exec, s[0:1]
	v_add_u32_e32 v6, s15, v6
	s_mov_b32 s3, s5
	s_or_b64 s[12:13], s[0:1], s[12:13]
	s_waitcnt vmcnt(0) lgkmcnt(0)
	v_mul_f32_e32 v14, v13, v11
	v_mul_f32_e32 v11, v12, v11
	v_fma_f32 v12, v12, v10, -v14
	v_fmac_f32_e32 v11, v13, v10
	v_add_f32_e32 v7, v7, v12
	v_add_f32_e32 v5, v5, v11
	s_andn2_b64 exec, exec, s[12:13]
	s_cbranch_execnz .LBB105_2
; %bb.3:
	s_or_b64 exec, exec, s[12:13]
.LBB105_4:
	s_or_b64 exec, exec, s[10:11]
	v_and_b32_e32 v1, 63, v0
	v_cmp_gt_u32_e32 vcc, 64, v0
	v_lshlrev_b32_e32 v3, 3, v1
	s_and_saveexec_b64 s[0:1], vcc
; %bb.5:
	v_mov_b32_e32 v8, 0
	v_mov_b32_e32 v9, v8
	ds_write_b64 v3, v[8:9]
; %bb.6:
	s_or_b64 exec, exec, s[0:1]
	v_mbcnt_lo_u32_b32 v2, -1, 0
	v_mbcnt_hi_u32_b32 v9, -1, v2
	v_mov_b32_e32 v2, 0x80
	v_lshl_or_b32 v2, v9, 2, v2
	ds_bpermute_b32 v4, v2, v7
	ds_bpermute_b32 v2, v2, v5
	v_and_b32_e32 v10, 63, v9
	v_cmp_gt_u32_e64 s[0:1], 48, v10
	s_waitcnt lgkmcnt(0)
	v_add_f32_e32 v4, v7, v4
	v_add_f32_e32 v2, v5, v2
	v_cndmask_b32_e64 v5, 0, 16, s[0:1]
	v_add_lshl_u32 v5, v5, v9, 2
	ds_bpermute_b32 v6, v5, v4
	ds_bpermute_b32 v5, v5, v2
	v_cmp_gt_u32_e64 s[0:1], 56, v10
	s_waitcnt lgkmcnt(0)
	s_barrier
	v_add_f32_e32 v6, v4, v6
	v_cndmask_b32_e64 v4, 0, 8, s[0:1]
	v_add_lshl_u32 v4, v4, v9, 2
	v_add_f32_e32 v2, v2, v5
	ds_bpermute_b32 v5, v4, v6
	ds_bpermute_b32 v7, v4, v2
	v_cmp_gt_u32_e64 s[0:1], 60, v10
	s_waitcnt lgkmcnt(1)
	v_add_f32_e32 v6, v6, v5
	v_cndmask_b32_e64 v5, 0, 4, s[0:1]
	s_waitcnt lgkmcnt(0)
	v_add_f32_e32 v2, v2, v7
	v_add_lshl_u32 v5, v5, v9, 2
	ds_bpermute_b32 v8, v5, v2
	ds_bpermute_b32 v7, v5, v6
	v_cmp_gt_u32_e64 s[0:1], 62, v10
	s_waitcnt lgkmcnt(1)
	v_add_f32_e32 v8, v2, v8
	v_cndmask_b32_e64 v2, 0, 2, s[0:1]
	s_waitcnt lgkmcnt(0)
	v_add_f32_e32 v7, v6, v7
	v_add_lshl_u32 v6, v2, v9, 2
	ds_bpermute_b32 v2, v6, v7
	ds_bpermute_b32 v11, v6, v8
	v_cmp_ne_u32_e64 s[0:1], 63, v10
	s_waitcnt lgkmcnt(1)
	v_add_f32_e32 v2, v7, v2
	v_addc_co_u32_e64 v7, s[0:1], 0, v9, s[0:1]
	s_waitcnt lgkmcnt(0)
	v_add_f32_e32 v8, v8, v11
	v_lshlrev_b32_e32 v7, 2, v7
	ds_bpermute_b32 v9, v7, v2
	ds_bpermute_b32 v10, v7, v8
	v_cmp_eq_u32_e64 s[0:1], 0, v1
	s_and_saveexec_b64 s[2:3], s[0:1]
	s_cbranch_execz .LBB105_8
; %bb.7:
	s_waitcnt lgkmcnt(1)
	v_add_f32_e32 v1, v2, v9
	s_waitcnt lgkmcnt(0)
	v_add_f32_e32 v2, v8, v10
	v_lshrrev_b32_e32 v8, 3, v0
	v_and_b32_e32 v8, 0x78, v8
	ds_write_b64 v8, v[1:2]
.LBB105_8:
	s_or_b64 exec, exec, s[2:3]
	v_cmp_gt_u32_e64 s[0:1], 16, v0
	v_mov_b32_e32 v2, 0
	v_mov_b32_e32 v1, 0
	s_waitcnt lgkmcnt(0)
	s_barrier
	s_and_saveexec_b64 s[2:3], s[0:1]
	s_cbranch_execnz .LBB105_12
; %bb.9:
	s_or_b64 exec, exec, s[2:3]
	s_and_saveexec_b64 s[0:1], vcc
	s_cbranch_execnz .LBB105_13
.LBB105_10:
	s_or_b64 exec, exec, s[0:1]
	v_cmp_eq_u32_e32 vcc, 0, v0
	s_and_saveexec_b64 s[0:1], vcc
	s_cbranch_execnz .LBB105_14
.LBB105_11:
	s_endpgm
.LBB105_12:
	ds_read_b64 v[1:2], v3
	s_or_b64 exec, exec, s[2:3]
	s_and_saveexec_b64 s[0:1], vcc
	s_cbranch_execz .LBB105_10
.LBB105_13:
	s_waitcnt lgkmcnt(0)
	ds_bpermute_b32 v3, v4, v1
	ds_bpermute_b32 v4, v4, v2
	s_waitcnt lgkmcnt(1)
	v_add_f32_e32 v1, v1, v3
	s_waitcnt lgkmcnt(0)
	v_add_f32_e32 v2, v2, v4
	ds_bpermute_b32 v3, v5, v1
	ds_bpermute_b32 v4, v5, v2
	s_waitcnt lgkmcnt(1)
	v_add_f32_e32 v1, v1, v3
	s_waitcnt lgkmcnt(0)
	v_add_f32_e32 v2, v2, v4
	;; [unrolled: 6-line block ×4, first 2 shown]
	s_or_b64 exec, exec, s[0:1]
	v_cmp_eq_u32_e32 vcc, 0, v0
	s_and_saveexec_b64 s[0:1], vcc
	s_cbranch_execz .LBB105_11
.LBB105_14:
	s_lshl_b64 s[0:1], s[6:7], 3
	s_add_u32 s0, s8, s0
	s_addc_u32 s1, s9, s1
	v_mov_b32_e32 v0, 0
	s_waitcnt lgkmcnt(0)
	global_store_dwordx2 v0, v[1:2], s[0:1]
	s_endpgm
	.section	.rodata,"a",@progbits
	.p2align	6, 0x0
	.amdhsa_kernel _ZL18rocblas_dot_kernelIiLb1ELi1024ELi32ELb0E19rocblas_complex_numIfEPKPKS1_S1_EviT5_lT_lS6_lS7_liPT6_PT4_
		.amdhsa_group_segment_fixed_size 512
		.amdhsa_private_segment_fixed_size 0
		.amdhsa_kernarg_size 352
		.amdhsa_user_sgpr_count 6
		.amdhsa_user_sgpr_private_segment_buffer 1
		.amdhsa_user_sgpr_dispatch_ptr 0
		.amdhsa_user_sgpr_queue_ptr 0
		.amdhsa_user_sgpr_kernarg_segment_ptr 1
		.amdhsa_user_sgpr_dispatch_id 0
		.amdhsa_user_sgpr_flat_scratch_init 0
		.amdhsa_user_sgpr_private_segment_size 0
		.amdhsa_uses_dynamic_stack 0
		.amdhsa_system_sgpr_private_segment_wavefront_offset 0
		.amdhsa_system_sgpr_workgroup_id_x 1
		.amdhsa_system_sgpr_workgroup_id_y 0
		.amdhsa_system_sgpr_workgroup_id_z 1
		.amdhsa_system_sgpr_workgroup_info 0
		.amdhsa_system_vgpr_workitem_id 0
		.amdhsa_next_free_vgpr 15
		.amdhsa_next_free_sgpr 24
		.amdhsa_reserve_vcc 1
		.amdhsa_reserve_flat_scratch 0
		.amdhsa_float_round_mode_32 0
		.amdhsa_float_round_mode_16_64 0
		.amdhsa_float_denorm_mode_32 3
		.amdhsa_float_denorm_mode_16_64 3
		.amdhsa_dx10_clamp 1
		.amdhsa_ieee_mode 1
		.amdhsa_fp16_overflow 0
		.amdhsa_exception_fp_ieee_invalid_op 0
		.amdhsa_exception_fp_denorm_src 0
		.amdhsa_exception_fp_ieee_div_zero 0
		.amdhsa_exception_fp_ieee_overflow 0
		.amdhsa_exception_fp_ieee_underflow 0
		.amdhsa_exception_fp_ieee_inexact 0
		.amdhsa_exception_int_div_zero 0
	.end_amdhsa_kernel
	.section	.text._ZL18rocblas_dot_kernelIiLb1ELi1024ELi32ELb0E19rocblas_complex_numIfEPKPKS1_S1_EviT5_lT_lS6_lS7_liPT6_PT4_,"axG",@progbits,_ZL18rocblas_dot_kernelIiLb1ELi1024ELi32ELb0E19rocblas_complex_numIfEPKPKS1_S1_EviT5_lT_lS6_lS7_liPT6_PT4_,comdat
.Lfunc_end105:
	.size	_ZL18rocblas_dot_kernelIiLb1ELi1024ELi32ELb0E19rocblas_complex_numIfEPKPKS1_S1_EviT5_lT_lS6_lS7_liPT6_PT4_, .Lfunc_end105-_ZL18rocblas_dot_kernelIiLb1ELi1024ELi32ELb0E19rocblas_complex_numIfEPKPKS1_S1_EviT5_lT_lS6_lS7_liPT6_PT4_
                                        ; -- End function
	.set _ZL18rocblas_dot_kernelIiLb1ELi1024ELi32ELb0E19rocblas_complex_numIfEPKPKS1_S1_EviT5_lT_lS6_lS7_liPT6_PT4_.num_vgpr, 15
	.set _ZL18rocblas_dot_kernelIiLb1ELi1024ELi32ELb0E19rocblas_complex_numIfEPKPKS1_S1_EviT5_lT_lS6_lS7_liPT6_PT4_.num_agpr, 0
	.set _ZL18rocblas_dot_kernelIiLb1ELi1024ELi32ELb0E19rocblas_complex_numIfEPKPKS1_S1_EviT5_lT_lS6_lS7_liPT6_PT4_.numbered_sgpr, 24
	.set _ZL18rocblas_dot_kernelIiLb1ELi1024ELi32ELb0E19rocblas_complex_numIfEPKPKS1_S1_EviT5_lT_lS6_lS7_liPT6_PT4_.num_named_barrier, 0
	.set _ZL18rocblas_dot_kernelIiLb1ELi1024ELi32ELb0E19rocblas_complex_numIfEPKPKS1_S1_EviT5_lT_lS6_lS7_liPT6_PT4_.private_seg_size, 0
	.set _ZL18rocblas_dot_kernelIiLb1ELi1024ELi32ELb0E19rocblas_complex_numIfEPKPKS1_S1_EviT5_lT_lS6_lS7_liPT6_PT4_.uses_vcc, 1
	.set _ZL18rocblas_dot_kernelIiLb1ELi1024ELi32ELb0E19rocblas_complex_numIfEPKPKS1_S1_EviT5_lT_lS6_lS7_liPT6_PT4_.uses_flat_scratch, 0
	.set _ZL18rocblas_dot_kernelIiLb1ELi1024ELi32ELb0E19rocblas_complex_numIfEPKPKS1_S1_EviT5_lT_lS6_lS7_liPT6_PT4_.has_dyn_sized_stack, 0
	.set _ZL18rocblas_dot_kernelIiLb1ELi1024ELi32ELb0E19rocblas_complex_numIfEPKPKS1_S1_EviT5_lT_lS6_lS7_liPT6_PT4_.has_recursion, 0
	.set _ZL18rocblas_dot_kernelIiLb1ELi1024ELi32ELb0E19rocblas_complex_numIfEPKPKS1_S1_EviT5_lT_lS6_lS7_liPT6_PT4_.has_indirect_call, 0
	.section	.AMDGPU.csdata,"",@progbits
; Kernel info:
; codeLenInByte = 1084
; TotalNumSgprs: 28
; NumVgprs: 15
; ScratchSize: 0
; MemoryBound: 0
; FloatMode: 240
; IeeeMode: 1
; LDSByteSize: 512 bytes/workgroup (compile time only)
; SGPRBlocks: 3
; VGPRBlocks: 3
; NumSGPRsForWavesPerEU: 28
; NumVGPRsForWavesPerEU: 15
; Occupancy: 10
; WaveLimiterHint : 0
; COMPUTE_PGM_RSRC2:SCRATCH_EN: 0
; COMPUTE_PGM_RSRC2:USER_SGPR: 6
; COMPUTE_PGM_RSRC2:TRAP_HANDLER: 0
; COMPUTE_PGM_RSRC2:TGID_X_EN: 1
; COMPUTE_PGM_RSRC2:TGID_Y_EN: 0
; COMPUTE_PGM_RSRC2:TGID_Z_EN: 1
; COMPUTE_PGM_RSRC2:TIDIG_COMP_CNT: 0
	.section	.text._ZL24rocblas_dot_kernel_magsqIiLb1ELi1024ELi32ELb0E19rocblas_complex_numIfEPKPKS1_S1_EviT5_lT_liPT6_PT4_,"axG",@progbits,_ZL24rocblas_dot_kernel_magsqIiLb1ELi1024ELi32ELb0E19rocblas_complex_numIfEPKPKS1_S1_EviT5_lT_liPT6_PT4_,comdat
	.globl	_ZL24rocblas_dot_kernel_magsqIiLb1ELi1024ELi32ELb0E19rocblas_complex_numIfEPKPKS1_S1_EviT5_lT_liPT6_PT4_ ; -- Begin function _ZL24rocblas_dot_kernel_magsqIiLb1ELi1024ELi32ELb0E19rocblas_complex_numIfEPKPKS1_S1_EviT5_lT_liPT6_PT4_
	.p2align	8
	.type	_ZL24rocblas_dot_kernel_magsqIiLb1ELi1024ELi32ELb0E19rocblas_complex_numIfEPKPKS1_S1_EviT5_lT_liPT6_PT4_,@function
_ZL24rocblas_dot_kernel_magsqIiLb1ELi1024ELi32ELb0E19rocblas_complex_numIfEPKPKS1_S1_EviT5_lT_liPT6_PT4_: ; @_ZL24rocblas_dot_kernel_magsqIiLb1ELi1024ELi32ELb0E19rocblas_complex_numIfEPKPKS1_S1_EviT5_lT_liPT6_PT4_
; %bb.0:
	s_mov_b32 s2, s7
	s_load_dword s12, s[4:5], 0x0
	s_load_dwordx2 s[6:7], s[4:5], 0x38
	s_mov_b32 s3, 0
	v_mov_b32_e32 v3, 0
	v_mov_b32_e32 v5, 0
	s_waitcnt lgkmcnt(0)
	v_cmp_gt_i32_e32 vcc, s12, v0
	s_and_saveexec_b64 s[8:9], vcc
	s_cbranch_execz .LBB106_4
; %bb.1:
	s_load_dwordx4 s[16:19], s[4:5], 0x8
	s_lshl_b64 s[0:1], s[2:3], 3
	s_load_dword s10, s[4:5], 0x18
	s_load_dword s11, s[4:5], 0x40
	v_mov_b32_e32 v5, 0
	s_waitcnt lgkmcnt(0)
	s_add_u32 s0, s16, s0
	s_addc_u32 s1, s17, s1
	s_load_dwordx2 s[0:1], s[0:1], 0x0
	v_mad_i64_i32 v[1:2], s[4:5], s10, v0, 0
	s_lshl_b32 s13, s11, 10
	s_lshl_b64 s[4:5], s[18:19], 3
	v_lshlrev_b64 v[1:2], 3, v[1:2]
	s_waitcnt lgkmcnt(0)
	s_add_u32 s0, s0, s4
	s_addc_u32 s1, s1, s5
	v_mov_b32_e32 v3, s1
	v_add_co_u32_e32 v1, vcc, s0, v1
	s_mul_hi_i32 s1, s10, s13
	s_mul_i32 s0, s10, s13
	s_lshl_b64 s[4:5], s[0:1], 3
	v_or_b32_e32 v4, s13, v0
	v_addc_co_u32_e32 v2, vcc, v3, v2, vcc
	v_mov_b32_e32 v3, 0
	s_mov_b64 s[10:11], 0
	v_mov_b32_e32 v6, s5
	s_mov_b32 s5, s3
.LBB106_2:                              ; =>This Inner Loop Header: Depth=1
	flat_load_dwordx2 v[7:8], v[1:2]
	s_add_i32 s14, s5, 1
	v_add_co_u32_e64 v1, s[0:1], s4, v1
	v_addc_co_u32_e64 v2, s[0:1], v2, v6, s[0:1]
	s_cmp_gt_u32 s5, 30
	v_cmp_le_i32_e32 vcc, s12, v4
	s_cselect_b64 s[0:1], -1, 0
	s_or_b64 s[0:1], s[0:1], vcc
	s_and_b64 s[0:1], exec, s[0:1]
	v_add_u32_e32 v4, s13, v4
	s_mov_b32 s5, s14
	s_or_b64 s[10:11], s[0:1], s[10:11]
	s_waitcnt vmcnt(0) lgkmcnt(0)
	v_mul_f32_e32 v9, v8, v8
	v_mul_f32_e32 v8, v7, v8
	v_fma_f32 v7, v7, v7, -v9
	v_fmac_f32_e32 v3, 2.0, v8
	v_add_f32_e32 v5, v5, v7
	s_andn2_b64 exec, exec, s[10:11]
	s_cbranch_execnz .LBB106_2
; %bb.3:
	s_or_b64 exec, exec, s[10:11]
.LBB106_4:
	s_or_b64 exec, exec, s[8:9]
	v_and_b32_e32 v1, 63, v0
	v_cmp_gt_u32_e32 vcc, 64, v0
	v_lshlrev_b32_e32 v4, 3, v1
	s_and_saveexec_b64 s[0:1], vcc
; %bb.5:
	v_mov_b32_e32 v6, 0
	v_mov_b32_e32 v7, v6
	ds_write_b64 v4, v[6:7]
; %bb.6:
	s_or_b64 exec, exec, s[0:1]
	v_mbcnt_lo_u32_b32 v2, -1, 0
	v_mbcnt_hi_u32_b32 v7, -1, v2
	v_mov_b32_e32 v2, 0x80
	v_lshl_or_b32 v2, v7, 2, v2
	ds_bpermute_b32 v6, v2, v5
	ds_bpermute_b32 v2, v2, v3
	v_and_b32_e32 v9, 63, v7
	v_cmp_gt_u32_e64 s[0:1], 48, v9
	s_waitcnt lgkmcnt(0)
	v_add_f32_e32 v5, v5, v6
	v_add_f32_e32 v2, v3, v2
	v_cndmask_b32_e64 v3, 0, 16, s[0:1]
	v_add_lshl_u32 v3, v3, v7, 2
	ds_bpermute_b32 v6, v3, v5
	ds_bpermute_b32 v3, v3, v2
	v_cmp_gt_u32_e64 s[0:1], 56, v9
	s_waitcnt lgkmcnt(0)
	s_barrier
	v_add_f32_e32 v5, v5, v6
	v_add_f32_e32 v2, v2, v3
	v_cndmask_b32_e64 v3, 0, 8, s[0:1]
	v_add_lshl_u32 v3, v3, v7, 2
	ds_bpermute_b32 v6, v3, v5
	ds_bpermute_b32 v8, v3, v2
	v_cmp_gt_u32_e64 s[0:1], 60, v9
	s_waitcnt lgkmcnt(1)
	v_add_f32_e32 v6, v5, v6
	v_cndmask_b32_e64 v5, 0, 4, s[0:1]
	s_waitcnt lgkmcnt(0)
	v_add_f32_e32 v2, v2, v8
	v_add_lshl_u32 v5, v5, v7, 2
	ds_bpermute_b32 v10, v5, v2
	ds_bpermute_b32 v8, v5, v6
	v_cmp_gt_u32_e64 s[0:1], 62, v9
	s_waitcnt lgkmcnt(1)
	v_add_f32_e32 v10, v2, v10
	v_cndmask_b32_e64 v2, 0, 2, s[0:1]
	s_waitcnt lgkmcnt(0)
	v_add_f32_e32 v8, v6, v8
	v_add_lshl_u32 v6, v2, v7, 2
	ds_bpermute_b32 v2, v6, v8
	ds_bpermute_b32 v11, v6, v10
	v_cmp_ne_u32_e64 s[0:1], 63, v9
	v_addc_co_u32_e64 v7, s[0:1], 0, v7, s[0:1]
	s_waitcnt lgkmcnt(1)
	v_add_f32_e32 v2, v8, v2
	s_waitcnt lgkmcnt(0)
	v_add_f32_e32 v8, v10, v11
	v_lshlrev_b32_e32 v7, 2, v7
	ds_bpermute_b32 v9, v7, v2
	ds_bpermute_b32 v10, v7, v8
	v_cmp_eq_u32_e64 s[0:1], 0, v1
	s_and_saveexec_b64 s[4:5], s[0:1]
	s_cbranch_execz .LBB106_8
; %bb.7:
	s_waitcnt lgkmcnt(1)
	v_add_f32_e32 v1, v2, v9
	s_waitcnt lgkmcnt(0)
	v_add_f32_e32 v2, v8, v10
	v_lshrrev_b32_e32 v8, 3, v0
	v_and_b32_e32 v8, 0x78, v8
	ds_write_b64 v8, v[1:2]
.LBB106_8:
	s_or_b64 exec, exec, s[4:5]
	v_cmp_gt_u32_e64 s[0:1], 16, v0
	v_mov_b32_e32 v2, 0
	v_mov_b32_e32 v1, 0
	s_waitcnt lgkmcnt(0)
	s_barrier
	s_and_saveexec_b64 s[4:5], s[0:1]
	s_cbranch_execnz .LBB106_12
; %bb.9:
	s_or_b64 exec, exec, s[4:5]
	s_and_saveexec_b64 s[0:1], vcc
	s_cbranch_execnz .LBB106_13
.LBB106_10:
	s_or_b64 exec, exec, s[0:1]
	v_cmp_eq_u32_e32 vcc, 0, v0
	s_and_saveexec_b64 s[0:1], vcc
	s_cbranch_execnz .LBB106_14
.LBB106_11:
	s_endpgm
.LBB106_12:
	ds_read_b64 v[1:2], v4
	s_or_b64 exec, exec, s[4:5]
	s_and_saveexec_b64 s[0:1], vcc
	s_cbranch_execz .LBB106_10
.LBB106_13:
	s_waitcnt lgkmcnt(0)
	ds_bpermute_b32 v4, v3, v1
	ds_bpermute_b32 v3, v3, v2
	s_waitcnt lgkmcnt(1)
	v_add_f32_e32 v1, v1, v4
	s_waitcnt lgkmcnt(0)
	v_add_f32_e32 v2, v2, v3
	ds_bpermute_b32 v3, v5, v1
	ds_bpermute_b32 v4, v5, v2
	s_waitcnt lgkmcnt(1)
	v_add_f32_e32 v1, v1, v3
	s_waitcnt lgkmcnt(0)
	v_add_f32_e32 v2, v2, v4
	;; [unrolled: 6-line block ×4, first 2 shown]
	s_or_b64 exec, exec, s[0:1]
	v_cmp_eq_u32_e32 vcc, 0, v0
	s_and_saveexec_b64 s[0:1], vcc
	s_cbranch_execz .LBB106_11
.LBB106_14:
	s_lshl_b64 s[0:1], s[2:3], 3
	s_add_u32 s0, s6, s0
	s_addc_u32 s1, s7, s1
	v_mov_b32_e32 v0, 0
	s_waitcnt lgkmcnt(0)
	global_store_dwordx2 v0, v[1:2], s[0:1]
	s_endpgm
	.section	.rodata,"a",@progbits
	.p2align	6, 0x0
	.amdhsa_kernel _ZL24rocblas_dot_kernel_magsqIiLb1ELi1024ELi32ELb0E19rocblas_complex_numIfEPKPKS1_S1_EviT5_lT_liPT6_PT4_
		.amdhsa_group_segment_fixed_size 512
		.amdhsa_private_segment_fixed_size 0
		.amdhsa_kernarg_size 320
		.amdhsa_user_sgpr_count 6
		.amdhsa_user_sgpr_private_segment_buffer 1
		.amdhsa_user_sgpr_dispatch_ptr 0
		.amdhsa_user_sgpr_queue_ptr 0
		.amdhsa_user_sgpr_kernarg_segment_ptr 1
		.amdhsa_user_sgpr_dispatch_id 0
		.amdhsa_user_sgpr_flat_scratch_init 0
		.amdhsa_user_sgpr_private_segment_size 0
		.amdhsa_uses_dynamic_stack 0
		.amdhsa_system_sgpr_private_segment_wavefront_offset 0
		.amdhsa_system_sgpr_workgroup_id_x 1
		.amdhsa_system_sgpr_workgroup_id_y 0
		.amdhsa_system_sgpr_workgroup_id_z 1
		.amdhsa_system_sgpr_workgroup_info 0
		.amdhsa_system_vgpr_workitem_id 0
		.amdhsa_next_free_vgpr 12
		.amdhsa_next_free_sgpr 20
		.amdhsa_reserve_vcc 1
		.amdhsa_reserve_flat_scratch 0
		.amdhsa_float_round_mode_32 0
		.amdhsa_float_round_mode_16_64 0
		.amdhsa_float_denorm_mode_32 3
		.amdhsa_float_denorm_mode_16_64 3
		.amdhsa_dx10_clamp 1
		.amdhsa_ieee_mode 1
		.amdhsa_fp16_overflow 0
		.amdhsa_exception_fp_ieee_invalid_op 0
		.amdhsa_exception_fp_denorm_src 0
		.amdhsa_exception_fp_ieee_div_zero 0
		.amdhsa_exception_fp_ieee_overflow 0
		.amdhsa_exception_fp_ieee_underflow 0
		.amdhsa_exception_fp_ieee_inexact 0
		.amdhsa_exception_int_div_zero 0
	.end_amdhsa_kernel
	.section	.text._ZL24rocblas_dot_kernel_magsqIiLb1ELi1024ELi32ELb0E19rocblas_complex_numIfEPKPKS1_S1_EviT5_lT_liPT6_PT4_,"axG",@progbits,_ZL24rocblas_dot_kernel_magsqIiLb1ELi1024ELi32ELb0E19rocblas_complex_numIfEPKPKS1_S1_EviT5_lT_liPT6_PT4_,comdat
.Lfunc_end106:
	.size	_ZL24rocblas_dot_kernel_magsqIiLb1ELi1024ELi32ELb0E19rocblas_complex_numIfEPKPKS1_S1_EviT5_lT_liPT6_PT4_, .Lfunc_end106-_ZL24rocblas_dot_kernel_magsqIiLb1ELi1024ELi32ELb0E19rocblas_complex_numIfEPKPKS1_S1_EviT5_lT_liPT6_PT4_
                                        ; -- End function
	.set _ZL24rocblas_dot_kernel_magsqIiLb1ELi1024ELi32ELb0E19rocblas_complex_numIfEPKPKS1_S1_EviT5_lT_liPT6_PT4_.num_vgpr, 12
	.set _ZL24rocblas_dot_kernel_magsqIiLb1ELi1024ELi32ELb0E19rocblas_complex_numIfEPKPKS1_S1_EviT5_lT_liPT6_PT4_.num_agpr, 0
	.set _ZL24rocblas_dot_kernel_magsqIiLb1ELi1024ELi32ELb0E19rocblas_complex_numIfEPKPKS1_S1_EviT5_lT_liPT6_PT4_.numbered_sgpr, 20
	.set _ZL24rocblas_dot_kernel_magsqIiLb1ELi1024ELi32ELb0E19rocblas_complex_numIfEPKPKS1_S1_EviT5_lT_liPT6_PT4_.num_named_barrier, 0
	.set _ZL24rocblas_dot_kernel_magsqIiLb1ELi1024ELi32ELb0E19rocblas_complex_numIfEPKPKS1_S1_EviT5_lT_liPT6_PT4_.private_seg_size, 0
	.set _ZL24rocblas_dot_kernel_magsqIiLb1ELi1024ELi32ELb0E19rocblas_complex_numIfEPKPKS1_S1_EviT5_lT_liPT6_PT4_.uses_vcc, 1
	.set _ZL24rocblas_dot_kernel_magsqIiLb1ELi1024ELi32ELb0E19rocblas_complex_numIfEPKPKS1_S1_EviT5_lT_liPT6_PT4_.uses_flat_scratch, 0
	.set _ZL24rocblas_dot_kernel_magsqIiLb1ELi1024ELi32ELb0E19rocblas_complex_numIfEPKPKS1_S1_EviT5_lT_liPT6_PT4_.has_dyn_sized_stack, 0
	.set _ZL24rocblas_dot_kernel_magsqIiLb1ELi1024ELi32ELb0E19rocblas_complex_numIfEPKPKS1_S1_EviT5_lT_liPT6_PT4_.has_recursion, 0
	.set _ZL24rocblas_dot_kernel_magsqIiLb1ELi1024ELi32ELb0E19rocblas_complex_numIfEPKPKS1_S1_EviT5_lT_liPT6_PT4_.has_indirect_call, 0
	.section	.AMDGPU.csdata,"",@progbits
; Kernel info:
; codeLenInByte = 964
; TotalNumSgprs: 24
; NumVgprs: 12
; ScratchSize: 0
; MemoryBound: 0
; FloatMode: 240
; IeeeMode: 1
; LDSByteSize: 512 bytes/workgroup (compile time only)
; SGPRBlocks: 2
; VGPRBlocks: 2
; NumSGPRsForWavesPerEU: 24
; NumVGPRsForWavesPerEU: 12
; Occupancy: 10
; WaveLimiterHint : 0
; COMPUTE_PGM_RSRC2:SCRATCH_EN: 0
; COMPUTE_PGM_RSRC2:USER_SGPR: 6
; COMPUTE_PGM_RSRC2:TRAP_HANDLER: 0
; COMPUTE_PGM_RSRC2:TGID_X_EN: 1
; COMPUTE_PGM_RSRC2:TGID_Y_EN: 0
; COMPUTE_PGM_RSRC2:TGID_Z_EN: 1
; COMPUTE_PGM_RSRC2:TIDIG_COMP_CNT: 0
	.section	.text._ZL38rocblas_dot_kernel_gfx942_float_doubleIiLi1024E19rocblas_complex_numIfEPKPKS1_S1_EviT2_lT_lS6_lS7_lPT3_PT1_,"axG",@progbits,_ZL38rocblas_dot_kernel_gfx942_float_doubleIiLi1024E19rocblas_complex_numIfEPKPKS1_S1_EviT2_lT_lS6_lS7_lPT3_PT1_,comdat
	.globl	_ZL38rocblas_dot_kernel_gfx942_float_doubleIiLi1024E19rocblas_complex_numIfEPKPKS1_S1_EviT2_lT_lS6_lS7_lPT3_PT1_ ; -- Begin function _ZL38rocblas_dot_kernel_gfx942_float_doubleIiLi1024E19rocblas_complex_numIfEPKPKS1_S1_EviT2_lT_lS6_lS7_lPT3_PT1_
	.p2align	8
	.type	_ZL38rocblas_dot_kernel_gfx942_float_doubleIiLi1024E19rocblas_complex_numIfEPKPKS1_S1_EviT2_lT_lS6_lS7_lPT3_PT1_,@function
_ZL38rocblas_dot_kernel_gfx942_float_doubleIiLi1024E19rocblas_complex_numIfEPKPKS1_S1_EviT2_lT_lS6_lS7_lPT3_PT1_: ; @_ZL38rocblas_dot_kernel_gfx942_float_doubleIiLi1024E19rocblas_complex_numIfEPKPKS1_S1_EviT2_lT_lS6_lS7_lPT3_PT1_
; %bb.0:
	s_endpgm
	.section	.rodata,"a",@progbits
	.p2align	6, 0x0
	.amdhsa_kernel _ZL38rocblas_dot_kernel_gfx942_float_doubleIiLi1024E19rocblas_complex_numIfEPKPKS1_S1_EviT2_lT_lS6_lS7_lPT3_PT1_
		.amdhsa_group_segment_fixed_size 0
		.amdhsa_private_segment_fixed_size 0
		.amdhsa_kernarg_size 88
		.amdhsa_user_sgpr_count 6
		.amdhsa_user_sgpr_private_segment_buffer 1
		.amdhsa_user_sgpr_dispatch_ptr 0
		.amdhsa_user_sgpr_queue_ptr 0
		.amdhsa_user_sgpr_kernarg_segment_ptr 1
		.amdhsa_user_sgpr_dispatch_id 0
		.amdhsa_user_sgpr_flat_scratch_init 0
		.amdhsa_user_sgpr_private_segment_size 0
		.amdhsa_uses_dynamic_stack 0
		.amdhsa_system_sgpr_private_segment_wavefront_offset 0
		.amdhsa_system_sgpr_workgroup_id_x 1
		.amdhsa_system_sgpr_workgroup_id_y 0
		.amdhsa_system_sgpr_workgroup_id_z 0
		.amdhsa_system_sgpr_workgroup_info 0
		.amdhsa_system_vgpr_workitem_id 0
		.amdhsa_next_free_vgpr 1
		.amdhsa_next_free_sgpr 0
		.amdhsa_reserve_vcc 0
		.amdhsa_reserve_flat_scratch 0
		.amdhsa_float_round_mode_32 0
		.amdhsa_float_round_mode_16_64 0
		.amdhsa_float_denorm_mode_32 3
		.amdhsa_float_denorm_mode_16_64 3
		.amdhsa_dx10_clamp 1
		.amdhsa_ieee_mode 1
		.amdhsa_fp16_overflow 0
		.amdhsa_exception_fp_ieee_invalid_op 0
		.amdhsa_exception_fp_denorm_src 0
		.amdhsa_exception_fp_ieee_div_zero 0
		.amdhsa_exception_fp_ieee_overflow 0
		.amdhsa_exception_fp_ieee_underflow 0
		.amdhsa_exception_fp_ieee_inexact 0
		.amdhsa_exception_int_div_zero 0
	.end_amdhsa_kernel
	.section	.text._ZL38rocblas_dot_kernel_gfx942_float_doubleIiLi1024E19rocblas_complex_numIfEPKPKS1_S1_EviT2_lT_lS6_lS7_lPT3_PT1_,"axG",@progbits,_ZL38rocblas_dot_kernel_gfx942_float_doubleIiLi1024E19rocblas_complex_numIfEPKPKS1_S1_EviT2_lT_lS6_lS7_lPT3_PT1_,comdat
.Lfunc_end107:
	.size	_ZL38rocblas_dot_kernel_gfx942_float_doubleIiLi1024E19rocblas_complex_numIfEPKPKS1_S1_EviT2_lT_lS6_lS7_lPT3_PT1_, .Lfunc_end107-_ZL38rocblas_dot_kernel_gfx942_float_doubleIiLi1024E19rocblas_complex_numIfEPKPKS1_S1_EviT2_lT_lS6_lS7_lPT3_PT1_
                                        ; -- End function
	.set _ZL38rocblas_dot_kernel_gfx942_float_doubleIiLi1024E19rocblas_complex_numIfEPKPKS1_S1_EviT2_lT_lS6_lS7_lPT3_PT1_.num_vgpr, 0
	.set _ZL38rocblas_dot_kernel_gfx942_float_doubleIiLi1024E19rocblas_complex_numIfEPKPKS1_S1_EviT2_lT_lS6_lS7_lPT3_PT1_.num_agpr, 0
	.set _ZL38rocblas_dot_kernel_gfx942_float_doubleIiLi1024E19rocblas_complex_numIfEPKPKS1_S1_EviT2_lT_lS6_lS7_lPT3_PT1_.numbered_sgpr, 0
	.set _ZL38rocblas_dot_kernel_gfx942_float_doubleIiLi1024E19rocblas_complex_numIfEPKPKS1_S1_EviT2_lT_lS6_lS7_lPT3_PT1_.num_named_barrier, 0
	.set _ZL38rocblas_dot_kernel_gfx942_float_doubleIiLi1024E19rocblas_complex_numIfEPKPKS1_S1_EviT2_lT_lS6_lS7_lPT3_PT1_.private_seg_size, 0
	.set _ZL38rocblas_dot_kernel_gfx942_float_doubleIiLi1024E19rocblas_complex_numIfEPKPKS1_S1_EviT2_lT_lS6_lS7_lPT3_PT1_.uses_vcc, 0
	.set _ZL38rocblas_dot_kernel_gfx942_float_doubleIiLi1024E19rocblas_complex_numIfEPKPKS1_S1_EviT2_lT_lS6_lS7_lPT3_PT1_.uses_flat_scratch, 0
	.set _ZL38rocblas_dot_kernel_gfx942_float_doubleIiLi1024E19rocblas_complex_numIfEPKPKS1_S1_EviT2_lT_lS6_lS7_lPT3_PT1_.has_dyn_sized_stack, 0
	.set _ZL38rocblas_dot_kernel_gfx942_float_doubleIiLi1024E19rocblas_complex_numIfEPKPKS1_S1_EviT2_lT_lS6_lS7_lPT3_PT1_.has_recursion, 0
	.set _ZL38rocblas_dot_kernel_gfx942_float_doubleIiLi1024E19rocblas_complex_numIfEPKPKS1_S1_EviT2_lT_lS6_lS7_lPT3_PT1_.has_indirect_call, 0
	.section	.AMDGPU.csdata,"",@progbits
; Kernel info:
; codeLenInByte = 4
; TotalNumSgprs: 4
; NumVgprs: 0
; ScratchSize: 0
; MemoryBound: 0
; FloatMode: 240
; IeeeMode: 1
; LDSByteSize: 0 bytes/workgroup (compile time only)
; SGPRBlocks: 0
; VGPRBlocks: 0
; NumSGPRsForWavesPerEU: 4
; NumVGPRsForWavesPerEU: 1
; Occupancy: 10
; WaveLimiterHint : 0
; COMPUTE_PGM_RSRC2:SCRATCH_EN: 0
; COMPUTE_PGM_RSRC2:USER_SGPR: 6
; COMPUTE_PGM_RSRC2:TRAP_HANDLER: 0
; COMPUTE_PGM_RSRC2:TGID_X_EN: 1
; COMPUTE_PGM_RSRC2:TGID_Y_EN: 0
; COMPUTE_PGM_RSRC2:TGID_Z_EN: 0
; COMPUTE_PGM_RSRC2:TIDIG_COMP_CNT: 0
	.section	.text._ZL23rocblas_dot_kernel_inc1ILb0ELi512ELi2ELb0E19rocblas_complex_numIfEPKPKS1_S1_EviT4_llS6_lliPT5_PT3_,"axG",@progbits,_ZL23rocblas_dot_kernel_inc1ILb0ELi512ELi2ELb0E19rocblas_complex_numIfEPKPKS1_S1_EviT4_llS6_lliPT5_PT3_,comdat
	.globl	_ZL23rocblas_dot_kernel_inc1ILb0ELi512ELi2ELb0E19rocblas_complex_numIfEPKPKS1_S1_EviT4_llS6_lliPT5_PT3_ ; -- Begin function _ZL23rocblas_dot_kernel_inc1ILb0ELi512ELi2ELb0E19rocblas_complex_numIfEPKPKS1_S1_EviT4_llS6_lliPT5_PT3_
	.p2align	8
	.type	_ZL23rocblas_dot_kernel_inc1ILb0ELi512ELi2ELb0E19rocblas_complex_numIfEPKPKS1_S1_EviT4_llS6_lliPT5_PT3_,@function
_ZL23rocblas_dot_kernel_inc1ILb0ELi512ELi2ELb0E19rocblas_complex_numIfEPKPKS1_S1_EviT4_llS6_lliPT5_PT3_: ; @_ZL23rocblas_dot_kernel_inc1ILb0ELi512ELi2ELb0E19rocblas_complex_numIfEPKPKS1_S1_EviT4_llS6_lliPT5_PT3_
; %bb.0:
	s_mov_b32 s2, s7
	s_load_dword s7, s[4:5], 0x0
	s_load_dword s10, s[4:5], 0x50
	v_lshl_or_b32 v1, s6, 9, v0
	s_mov_b32 s3, 0
	v_mov_b32_e32 v4, 0
	s_waitcnt lgkmcnt(0)
	v_cmp_gt_i32_e32 vcc, s7, v1
	v_mov_b32_e32 v5, 0
	s_and_saveexec_b64 s[0:1], vcc
	s_cbranch_execz .LBB108_4
; %bb.1:
	s_load_dwordx4 s[12:15], s[4:5], 0x8
	s_load_dwordx4 s[16:19], s[4:5], 0x20
	s_lshl_b64 s[8:9], s[2:3], 3
	v_ashrrev_i32_e32 v2, 31, v1
	v_lshlrev_b64 v[1:2], 3, v[1:2]
	s_waitcnt lgkmcnt(0)
	s_add_u32 s12, s12, s8
	s_addc_u32 s13, s13, s9
	s_load_dwordx2 s[12:13], s[12:13], 0x0
	s_lshl_b64 s[14:15], s[14:15], 3
	s_waitcnt lgkmcnt(0)
	s_add_u32 s11, s12, s14
	s_addc_u32 s12, s13, s15
	s_add_u32 s8, s16, s8
	s_addc_u32 s9, s17, s9
	s_load_dwordx2 s[8:9], s[8:9], 0x0
	s_lshl_b64 s[14:15], s[18:19], 3
	v_mov_b32_e32 v5, s12
	s_waitcnt lgkmcnt(0)
	s_add_u32 s13, s8, s14
	s_addc_u32 s14, s9, s15
	v_mov_b32_e32 v4, s14
	v_add_co_u32_e32 v3, vcc, s13, v1
	v_addc_co_u32_e32 v4, vcc, v4, v2, vcc
	v_add_co_u32_e32 v1, vcc, s11, v1
	v_addc_co_u32_e32 v2, vcc, v5, v2, vcc
	flat_load_dwordx2 v[5:6], v[1:2]
	flat_load_dwordx2 v[7:8], v[3:4]
	s_add_i32 s8, s6, s10
	v_lshl_or_b32 v1, s8, 9, v0
	v_cmp_gt_i32_e32 vcc, s7, v1
	s_waitcnt vmcnt(0) lgkmcnt(0)
	v_mul_f32_e32 v2, v6, v8
	v_mul_f32_e32 v3, v5, v8
	v_fma_f32 v2, v5, v7, -v2
	v_fmac_f32_e32 v3, v6, v7
	v_add_f32_e32 v4, 0, v2
	v_add_f32_e32 v5, 0, v3
	s_and_saveexec_b64 s[8:9], vcc
	s_cbranch_execz .LBB108_3
; %bb.2:
	v_ashrrev_i32_e32 v2, 31, v1
	v_lshlrev_b64 v[1:2], 3, v[1:2]
	v_mov_b32_e32 v3, s12
	v_add_co_u32_e32 v6, vcc, s11, v1
	v_addc_co_u32_e32 v7, vcc, v3, v2, vcc
	v_mov_b32_e32 v3, s14
	v_add_co_u32_e32 v1, vcc, s13, v1
	v_addc_co_u32_e32 v2, vcc, v3, v2, vcc
	flat_load_dwordx2 v[6:7], v[6:7]
	s_nop 0
	flat_load_dwordx2 v[1:2], v[1:2]
	s_waitcnt vmcnt(0) lgkmcnt(0)
	v_mul_f32_e32 v3, v6, v2
	v_mul_f32_e32 v2, v7, v2
	v_fmac_f32_e32 v3, v7, v1
	v_fma_f32 v1, v6, v1, -v2
	v_add_f32_e32 v5, v5, v3
	v_add_f32_e32 v4, v4, v1
.LBB108_3:
	s_or_b64 exec, exec, s[8:9]
.LBB108_4:
	s_or_b64 exec, exec, s[0:1]
	v_and_b32_e32 v1, 63, v0
	v_cmp_gt_u32_e32 vcc, 64, v0
	v_lshlrev_b32_e32 v3, 3, v1
	s_and_saveexec_b64 s[0:1], vcc
; %bb.5:
	v_mov_b32_e32 v6, 0
	v_mov_b32_e32 v7, v6
	ds_write_b64 v3, v[6:7]
; %bb.6:
	s_or_b64 exec, exec, s[0:1]
	v_mbcnt_lo_u32_b32 v2, -1, 0
	v_mbcnt_hi_u32_b32 v6, -1, v2
	v_mov_b32_e32 v2, 0x80
	v_lshl_or_b32 v2, v6, 2, v2
	ds_bpermute_b32 v7, v2, v4
	ds_bpermute_b32 v2, v2, v5
	v_and_b32_e32 v8, 63, v6
	v_cmp_gt_u32_e64 s[0:1], 48, v8
	s_waitcnt lgkmcnt(0)
	v_add_f32_e32 v4, v4, v7
	v_add_f32_e32 v2, v5, v2
	v_cndmask_b32_e64 v5, 0, 16, s[0:1]
	v_add_lshl_u32 v5, v5, v6, 2
	ds_bpermute_b32 v7, v5, v4
	ds_bpermute_b32 v5, v5, v2
	v_cmp_gt_u32_e64 s[0:1], 56, v8
	s_waitcnt lgkmcnt(0)
	s_barrier
	v_add_f32_e32 v4, v4, v7
	v_add_f32_e32 v2, v2, v5
	v_cndmask_b32_e64 v5, 0, 8, s[0:1]
	v_add_lshl_u32 v5, v5, v6, 2
	ds_bpermute_b32 v7, v5, v4
	ds_bpermute_b32 v5, v5, v2
	v_cmp_gt_u32_e64 s[0:1], 60, v8
	s_waitcnt lgkmcnt(1)
	v_add_f32_e32 v7, v4, v7
	v_cndmask_b32_e64 v4, 0, 4, s[0:1]
	s_waitcnt lgkmcnt(0)
	v_add_f32_e32 v2, v2, v5
	v_add_lshl_u32 v4, v4, v6, 2
	ds_bpermute_b32 v9, v4, v2
	ds_bpermute_b32 v5, v4, v7
	v_cmp_gt_u32_e64 s[0:1], 62, v8
	s_waitcnt lgkmcnt(1)
	v_add_f32_e32 v9, v2, v9
	v_cndmask_b32_e64 v2, 0, 2, s[0:1]
	s_waitcnt lgkmcnt(0)
	v_add_f32_e32 v7, v7, v5
	v_add_lshl_u32 v5, v2, v6, 2
	ds_bpermute_b32 v2, v5, v7
	ds_bpermute_b32 v10, v5, v9
	v_cmp_ne_u32_e64 s[0:1], 63, v8
	v_addc_co_u32_e64 v6, s[0:1], 0, v6, s[0:1]
	s_waitcnt lgkmcnt(1)
	v_add_f32_e32 v2, v7, v2
	s_waitcnt lgkmcnt(0)
	v_add_f32_e32 v7, v9, v10
	v_lshlrev_b32_e32 v6, 2, v6
	ds_bpermute_b32 v8, v6, v2
	ds_bpermute_b32 v9, v6, v7
	v_cmp_eq_u32_e64 s[0:1], 0, v1
	s_and_saveexec_b64 s[8:9], s[0:1]
	s_cbranch_execz .LBB108_8
; %bb.7:
	s_waitcnt lgkmcnt(1)
	v_add_f32_e32 v1, v2, v8
	s_waitcnt lgkmcnt(0)
	v_add_f32_e32 v2, v7, v9
	v_lshrrev_b32_e32 v7, 3, v0
	v_and_b32_e32 v7, 56, v7
	ds_write_b64 v7, v[1:2]
.LBB108_8:
	s_or_b64 exec, exec, s[8:9]
	v_cmp_gt_u32_e64 s[0:1], 8, v0
	v_mov_b32_e32 v2, 0
	v_mov_b32_e32 v1, 0
	s_waitcnt lgkmcnt(0)
	s_barrier
	s_and_saveexec_b64 s[8:9], s[0:1]
	s_cbranch_execnz .LBB108_12
; %bb.9:
	s_or_b64 exec, exec, s[8:9]
	s_and_saveexec_b64 s[0:1], vcc
	s_cbranch_execnz .LBB108_13
.LBB108_10:
	s_or_b64 exec, exec, s[0:1]
	v_cmp_eq_u32_e32 vcc, 0, v0
	s_and_saveexec_b64 s[0:1], vcc
	s_cbranch_execnz .LBB108_14
.LBB108_11:
	s_endpgm
.LBB108_12:
	ds_read_b64 v[1:2], v3
	s_or_b64 exec, exec, s[8:9]
	s_and_saveexec_b64 s[0:1], vcc
	s_cbranch_execz .LBB108_10
.LBB108_13:
	s_waitcnt lgkmcnt(0)
	ds_bpermute_b32 v3, v4, v1
	ds_bpermute_b32 v4, v4, v2
	s_waitcnt lgkmcnt(1)
	v_add_f32_e32 v1, v1, v3
	s_waitcnt lgkmcnt(0)
	v_add_f32_e32 v2, v2, v4
	ds_bpermute_b32 v3, v5, v1
	ds_bpermute_b32 v4, v5, v2
	s_waitcnt lgkmcnt(1)
	v_add_f32_e32 v1, v1, v3
	s_waitcnt lgkmcnt(0)
	v_add_f32_e32 v2, v2, v4
	;; [unrolled: 6-line block ×3, first 2 shown]
	s_or_b64 exec, exec, s[0:1]
	v_cmp_eq_u32_e32 vcc, 0, v0
	s_and_saveexec_b64 s[0:1], vcc
	s_cbranch_execz .LBB108_11
.LBB108_14:
	s_cmp_lg_u32 s10, 1
	s_cbranch_scc0 .LBB108_16
; %bb.15:
	s_load_dwordx2 s[0:1], s[4:5], 0x40
	s_mul_hi_u32 s9, s10, s2
	s_mul_i32 s8, s10, s2
	s_lshl_b64 s[8:9], s[8:9], 3
	s_mov_b32 s7, 0
	s_waitcnt lgkmcnt(0)
	s_add_u32 s8, s0, s8
	s_addc_u32 s9, s1, s9
	s_lshl_b64 s[0:1], s[6:7], 3
	s_add_u32 s0, s8, s0
	s_addc_u32 s1, s9, s1
	v_mov_b32_e32 v0, 0
	global_store_dword v0, v1, s[0:1]
	s_cbranch_execz .LBB108_17
	s_branch .LBB108_18
.LBB108_16:
                                        ; implicit-def: $sgpr0_sgpr1
.LBB108_17:
	s_load_dwordx2 s[0:1], s[4:5], 0x48
	s_lshl_b64 s[2:3], s[2:3], 3
	v_mov_b32_e32 v0, 0
	s_waitcnt lgkmcnt(0)
	s_add_u32 s0, s0, s2
	s_addc_u32 s1, s1, s3
	global_store_dword v0, v1, s[0:1]
.LBB108_18:
	v_mov_b32_e32 v0, 0
	s_waitcnt lgkmcnt(0)
	global_store_dword v0, v2, s[0:1] offset:4
	s_endpgm
	.section	.rodata,"a",@progbits
	.p2align	6, 0x0
	.amdhsa_kernel _ZL23rocblas_dot_kernel_inc1ILb0ELi512ELi2ELb0E19rocblas_complex_numIfEPKPKS1_S1_EviT4_llS6_lliPT5_PT3_
		.amdhsa_group_segment_fixed_size 512
		.amdhsa_private_segment_fixed_size 0
		.amdhsa_kernarg_size 336
		.amdhsa_user_sgpr_count 6
		.amdhsa_user_sgpr_private_segment_buffer 1
		.amdhsa_user_sgpr_dispatch_ptr 0
		.amdhsa_user_sgpr_queue_ptr 0
		.amdhsa_user_sgpr_kernarg_segment_ptr 1
		.amdhsa_user_sgpr_dispatch_id 0
		.amdhsa_user_sgpr_flat_scratch_init 0
		.amdhsa_user_sgpr_private_segment_size 0
		.amdhsa_uses_dynamic_stack 0
		.amdhsa_system_sgpr_private_segment_wavefront_offset 0
		.amdhsa_system_sgpr_workgroup_id_x 1
		.amdhsa_system_sgpr_workgroup_id_y 0
		.amdhsa_system_sgpr_workgroup_id_z 1
		.amdhsa_system_sgpr_workgroup_info 0
		.amdhsa_system_vgpr_workitem_id 0
		.amdhsa_next_free_vgpr 11
		.amdhsa_next_free_sgpr 20
		.amdhsa_reserve_vcc 1
		.amdhsa_reserve_flat_scratch 0
		.amdhsa_float_round_mode_32 0
		.amdhsa_float_round_mode_16_64 0
		.amdhsa_float_denorm_mode_32 3
		.amdhsa_float_denorm_mode_16_64 3
		.amdhsa_dx10_clamp 1
		.amdhsa_ieee_mode 1
		.amdhsa_fp16_overflow 0
		.amdhsa_exception_fp_ieee_invalid_op 0
		.amdhsa_exception_fp_denorm_src 0
		.amdhsa_exception_fp_ieee_div_zero 0
		.amdhsa_exception_fp_ieee_overflow 0
		.amdhsa_exception_fp_ieee_underflow 0
		.amdhsa_exception_fp_ieee_inexact 0
		.amdhsa_exception_int_div_zero 0
	.end_amdhsa_kernel
	.section	.text._ZL23rocblas_dot_kernel_inc1ILb0ELi512ELi2ELb0E19rocblas_complex_numIfEPKPKS1_S1_EviT4_llS6_lliPT5_PT3_,"axG",@progbits,_ZL23rocblas_dot_kernel_inc1ILb0ELi512ELi2ELb0E19rocblas_complex_numIfEPKPKS1_S1_EviT4_llS6_lliPT5_PT3_,comdat
.Lfunc_end108:
	.size	_ZL23rocblas_dot_kernel_inc1ILb0ELi512ELi2ELb0E19rocblas_complex_numIfEPKPKS1_S1_EviT4_llS6_lliPT5_PT3_, .Lfunc_end108-_ZL23rocblas_dot_kernel_inc1ILb0ELi512ELi2ELb0E19rocblas_complex_numIfEPKPKS1_S1_EviT4_llS6_lliPT5_PT3_
                                        ; -- End function
	.set _ZL23rocblas_dot_kernel_inc1ILb0ELi512ELi2ELb0E19rocblas_complex_numIfEPKPKS1_S1_EviT4_llS6_lliPT5_PT3_.num_vgpr, 11
	.set _ZL23rocblas_dot_kernel_inc1ILb0ELi512ELi2ELb0E19rocblas_complex_numIfEPKPKS1_S1_EviT4_llS6_lliPT5_PT3_.num_agpr, 0
	.set _ZL23rocblas_dot_kernel_inc1ILb0ELi512ELi2ELb0E19rocblas_complex_numIfEPKPKS1_S1_EviT4_llS6_lliPT5_PT3_.numbered_sgpr, 20
	.set _ZL23rocblas_dot_kernel_inc1ILb0ELi512ELi2ELb0E19rocblas_complex_numIfEPKPKS1_S1_EviT4_llS6_lliPT5_PT3_.num_named_barrier, 0
	.set _ZL23rocblas_dot_kernel_inc1ILb0ELi512ELi2ELb0E19rocblas_complex_numIfEPKPKS1_S1_EviT4_llS6_lliPT5_PT3_.private_seg_size, 0
	.set _ZL23rocblas_dot_kernel_inc1ILb0ELi512ELi2ELb0E19rocblas_complex_numIfEPKPKS1_S1_EviT4_llS6_lliPT5_PT3_.uses_vcc, 1
	.set _ZL23rocblas_dot_kernel_inc1ILb0ELi512ELi2ELb0E19rocblas_complex_numIfEPKPKS1_S1_EviT4_llS6_lliPT5_PT3_.uses_flat_scratch, 0
	.set _ZL23rocblas_dot_kernel_inc1ILb0ELi512ELi2ELb0E19rocblas_complex_numIfEPKPKS1_S1_EviT4_llS6_lliPT5_PT3_.has_dyn_sized_stack, 0
	.set _ZL23rocblas_dot_kernel_inc1ILb0ELi512ELi2ELb0E19rocblas_complex_numIfEPKPKS1_S1_EviT4_llS6_lliPT5_PT3_.has_recursion, 0
	.set _ZL23rocblas_dot_kernel_inc1ILb0ELi512ELi2ELb0E19rocblas_complex_numIfEPKPKS1_S1_EviT4_llS6_lliPT5_PT3_.has_indirect_call, 0
	.section	.AMDGPU.csdata,"",@progbits
; Kernel info:
; codeLenInByte = 1092
; TotalNumSgprs: 24
; NumVgprs: 11
; ScratchSize: 0
; MemoryBound: 0
; FloatMode: 240
; IeeeMode: 1
; LDSByteSize: 512 bytes/workgroup (compile time only)
; SGPRBlocks: 2
; VGPRBlocks: 2
; NumSGPRsForWavesPerEU: 24
; NumVGPRsForWavesPerEU: 11
; Occupancy: 10
; WaveLimiterHint : 1
; COMPUTE_PGM_RSRC2:SCRATCH_EN: 0
; COMPUTE_PGM_RSRC2:USER_SGPR: 6
; COMPUTE_PGM_RSRC2:TRAP_HANDLER: 0
; COMPUTE_PGM_RSRC2:TGID_X_EN: 1
; COMPUTE_PGM_RSRC2:TGID_Y_EN: 0
; COMPUTE_PGM_RSRC2:TGID_Z_EN: 1
; COMPUTE_PGM_RSRC2:TIDIG_COMP_CNT: 0
	.section	.text._ZL18rocblas_dot_kernelIiLb0ELi512ELi2ELb0E19rocblas_complex_numIfEPKPKS1_S1_EviT5_lT_lS6_lS7_liPT6_PT4_,"axG",@progbits,_ZL18rocblas_dot_kernelIiLb0ELi512ELi2ELb0E19rocblas_complex_numIfEPKPKS1_S1_EviT5_lT_lS6_lS7_liPT6_PT4_,comdat
	.globl	_ZL18rocblas_dot_kernelIiLb0ELi512ELi2ELb0E19rocblas_complex_numIfEPKPKS1_S1_EviT5_lT_lS6_lS7_liPT6_PT4_ ; -- Begin function _ZL18rocblas_dot_kernelIiLb0ELi512ELi2ELb0E19rocblas_complex_numIfEPKPKS1_S1_EviT5_lT_lS6_lS7_liPT6_PT4_
	.p2align	8
	.type	_ZL18rocblas_dot_kernelIiLb0ELi512ELi2ELb0E19rocblas_complex_numIfEPKPKS1_S1_EviT5_lT_lS6_lS7_liPT6_PT4_,@function
_ZL18rocblas_dot_kernelIiLb0ELi512ELi2ELb0E19rocblas_complex_numIfEPKPKS1_S1_EviT5_lT_lS6_lS7_liPT6_PT4_: ; @_ZL18rocblas_dot_kernelIiLb0ELi512ELi2ELb0E19rocblas_complex_numIfEPKPKS1_S1_EviT5_lT_lS6_lS7_liPT6_PT4_
; %bb.0:
	s_mov_b32 s2, s7
	s_load_dword s7, s[4:5], 0x0
	s_load_dword s10, s[4:5], 0x60
	v_lshl_or_b32 v3, s6, 9, v0
	s_mov_b32 s3, 0
	v_mov_b32_e32 v1, 0
	s_waitcnt lgkmcnt(0)
	v_cmp_gt_i32_e32 vcc, s7, v3
	v_mov_b32_e32 v2, 0
	s_and_saveexec_b64 s[0:1], vcc
	s_cbranch_execz .LBB109_4
; %bb.1:
	s_load_dwordx4 s[16:19], s[4:5], 0x8
	s_load_dword s12, s[4:5], 0x18
	s_load_dword s11, s[4:5], 0x38
	s_lshl_b64 s[8:9], s[2:3], 3
	s_waitcnt lgkmcnt(0)
	s_add_u32 s14, s16, s8
	s_addc_u32 s15, s17, s9
	s_load_dwordx2 s[16:17], s[14:15], 0x0
	s_load_dwordx4 s[20:23], s[4:5], 0x28
	v_mad_i64_i32 v[1:2], s[14:15], v3, s11, 0
	s_lshl_b64 s[14:15], s[18:19], 3
	s_waitcnt lgkmcnt(0)
	s_add_u32 s13, s16, s14
	s_addc_u32 s14, s17, s15
	s_add_u32 s8, s20, s8
	s_addc_u32 s9, s21, s9
	s_load_dwordx2 s[8:9], s[8:9], 0x0
	v_mad_i64_i32 v[3:4], s[16:17], v3, s12, 0
	s_lshl_b64 s[16:17], s[22:23], 3
	v_lshlrev_b64 v[1:2], 3, v[1:2]
	s_waitcnt lgkmcnt(0)
	s_add_u32 s15, s8, s16
	s_addc_u32 s16, s9, s17
	v_mov_b32_e32 v5, s16
	v_add_co_u32_e32 v1, vcc, s15, v1
	v_lshlrev_b64 v[3:4], 3, v[3:4]
	v_addc_co_u32_e32 v2, vcc, v5, v2, vcc
	v_mov_b32_e32 v5, s14
	v_add_co_u32_e32 v3, vcc, s13, v3
	v_addc_co_u32_e32 v4, vcc, v5, v4, vcc
	flat_load_dwordx2 v[5:6], v[3:4]
	flat_load_dwordx2 v[7:8], v[1:2]
	s_add_i32 s8, s6, s10
	v_lshl_or_b32 v3, s8, 9, v0
	v_cmp_gt_i32_e32 vcc, s7, v3
	s_waitcnt vmcnt(0) lgkmcnt(0)
	v_mul_f32_e32 v1, v6, v8
	v_mul_f32_e32 v2, v5, v8
	v_fma_f32 v1, v5, v7, -v1
	v_fmac_f32_e32 v2, v6, v7
	v_add_f32_e32 v1, 0, v1
	v_add_f32_e32 v2, 0, v2
	s_and_saveexec_b64 s[8:9], vcc
	s_cbranch_execz .LBB109_3
; %bb.2:
	v_mad_i64_i32 v[4:5], s[18:19], v3, s12, 0
	v_mad_i64_i32 v[6:7], s[18:19], v3, s11, 0
	v_lshlrev_b64 v[4:5], 3, v[4:5]
	v_mov_b32_e32 v8, s14
	v_add_co_u32_e32 v3, vcc, s13, v4
	v_addc_co_u32_e32 v4, vcc, v8, v5, vcc
	v_lshlrev_b64 v[5:6], 3, v[6:7]
	v_mov_b32_e32 v7, s16
	v_add_co_u32_e32 v5, vcc, s15, v5
	v_addc_co_u32_e32 v6, vcc, v7, v6, vcc
	flat_load_dwordx2 v[3:4], v[3:4]
	s_nop 0
	flat_load_dwordx2 v[5:6], v[5:6]
	s_waitcnt vmcnt(0) lgkmcnt(0)
	v_mul_f32_e32 v7, v3, v6
	v_mul_f32_e32 v6, v4, v6
	v_fmac_f32_e32 v7, v4, v5
	v_fma_f32 v3, v3, v5, -v6
	v_add_f32_e32 v2, v2, v7
	v_add_f32_e32 v1, v1, v3
.LBB109_3:
	s_or_b64 exec, exec, s[8:9]
.LBB109_4:
	s_or_b64 exec, exec, s[0:1]
	v_and_b32_e32 v5, 63, v0
	v_cmp_gt_u32_e32 vcc, 64, v0
	v_lshlrev_b32_e32 v3, 3, v5
	s_and_saveexec_b64 s[0:1], vcc
; %bb.5:
	v_mov_b32_e32 v6, 0
	v_mov_b32_e32 v7, v6
	ds_write_b64 v3, v[6:7]
; %bb.6:
	s_or_b64 exec, exec, s[0:1]
	v_mbcnt_lo_u32_b32 v4, -1, 0
	v_mbcnt_hi_u32_b32 v7, -1, v4
	v_mov_b32_e32 v4, 0x80
	v_lshl_or_b32 v4, v7, 2, v4
	ds_bpermute_b32 v6, v4, v1
	ds_bpermute_b32 v4, v4, v2
	v_and_b32_e32 v8, 63, v7
	v_cmp_gt_u32_e64 s[0:1], 48, v8
	s_waitcnt lgkmcnt(0)
	v_add_f32_e32 v1, v1, v6
	v_add_f32_e32 v2, v2, v4
	v_cndmask_b32_e64 v4, 0, 16, s[0:1]
	v_add_lshl_u32 v4, v4, v7, 2
	ds_bpermute_b32 v6, v4, v1
	ds_bpermute_b32 v4, v4, v2
	v_cmp_gt_u32_e64 s[0:1], 56, v8
	s_waitcnt lgkmcnt(0)
	s_barrier
	v_add_f32_e32 v1, v1, v6
	v_add_f32_e32 v2, v2, v4
	v_cndmask_b32_e64 v4, 0, 8, s[0:1]
	v_add_lshl_u32 v4, v4, v7, 2
	ds_bpermute_b32 v6, v4, v1
	ds_bpermute_b32 v4, v4, v2
	v_cmp_gt_u32_e64 s[0:1], 60, v8
	s_waitcnt lgkmcnt(1)
	v_add_f32_e32 v1, v1, v6
	s_waitcnt lgkmcnt(0)
	v_add_f32_e32 v2, v2, v4
	v_cndmask_b32_e64 v4, 0, 4, s[0:1]
	v_add_lshl_u32 v4, v4, v7, 2
	ds_bpermute_b32 v6, v4, v1
	ds_bpermute_b32 v9, v4, v2
	v_cmp_gt_u32_e64 s[0:1], 62, v8
	s_waitcnt lgkmcnt(1)
	v_add_f32_e32 v1, v1, v6
	v_cndmask_b32_e64 v6, 0, 2, s[0:1]
	s_waitcnt lgkmcnt(0)
	v_add_f32_e32 v2, v2, v9
	v_add_lshl_u32 v6, v6, v7, 2
	ds_bpermute_b32 v9, v6, v1
	ds_bpermute_b32 v10, v6, v2
	v_cmp_ne_u32_e64 s[0:1], 63, v8
	v_addc_co_u32_e64 v7, s[0:1], 0, v7, s[0:1]
	s_waitcnt lgkmcnt(1)
	v_add_f32_e32 v1, v1, v9
	s_waitcnt lgkmcnt(0)
	v_add_f32_e32 v2, v2, v10
	v_lshlrev_b32_e32 v7, 2, v7
	ds_bpermute_b32 v8, v7, v1
	ds_bpermute_b32 v9, v7, v2
	v_cmp_eq_u32_e64 s[0:1], 0, v5
	s_and_saveexec_b64 s[8:9], s[0:1]
	s_cbranch_execz .LBB109_8
; %bb.7:
	v_lshrrev_b32_e32 v5, 3, v0
	s_waitcnt lgkmcnt(1)
	v_add_f32_e32 v1, v1, v8
	s_waitcnt lgkmcnt(0)
	v_add_f32_e32 v2, v2, v9
	v_and_b32_e32 v5, 56, v5
	ds_write_b64 v5, v[1:2]
.LBB109_8:
	s_or_b64 exec, exec, s[8:9]
	v_cmp_gt_u32_e64 s[0:1], 8, v0
	v_mov_b32_e32 v2, 0
	v_mov_b32_e32 v1, 0
	s_waitcnt lgkmcnt(0)
	s_barrier
	s_and_saveexec_b64 s[8:9], s[0:1]
	s_cbranch_execnz .LBB109_12
; %bb.9:
	s_or_b64 exec, exec, s[8:9]
	s_and_saveexec_b64 s[0:1], vcc
	s_cbranch_execnz .LBB109_13
.LBB109_10:
	s_or_b64 exec, exec, s[0:1]
	v_cmp_eq_u32_e32 vcc, 0, v0
	s_and_saveexec_b64 s[0:1], vcc
	s_cbranch_execnz .LBB109_14
.LBB109_11:
	s_endpgm
.LBB109_12:
	ds_read_b64 v[1:2], v3
	s_or_b64 exec, exec, s[8:9]
	s_and_saveexec_b64 s[0:1], vcc
	s_cbranch_execz .LBB109_10
.LBB109_13:
	s_waitcnt lgkmcnt(0)
	ds_bpermute_b32 v3, v4, v1
	ds_bpermute_b32 v4, v4, v2
	s_waitcnt lgkmcnt(1)
	v_add_f32_e32 v1, v1, v3
	s_waitcnt lgkmcnt(0)
	v_add_f32_e32 v2, v2, v4
	ds_bpermute_b32 v3, v6, v1
	ds_bpermute_b32 v4, v6, v2
	s_waitcnt lgkmcnt(1)
	v_add_f32_e32 v1, v1, v3
	s_waitcnt lgkmcnt(0)
	v_add_f32_e32 v2, v2, v4
	;; [unrolled: 6-line block ×3, first 2 shown]
	s_or_b64 exec, exec, s[0:1]
	v_cmp_eq_u32_e32 vcc, 0, v0
	s_and_saveexec_b64 s[0:1], vcc
	s_cbranch_execz .LBB109_11
.LBB109_14:
	s_cmp_lg_u32 s10, 1
	s_cbranch_scc0 .LBB109_16
; %bb.15:
	s_load_dwordx2 s[0:1], s[4:5], 0x50
	s_mul_hi_u32 s9, s10, s2
	s_mul_i32 s8, s10, s2
	s_lshl_b64 s[8:9], s[8:9], 3
	s_mov_b32 s7, 0
	s_waitcnt lgkmcnt(0)
	s_add_u32 s8, s0, s8
	s_addc_u32 s9, s1, s9
	s_lshl_b64 s[0:1], s[6:7], 3
	s_add_u32 s0, s8, s0
	s_addc_u32 s1, s9, s1
	v_mov_b32_e32 v0, 0
	global_store_dword v0, v1, s[0:1]
	s_cbranch_execz .LBB109_17
	s_branch .LBB109_18
.LBB109_16:
                                        ; implicit-def: $sgpr0_sgpr1
.LBB109_17:
	s_load_dwordx2 s[0:1], s[4:5], 0x58
	s_lshl_b64 s[2:3], s[2:3], 3
	v_mov_b32_e32 v0, 0
	s_waitcnt lgkmcnt(0)
	s_add_u32 s0, s0, s2
	s_addc_u32 s1, s1, s3
	global_store_dword v0, v1, s[0:1]
.LBB109_18:
	v_mov_b32_e32 v0, 0
	s_waitcnt lgkmcnt(0)
	global_store_dword v0, v2, s[0:1] offset:4
	s_endpgm
	.section	.rodata,"a",@progbits
	.p2align	6, 0x0
	.amdhsa_kernel _ZL18rocblas_dot_kernelIiLb0ELi512ELi2ELb0E19rocblas_complex_numIfEPKPKS1_S1_EviT5_lT_lS6_lS7_liPT6_PT4_
		.amdhsa_group_segment_fixed_size 512
		.amdhsa_private_segment_fixed_size 0
		.amdhsa_kernarg_size 352
		.amdhsa_user_sgpr_count 6
		.amdhsa_user_sgpr_private_segment_buffer 1
		.amdhsa_user_sgpr_dispatch_ptr 0
		.amdhsa_user_sgpr_queue_ptr 0
		.amdhsa_user_sgpr_kernarg_segment_ptr 1
		.amdhsa_user_sgpr_dispatch_id 0
		.amdhsa_user_sgpr_flat_scratch_init 0
		.amdhsa_user_sgpr_private_segment_size 0
		.amdhsa_uses_dynamic_stack 0
		.amdhsa_system_sgpr_private_segment_wavefront_offset 0
		.amdhsa_system_sgpr_workgroup_id_x 1
		.amdhsa_system_sgpr_workgroup_id_y 0
		.amdhsa_system_sgpr_workgroup_id_z 1
		.amdhsa_system_sgpr_workgroup_info 0
		.amdhsa_system_vgpr_workitem_id 0
		.amdhsa_next_free_vgpr 11
		.amdhsa_next_free_sgpr 24
		.amdhsa_reserve_vcc 1
		.amdhsa_reserve_flat_scratch 0
		.amdhsa_float_round_mode_32 0
		.amdhsa_float_round_mode_16_64 0
		.amdhsa_float_denorm_mode_32 3
		.amdhsa_float_denorm_mode_16_64 3
		.amdhsa_dx10_clamp 1
		.amdhsa_ieee_mode 1
		.amdhsa_fp16_overflow 0
		.amdhsa_exception_fp_ieee_invalid_op 0
		.amdhsa_exception_fp_denorm_src 0
		.amdhsa_exception_fp_ieee_div_zero 0
		.amdhsa_exception_fp_ieee_overflow 0
		.amdhsa_exception_fp_ieee_underflow 0
		.amdhsa_exception_fp_ieee_inexact 0
		.amdhsa_exception_int_div_zero 0
	.end_amdhsa_kernel
	.section	.text._ZL18rocblas_dot_kernelIiLb0ELi512ELi2ELb0E19rocblas_complex_numIfEPKPKS1_S1_EviT5_lT_lS6_lS7_liPT6_PT4_,"axG",@progbits,_ZL18rocblas_dot_kernelIiLb0ELi512ELi2ELb0E19rocblas_complex_numIfEPKPKS1_S1_EviT5_lT_lS6_lS7_liPT6_PT4_,comdat
.Lfunc_end109:
	.size	_ZL18rocblas_dot_kernelIiLb0ELi512ELi2ELb0E19rocblas_complex_numIfEPKPKS1_S1_EviT5_lT_lS6_lS7_liPT6_PT4_, .Lfunc_end109-_ZL18rocblas_dot_kernelIiLb0ELi512ELi2ELb0E19rocblas_complex_numIfEPKPKS1_S1_EviT5_lT_lS6_lS7_liPT6_PT4_
                                        ; -- End function
	.set _ZL18rocblas_dot_kernelIiLb0ELi512ELi2ELb0E19rocblas_complex_numIfEPKPKS1_S1_EviT5_lT_lS6_lS7_liPT6_PT4_.num_vgpr, 11
	.set _ZL18rocblas_dot_kernelIiLb0ELi512ELi2ELb0E19rocblas_complex_numIfEPKPKS1_S1_EviT5_lT_lS6_lS7_liPT6_PT4_.num_agpr, 0
	.set _ZL18rocblas_dot_kernelIiLb0ELi512ELi2ELb0E19rocblas_complex_numIfEPKPKS1_S1_EviT5_lT_lS6_lS7_liPT6_PT4_.numbered_sgpr, 24
	.set _ZL18rocblas_dot_kernelIiLb0ELi512ELi2ELb0E19rocblas_complex_numIfEPKPKS1_S1_EviT5_lT_lS6_lS7_liPT6_PT4_.num_named_barrier, 0
	.set _ZL18rocblas_dot_kernelIiLb0ELi512ELi2ELb0E19rocblas_complex_numIfEPKPKS1_S1_EviT5_lT_lS6_lS7_liPT6_PT4_.private_seg_size, 0
	.set _ZL18rocblas_dot_kernelIiLb0ELi512ELi2ELb0E19rocblas_complex_numIfEPKPKS1_S1_EviT5_lT_lS6_lS7_liPT6_PT4_.uses_vcc, 1
	.set _ZL18rocblas_dot_kernelIiLb0ELi512ELi2ELb0E19rocblas_complex_numIfEPKPKS1_S1_EviT5_lT_lS6_lS7_liPT6_PT4_.uses_flat_scratch, 0
	.set _ZL18rocblas_dot_kernelIiLb0ELi512ELi2ELb0E19rocblas_complex_numIfEPKPKS1_S1_EviT5_lT_lS6_lS7_liPT6_PT4_.has_dyn_sized_stack, 0
	.set _ZL18rocblas_dot_kernelIiLb0ELi512ELi2ELb0E19rocblas_complex_numIfEPKPKS1_S1_EviT5_lT_lS6_lS7_liPT6_PT4_.has_recursion, 0
	.set _ZL18rocblas_dot_kernelIiLb0ELi512ELi2ELb0E19rocblas_complex_numIfEPKPKS1_S1_EviT5_lT_lS6_lS7_liPT6_PT4_.has_indirect_call, 0
	.section	.AMDGPU.csdata,"",@progbits
; Kernel info:
; codeLenInByte = 1148
; TotalNumSgprs: 28
; NumVgprs: 11
; ScratchSize: 0
; MemoryBound: 0
; FloatMode: 240
; IeeeMode: 1
; LDSByteSize: 512 bytes/workgroup (compile time only)
; SGPRBlocks: 3
; VGPRBlocks: 2
; NumSGPRsForWavesPerEU: 28
; NumVGPRsForWavesPerEU: 11
; Occupancy: 10
; WaveLimiterHint : 1
; COMPUTE_PGM_RSRC2:SCRATCH_EN: 0
; COMPUTE_PGM_RSRC2:USER_SGPR: 6
; COMPUTE_PGM_RSRC2:TRAP_HANDLER: 0
; COMPUTE_PGM_RSRC2:TGID_X_EN: 1
; COMPUTE_PGM_RSRC2:TGID_Y_EN: 0
; COMPUTE_PGM_RSRC2:TGID_Z_EN: 1
; COMPUTE_PGM_RSRC2:TIDIG_COMP_CNT: 0
	.section	.text._ZL24rocblas_dot_kernel_magsqIiLb0ELi512ELi2ELb0E19rocblas_complex_numIfEPKPKS1_S1_EviT5_lT_liPT6_PT4_,"axG",@progbits,_ZL24rocblas_dot_kernel_magsqIiLb0ELi512ELi2ELb0E19rocblas_complex_numIfEPKPKS1_S1_EviT5_lT_liPT6_PT4_,comdat
	.globl	_ZL24rocblas_dot_kernel_magsqIiLb0ELi512ELi2ELb0E19rocblas_complex_numIfEPKPKS1_S1_EviT5_lT_liPT6_PT4_ ; -- Begin function _ZL24rocblas_dot_kernel_magsqIiLb0ELi512ELi2ELb0E19rocblas_complex_numIfEPKPKS1_S1_EviT5_lT_liPT6_PT4_
	.p2align	8
	.type	_ZL24rocblas_dot_kernel_magsqIiLb0ELi512ELi2ELb0E19rocblas_complex_numIfEPKPKS1_S1_EviT5_lT_liPT6_PT4_,@function
_ZL24rocblas_dot_kernel_magsqIiLb0ELi512ELi2ELb0E19rocblas_complex_numIfEPKPKS1_S1_EviT5_lT_liPT6_PT4_: ; @_ZL24rocblas_dot_kernel_magsqIiLb0ELi512ELi2ELb0E19rocblas_complex_numIfEPKPKS1_S1_EviT5_lT_liPT6_PT4_
; %bb.0:
	s_mov_b32 s2, s7
	s_load_dword s7, s[4:5], 0x0
	s_load_dword s10, s[4:5], 0x40
	v_lshl_or_b32 v3, s6, 9, v0
	s_mov_b32 s3, 0
	v_mov_b32_e32 v1, 0
	s_waitcnt lgkmcnt(0)
	v_cmp_gt_i32_e32 vcc, s7, v3
	v_mov_b32_e32 v2, 0
	s_and_saveexec_b64 s[0:1], vcc
	s_cbranch_execz .LBB110_4
; %bb.1:
	s_load_dwordx4 s[12:15], s[4:5], 0x8
	s_load_dword s11, s[4:5], 0x18
	s_lshl_b64 s[8:9], s[2:3], 3
	s_waitcnt lgkmcnt(0)
	s_add_u32 s8, s12, s8
	s_addc_u32 s9, s13, s9
	s_load_dwordx2 s[8:9], s[8:9], 0x0
	v_mad_i64_i32 v[1:2], s[16:17], v3, s11, 0
	s_lshl_b64 s[12:13], s[14:15], 3
	v_lshlrev_b64 v[1:2], 3, v[1:2]
	s_waitcnt lgkmcnt(0)
	s_add_u32 s12, s8, s12
	s_addc_u32 s13, s9, s13
	v_mov_b32_e32 v3, s13
	v_add_co_u32_e32 v1, vcc, s12, v1
	v_addc_co_u32_e32 v2, vcc, v3, v2, vcc
	flat_load_dwordx2 v[1:2], v[1:2]
	s_add_i32 s8, s6, s10
	v_lshl_or_b32 v3, s8, 9, v0
	v_cmp_gt_i32_e32 vcc, s7, v3
	s_waitcnt vmcnt(0) lgkmcnt(0)
	v_mul_f32_e32 v4, v2, v2
	v_mul_f32_e32 v2, v1, v2
	v_fma_f32 v1, v1, v1, -v4
	v_fma_f32 v2, v2, 2.0, 0
	s_and_saveexec_b64 s[8:9], vcc
	s_cbranch_execz .LBB110_3
; %bb.2:
	v_mad_i64_i32 v[3:4], s[14:15], v3, s11, 0
	v_mov_b32_e32 v5, s13
	v_lshlrev_b64 v[3:4], 3, v[3:4]
	v_add_co_u32_e32 v3, vcc, s12, v3
	v_addc_co_u32_e32 v4, vcc, v5, v4, vcc
	flat_load_dwordx2 v[3:4], v[3:4]
	s_waitcnt vmcnt(0) lgkmcnt(0)
	v_mul_f32_e32 v5, v3, v4
	v_mul_f32_e32 v4, v4, v4
	v_fma_f32 v3, v3, v3, -v4
	v_fmac_f32_e32 v2, 2.0, v5
	v_add_f32_e32 v1, v1, v3
.LBB110_3:
	s_or_b64 exec, exec, s[8:9]
.LBB110_4:
	s_or_b64 exec, exec, s[0:1]
	v_and_b32_e32 v5, 63, v0
	v_cmp_gt_u32_e32 vcc, 64, v0
	v_lshlrev_b32_e32 v3, 3, v5
	s_and_saveexec_b64 s[0:1], vcc
; %bb.5:
	v_mov_b32_e32 v6, 0
	v_mov_b32_e32 v7, v6
	ds_write_b64 v3, v[6:7]
; %bb.6:
	s_or_b64 exec, exec, s[0:1]
	v_mbcnt_lo_u32_b32 v4, -1, 0
	v_mbcnt_hi_u32_b32 v7, -1, v4
	v_mov_b32_e32 v4, 0x80
	v_lshl_or_b32 v4, v7, 2, v4
	ds_bpermute_b32 v6, v4, v1
	ds_bpermute_b32 v4, v4, v2
	v_and_b32_e32 v8, 63, v7
	v_cmp_gt_u32_e64 s[0:1], 48, v8
	s_waitcnt lgkmcnt(0)
	v_add_f32_e32 v1, v1, v6
	v_add_f32_e32 v2, v2, v4
	v_cndmask_b32_e64 v4, 0, 16, s[0:1]
	v_add_lshl_u32 v4, v4, v7, 2
	ds_bpermute_b32 v6, v4, v1
	ds_bpermute_b32 v4, v4, v2
	v_cmp_gt_u32_e64 s[0:1], 56, v8
	s_waitcnt lgkmcnt(0)
	s_barrier
	v_add_f32_e32 v1, v1, v6
	v_add_f32_e32 v2, v2, v4
	v_cndmask_b32_e64 v4, 0, 8, s[0:1]
	v_add_lshl_u32 v4, v4, v7, 2
	ds_bpermute_b32 v6, v4, v1
	ds_bpermute_b32 v4, v4, v2
	v_cmp_gt_u32_e64 s[0:1], 60, v8
	s_waitcnt lgkmcnt(1)
	v_add_f32_e32 v1, v1, v6
	s_waitcnt lgkmcnt(0)
	v_add_f32_e32 v2, v2, v4
	v_cndmask_b32_e64 v4, 0, 4, s[0:1]
	v_add_lshl_u32 v4, v4, v7, 2
	ds_bpermute_b32 v6, v4, v1
	ds_bpermute_b32 v9, v4, v2
	v_cmp_gt_u32_e64 s[0:1], 62, v8
	s_waitcnt lgkmcnt(1)
	v_add_f32_e32 v1, v1, v6
	v_cndmask_b32_e64 v6, 0, 2, s[0:1]
	s_waitcnt lgkmcnt(0)
	v_add_f32_e32 v2, v2, v9
	v_add_lshl_u32 v6, v6, v7, 2
	ds_bpermute_b32 v9, v6, v1
	ds_bpermute_b32 v10, v6, v2
	v_cmp_ne_u32_e64 s[0:1], 63, v8
	v_addc_co_u32_e64 v7, s[0:1], 0, v7, s[0:1]
	s_waitcnt lgkmcnt(1)
	v_add_f32_e32 v1, v1, v9
	s_waitcnt lgkmcnt(0)
	v_add_f32_e32 v2, v2, v10
	v_lshlrev_b32_e32 v7, 2, v7
	ds_bpermute_b32 v8, v7, v1
	ds_bpermute_b32 v9, v7, v2
	v_cmp_eq_u32_e64 s[0:1], 0, v5
	s_and_saveexec_b64 s[8:9], s[0:1]
	s_cbranch_execz .LBB110_8
; %bb.7:
	v_lshrrev_b32_e32 v5, 3, v0
	s_waitcnt lgkmcnt(1)
	v_add_f32_e32 v1, v1, v8
	s_waitcnt lgkmcnt(0)
	v_add_f32_e32 v2, v2, v9
	v_and_b32_e32 v5, 56, v5
	ds_write_b64 v5, v[1:2]
.LBB110_8:
	s_or_b64 exec, exec, s[8:9]
	v_cmp_gt_u32_e64 s[0:1], 8, v0
	v_mov_b32_e32 v2, 0
	v_mov_b32_e32 v1, 0
	s_waitcnt lgkmcnt(0)
	s_barrier
	s_and_saveexec_b64 s[8:9], s[0:1]
	s_cbranch_execnz .LBB110_12
; %bb.9:
	s_or_b64 exec, exec, s[8:9]
	s_and_saveexec_b64 s[0:1], vcc
	s_cbranch_execnz .LBB110_13
.LBB110_10:
	s_or_b64 exec, exec, s[0:1]
	v_cmp_eq_u32_e32 vcc, 0, v0
	s_and_saveexec_b64 s[0:1], vcc
	s_cbranch_execnz .LBB110_14
.LBB110_11:
	s_endpgm
.LBB110_12:
	ds_read_b64 v[1:2], v3
	s_or_b64 exec, exec, s[8:9]
	s_and_saveexec_b64 s[0:1], vcc
	s_cbranch_execz .LBB110_10
.LBB110_13:
	s_waitcnt lgkmcnt(0)
	ds_bpermute_b32 v3, v4, v1
	ds_bpermute_b32 v4, v4, v2
	s_waitcnt lgkmcnt(1)
	v_add_f32_e32 v1, v1, v3
	s_waitcnt lgkmcnt(0)
	v_add_f32_e32 v2, v2, v4
	ds_bpermute_b32 v3, v6, v1
	ds_bpermute_b32 v4, v6, v2
	s_waitcnt lgkmcnt(1)
	v_add_f32_e32 v1, v1, v3
	s_waitcnt lgkmcnt(0)
	v_add_f32_e32 v2, v2, v4
	;; [unrolled: 6-line block ×3, first 2 shown]
	s_or_b64 exec, exec, s[0:1]
	v_cmp_eq_u32_e32 vcc, 0, v0
	s_and_saveexec_b64 s[0:1], vcc
	s_cbranch_execz .LBB110_11
.LBB110_14:
	s_cmp_lg_u32 s10, 1
	s_cbranch_scc0 .LBB110_16
; %bb.15:
	s_load_dwordx2 s[0:1], s[4:5], 0x30
	s_mul_hi_u32 s9, s10, s2
	s_mul_i32 s8, s10, s2
	s_lshl_b64 s[8:9], s[8:9], 3
	s_mov_b32 s7, 0
	s_waitcnt lgkmcnt(0)
	s_add_u32 s8, s0, s8
	s_addc_u32 s9, s1, s9
	s_lshl_b64 s[0:1], s[6:7], 3
	s_add_u32 s0, s8, s0
	s_addc_u32 s1, s9, s1
	v_mov_b32_e32 v0, 0
	global_store_dword v0, v1, s[0:1]
	s_cbranch_execz .LBB110_17
	s_branch .LBB110_18
.LBB110_16:
                                        ; implicit-def: $sgpr0_sgpr1
.LBB110_17:
	s_load_dwordx2 s[0:1], s[4:5], 0x38
	s_lshl_b64 s[2:3], s[2:3], 3
	v_mov_b32_e32 v0, 0
	s_waitcnt lgkmcnt(0)
	s_add_u32 s0, s0, s2
	s_addc_u32 s1, s1, s3
	global_store_dword v0, v1, s[0:1]
.LBB110_18:
	v_mov_b32_e32 v0, 0
	s_waitcnt lgkmcnt(0)
	global_store_dword v0, v2, s[0:1] offset:4
	s_endpgm
	.section	.rodata,"a",@progbits
	.p2align	6, 0x0
	.amdhsa_kernel _ZL24rocblas_dot_kernel_magsqIiLb0ELi512ELi2ELb0E19rocblas_complex_numIfEPKPKS1_S1_EviT5_lT_liPT6_PT4_
		.amdhsa_group_segment_fixed_size 512
		.amdhsa_private_segment_fixed_size 0
		.amdhsa_kernarg_size 320
		.amdhsa_user_sgpr_count 6
		.amdhsa_user_sgpr_private_segment_buffer 1
		.amdhsa_user_sgpr_dispatch_ptr 0
		.amdhsa_user_sgpr_queue_ptr 0
		.amdhsa_user_sgpr_kernarg_segment_ptr 1
		.amdhsa_user_sgpr_dispatch_id 0
		.amdhsa_user_sgpr_flat_scratch_init 0
		.amdhsa_user_sgpr_private_segment_size 0
		.amdhsa_uses_dynamic_stack 0
		.amdhsa_system_sgpr_private_segment_wavefront_offset 0
		.amdhsa_system_sgpr_workgroup_id_x 1
		.amdhsa_system_sgpr_workgroup_id_y 0
		.amdhsa_system_sgpr_workgroup_id_z 1
		.amdhsa_system_sgpr_workgroup_info 0
		.amdhsa_system_vgpr_workitem_id 0
		.amdhsa_next_free_vgpr 11
		.amdhsa_next_free_sgpr 18
		.amdhsa_reserve_vcc 1
		.amdhsa_reserve_flat_scratch 0
		.amdhsa_float_round_mode_32 0
		.amdhsa_float_round_mode_16_64 0
		.amdhsa_float_denorm_mode_32 3
		.amdhsa_float_denorm_mode_16_64 3
		.amdhsa_dx10_clamp 1
		.amdhsa_ieee_mode 1
		.amdhsa_fp16_overflow 0
		.amdhsa_exception_fp_ieee_invalid_op 0
		.amdhsa_exception_fp_denorm_src 0
		.amdhsa_exception_fp_ieee_div_zero 0
		.amdhsa_exception_fp_ieee_overflow 0
		.amdhsa_exception_fp_ieee_underflow 0
		.amdhsa_exception_fp_ieee_inexact 0
		.amdhsa_exception_int_div_zero 0
	.end_amdhsa_kernel
	.section	.text._ZL24rocblas_dot_kernel_magsqIiLb0ELi512ELi2ELb0E19rocblas_complex_numIfEPKPKS1_S1_EviT5_lT_liPT6_PT4_,"axG",@progbits,_ZL24rocblas_dot_kernel_magsqIiLb0ELi512ELi2ELb0E19rocblas_complex_numIfEPKPKS1_S1_EviT5_lT_liPT6_PT4_,comdat
.Lfunc_end110:
	.size	_ZL24rocblas_dot_kernel_magsqIiLb0ELi512ELi2ELb0E19rocblas_complex_numIfEPKPKS1_S1_EviT5_lT_liPT6_PT4_, .Lfunc_end110-_ZL24rocblas_dot_kernel_magsqIiLb0ELi512ELi2ELb0E19rocblas_complex_numIfEPKPKS1_S1_EviT5_lT_liPT6_PT4_
                                        ; -- End function
	.set _ZL24rocblas_dot_kernel_magsqIiLb0ELi512ELi2ELb0E19rocblas_complex_numIfEPKPKS1_S1_EviT5_lT_liPT6_PT4_.num_vgpr, 11
	.set _ZL24rocblas_dot_kernel_magsqIiLb0ELi512ELi2ELb0E19rocblas_complex_numIfEPKPKS1_S1_EviT5_lT_liPT6_PT4_.num_agpr, 0
	.set _ZL24rocblas_dot_kernel_magsqIiLb0ELi512ELi2ELb0E19rocblas_complex_numIfEPKPKS1_S1_EviT5_lT_liPT6_PT4_.numbered_sgpr, 18
	.set _ZL24rocblas_dot_kernel_magsqIiLb0ELi512ELi2ELb0E19rocblas_complex_numIfEPKPKS1_S1_EviT5_lT_liPT6_PT4_.num_named_barrier, 0
	.set _ZL24rocblas_dot_kernel_magsqIiLb0ELi512ELi2ELb0E19rocblas_complex_numIfEPKPKS1_S1_EviT5_lT_liPT6_PT4_.private_seg_size, 0
	.set _ZL24rocblas_dot_kernel_magsqIiLb0ELi512ELi2ELb0E19rocblas_complex_numIfEPKPKS1_S1_EviT5_lT_liPT6_PT4_.uses_vcc, 1
	.set _ZL24rocblas_dot_kernel_magsqIiLb0ELi512ELi2ELb0E19rocblas_complex_numIfEPKPKS1_S1_EviT5_lT_liPT6_PT4_.uses_flat_scratch, 0
	.set _ZL24rocblas_dot_kernel_magsqIiLb0ELi512ELi2ELb0E19rocblas_complex_numIfEPKPKS1_S1_EviT5_lT_liPT6_PT4_.has_dyn_sized_stack, 0
	.set _ZL24rocblas_dot_kernel_magsqIiLb0ELi512ELi2ELb0E19rocblas_complex_numIfEPKPKS1_S1_EviT5_lT_liPT6_PT4_.has_recursion, 0
	.set _ZL24rocblas_dot_kernel_magsqIiLb0ELi512ELi2ELb0E19rocblas_complex_numIfEPKPKS1_S1_EviT5_lT_liPT6_PT4_.has_indirect_call, 0
	.section	.AMDGPU.csdata,"",@progbits
; Kernel info:
; codeLenInByte = 1016
; TotalNumSgprs: 22
; NumVgprs: 11
; ScratchSize: 0
; MemoryBound: 0
; FloatMode: 240
; IeeeMode: 1
; LDSByteSize: 512 bytes/workgroup (compile time only)
; SGPRBlocks: 2
; VGPRBlocks: 2
; NumSGPRsForWavesPerEU: 22
; NumVGPRsForWavesPerEU: 11
; Occupancy: 10
; WaveLimiterHint : 1
; COMPUTE_PGM_RSRC2:SCRATCH_EN: 0
; COMPUTE_PGM_RSRC2:USER_SGPR: 6
; COMPUTE_PGM_RSRC2:TRAP_HANDLER: 0
; COMPUTE_PGM_RSRC2:TGID_X_EN: 1
; COMPUTE_PGM_RSRC2:TGID_Y_EN: 0
; COMPUTE_PGM_RSRC2:TGID_Z_EN: 1
; COMPUTE_PGM_RSRC2:TIDIG_COMP_CNT: 0
	.section	.text._ZL28rocblas_dot_batched_4_kernelIiLi32ELi4ELb0E19rocblas_complex_numIdES1_PKPKS1_EviT5_lT_lS6_lS7_liPT4_,"axG",@progbits,_ZL28rocblas_dot_batched_4_kernelIiLi32ELi4ELb0E19rocblas_complex_numIdES1_PKPKS1_EviT5_lT_lS6_lS7_liPT4_,comdat
	.globl	_ZL28rocblas_dot_batched_4_kernelIiLi32ELi4ELb0E19rocblas_complex_numIdES1_PKPKS1_EviT5_lT_lS6_lS7_liPT4_ ; -- Begin function _ZL28rocblas_dot_batched_4_kernelIiLi32ELi4ELb0E19rocblas_complex_numIdES1_PKPKS1_EviT5_lT_lS6_lS7_liPT4_
	.p2align	8
	.type	_ZL28rocblas_dot_batched_4_kernelIiLi32ELi4ELb0E19rocblas_complex_numIdES1_PKPKS1_EviT5_lT_lS6_lS7_liPT4_,@function
_ZL28rocblas_dot_batched_4_kernelIiLi32ELi4ELb0E19rocblas_complex_numIdES1_PKPKS1_EviT5_lT_lS6_lS7_liPT4_: ; @_ZL28rocblas_dot_batched_4_kernelIiLi32ELi4ELb0E19rocblas_complex_numIdES1_PKPKS1_EviT5_lT_lS6_lS7_liPT4_
; %bb.0:
	s_load_dword s0, s[4:5], 0x48
	v_lshl_add_u32 v1, s6, 2, v1
	s_waitcnt lgkmcnt(0)
	v_cmp_gt_u32_e32 vcc, s0, v1
	s_and_saveexec_b64 s[0:1], vcc
	s_cbranch_execz .LBB111_7
; %bb.1:
	s_load_dword s14, s[4:5], 0x0
	s_load_dwordx2 s[6:7], s[4:5], 0x50
	v_mov_b32_e32 v3, 0
	v_mov_b32_e32 v5, 0
	;; [unrolled: 1-line block ×5, first 2 shown]
	s_waitcnt lgkmcnt(0)
	v_cmp_gt_i32_e32 vcc, s14, v0
	s_and_saveexec_b64 s[12:13], vcc
	s_cbranch_execz .LBB111_5
; %bb.2:
	s_load_dwordx4 s[0:3], s[4:5], 0x8
	s_load_dwordx4 s[8:11], s[4:5], 0x28
	v_lshlrev_b64 v[3:4], 3, v[1:2]
	s_load_dword s16, s[4:5], 0x18
	s_load_dword s18, s[4:5], 0x38
	s_mov_b64 s[4:5], 0
	s_waitcnt lgkmcnt(0)
	v_mov_b32_e32 v9, s1
	v_mov_b32_e32 v6, s9
	v_add_co_u32_e32 v5, vcc, s8, v3
	v_addc_co_u32_e32 v6, vcc, v6, v4, vcc
	global_load_dwordx2 v[7:8], v[5:6], off
	v_add_co_u32_e32 v3, vcc, s0, v3
	v_addc_co_u32_e32 v4, vcc, v9, v4, vcc
	global_load_dwordx2 v[9:10], v[3:4], off
	v_mad_i64_i32 v[11:12], s[0:1], s18, v0, 0
	v_mad_i64_i32 v[13:14], s[8:9], s16, v0, 0
	v_lshlrev_b64 v[11:12], 4, v[11:12]
	s_lshl_b64 s[0:1], s[10:11], 4
	v_mov_b32_e32 v15, s1
	v_lshlrev_b64 v[13:14], 4, v[13:14]
	v_add_co_u32_e32 v11, vcc, s0, v11
	s_lshl_b64 s[10:11], s[2:3], 4
	v_addc_co_u32_e32 v12, vcc, v12, v15, vcc
	v_mov_b32_e32 v16, s11
	v_add_co_u32_e32 v13, vcc, s10, v13
	v_addc_co_u32_e32 v14, vcc, v14, v16, vcc
	v_mov_b32_e32 v3, 0
	v_mov_b32_e32 v5, 0
	s_ashr_i32 s17, s16, 31
	s_ashr_i32 s19, s18, 31
	v_mov_b32_e32 v4, 0
	v_mov_b32_e32 v6, 0
	s_lshl_b64 s[2:3], s[18:19], 9
	s_lshl_b64 s[8:9], s[16:17], 9
	s_waitcnt vmcnt(1)
	v_add_co_u32_e32 v7, vcc, v7, v11
	v_addc_co_u32_e32 v8, vcc, v8, v12, vcc
	v_mov_b32_e32 v11, v0
	s_waitcnt vmcnt(0)
	v_add_co_u32_e32 v9, vcc, v9, v13
	v_addc_co_u32_e32 v10, vcc, v10, v14, vcc
.LBB111_3:                              ; =>This Inner Loop Header: Depth=1
	flat_load_dwordx4 v[12:15], v[9:10]
	flat_load_dwordx4 v[16:19], v[7:8]
	v_add_co_u32_e64 v7, s[0:1], s2, v7
	v_add_u32_e32 v11, 32, v11
	v_add_co_u32_e32 v9, vcc, s8, v9
	s_waitcnt vmcnt(0) lgkmcnt(0)
	v_mul_f64 v[20:21], v[14:15], v[18:19]
	v_fma_f64 v[20:21], v[12:13], v[16:17], -v[20:21]
	v_mul_f64 v[12:13], v[12:13], v[18:19]
	v_add_f64 v[3:4], v[3:4], v[20:21]
	v_fma_f64 v[12:13], v[14:15], v[16:17], v[12:13]
	v_mov_b32_e32 v14, s3
	v_addc_co_u32_e64 v8, s[0:1], v8, v14, s[0:1]
	v_mov_b32_e32 v15, s9
	v_cmp_le_i32_e64 s[0:1], s14, v11
	s_or_b64 s[4:5], s[0:1], s[4:5]
	v_addc_co_u32_e32 v10, vcc, v10, v15, vcc
	v_add_f64 v[5:6], v[5:6], v[12:13]
	s_andn2_b64 exec, exec, s[4:5]
	s_cbranch_execnz .LBB111_3
; %bb.4:
	s_or_b64 exec, exec, s[4:5]
.LBB111_5:
	s_or_b64 exec, exec, s[12:13]
	v_mbcnt_lo_u32_b32 v7, -1, 0
	v_mbcnt_hi_u32_b32 v11, -1, v7
	v_and_b32_e32 v12, 63, v11
	v_cmp_gt_u32_e32 vcc, 48, v12
	v_cndmask_b32_e64 v7, 0, 16, vcc
	v_add_lshl_u32 v10, v7, v11, 2
	ds_bpermute_b32 v7, v10, v3
	ds_bpermute_b32 v8, v10, v4
	;; [unrolled: 1-line block ×4, first 2 shown]
	v_cmp_gt_u32_e32 vcc, 56, v12
	s_waitcnt lgkmcnt(0)
	v_add_f64 v[3:4], v[3:4], v[7:8]
	v_cndmask_b32_e64 v7, 0, 8, vcc
	v_add_f64 v[5:6], v[5:6], v[9:10]
	v_add_lshl_u32 v10, v7, v11, 2
	v_cmp_gt_u32_e32 vcc, 60, v12
	s_barrier
	ds_bpermute_b32 v7, v10, v3
	ds_bpermute_b32 v8, v10, v4
	;; [unrolled: 1-line block ×4, first 2 shown]
	s_waitcnt lgkmcnt(2)
	v_add_f64 v[3:4], v[3:4], v[7:8]
	v_cndmask_b32_e64 v7, 0, 4, vcc
	s_waitcnt lgkmcnt(0)
	v_add_f64 v[5:6], v[5:6], v[9:10]
	v_add_lshl_u32 v10, v7, v11, 2
	v_cmp_gt_u32_e32 vcc, 62, v12
	ds_bpermute_b32 v7, v10, v3
	ds_bpermute_b32 v8, v10, v4
	;; [unrolled: 1-line block ×4, first 2 shown]
	s_waitcnt lgkmcnt(2)
	v_add_f64 v[3:4], v[3:4], v[7:8]
	v_cndmask_b32_e64 v7, 0, 2, vcc
	s_waitcnt lgkmcnt(0)
	v_add_f64 v[5:6], v[5:6], v[9:10]
	v_add_lshl_u32 v10, v7, v11, 2
	v_cmp_ne_u32_e32 vcc, 63, v12
	ds_bpermute_b32 v7, v10, v3
	ds_bpermute_b32 v8, v10, v4
	;; [unrolled: 1-line block ×4, first 2 shown]
	s_waitcnt lgkmcnt(2)
	v_add_f64 v[3:4], v[3:4], v[7:8]
	v_addc_co_u32_e32 v7, vcc, 0, v11, vcc
	s_waitcnt lgkmcnt(0)
	v_add_f64 v[5:6], v[5:6], v[9:10]
	v_lshlrev_b32_e32 v10, 2, v7
	v_cmp_eq_u32_e32 vcc, 0, v0
	ds_bpermute_b32 v7, v10, v3
	ds_bpermute_b32 v8, v10, v4
	ds_bpermute_b32 v9, v10, v5
	ds_bpermute_b32 v10, v10, v6
	s_and_b64 exec, exec, vcc
	s_cbranch_execz .LBB111_7
; %bb.6:
	s_waitcnt lgkmcnt(0)
	v_add_f64 v[5:6], v[5:6], v[9:10]
	v_add_f64 v[3:4], v[3:4], v[7:8]
	v_lshlrev_b64 v[0:1], 4, v[1:2]
	v_mov_b32_e32 v2, s7
	v_add_co_u32_e32 v0, vcc, s6, v0
	v_addc_co_u32_e32 v1, vcc, v2, v1, vcc
	global_store_dwordx4 v[0:1], v[3:6], off
.LBB111_7:
	s_endpgm
	.section	.rodata,"a",@progbits
	.p2align	6, 0x0
	.amdhsa_kernel _ZL28rocblas_dot_batched_4_kernelIiLi32ELi4ELb0E19rocblas_complex_numIdES1_PKPKS1_EviT5_lT_lS6_lS7_liPT4_
		.amdhsa_group_segment_fixed_size 0
		.amdhsa_private_segment_fixed_size 0
		.amdhsa_kernarg_size 88
		.amdhsa_user_sgpr_count 6
		.amdhsa_user_sgpr_private_segment_buffer 1
		.amdhsa_user_sgpr_dispatch_ptr 0
		.amdhsa_user_sgpr_queue_ptr 0
		.amdhsa_user_sgpr_kernarg_segment_ptr 1
		.amdhsa_user_sgpr_dispatch_id 0
		.amdhsa_user_sgpr_flat_scratch_init 0
		.amdhsa_user_sgpr_private_segment_size 0
		.amdhsa_uses_dynamic_stack 0
		.amdhsa_system_sgpr_private_segment_wavefront_offset 0
		.amdhsa_system_sgpr_workgroup_id_x 1
		.amdhsa_system_sgpr_workgroup_id_y 0
		.amdhsa_system_sgpr_workgroup_id_z 0
		.amdhsa_system_sgpr_workgroup_info 0
		.amdhsa_system_vgpr_workitem_id 1
		.amdhsa_next_free_vgpr 22
		.amdhsa_next_free_sgpr 20
		.amdhsa_reserve_vcc 1
		.amdhsa_reserve_flat_scratch 0
		.amdhsa_float_round_mode_32 0
		.amdhsa_float_round_mode_16_64 0
		.amdhsa_float_denorm_mode_32 3
		.amdhsa_float_denorm_mode_16_64 3
		.amdhsa_dx10_clamp 1
		.amdhsa_ieee_mode 1
		.amdhsa_fp16_overflow 0
		.amdhsa_exception_fp_ieee_invalid_op 0
		.amdhsa_exception_fp_denorm_src 0
		.amdhsa_exception_fp_ieee_div_zero 0
		.amdhsa_exception_fp_ieee_overflow 0
		.amdhsa_exception_fp_ieee_underflow 0
		.amdhsa_exception_fp_ieee_inexact 0
		.amdhsa_exception_int_div_zero 0
	.end_amdhsa_kernel
	.section	.text._ZL28rocblas_dot_batched_4_kernelIiLi32ELi4ELb0E19rocblas_complex_numIdES1_PKPKS1_EviT5_lT_lS6_lS7_liPT4_,"axG",@progbits,_ZL28rocblas_dot_batched_4_kernelIiLi32ELi4ELb0E19rocblas_complex_numIdES1_PKPKS1_EviT5_lT_lS6_lS7_liPT4_,comdat
.Lfunc_end111:
	.size	_ZL28rocblas_dot_batched_4_kernelIiLi32ELi4ELb0E19rocblas_complex_numIdES1_PKPKS1_EviT5_lT_lS6_lS7_liPT4_, .Lfunc_end111-_ZL28rocblas_dot_batched_4_kernelIiLi32ELi4ELb0E19rocblas_complex_numIdES1_PKPKS1_EviT5_lT_lS6_lS7_liPT4_
                                        ; -- End function
	.set _ZL28rocblas_dot_batched_4_kernelIiLi32ELi4ELb0E19rocblas_complex_numIdES1_PKPKS1_EviT5_lT_lS6_lS7_liPT4_.num_vgpr, 22
	.set _ZL28rocblas_dot_batched_4_kernelIiLi32ELi4ELb0E19rocblas_complex_numIdES1_PKPKS1_EviT5_lT_lS6_lS7_liPT4_.num_agpr, 0
	.set _ZL28rocblas_dot_batched_4_kernelIiLi32ELi4ELb0E19rocblas_complex_numIdES1_PKPKS1_EviT5_lT_lS6_lS7_liPT4_.numbered_sgpr, 20
	.set _ZL28rocblas_dot_batched_4_kernelIiLi32ELi4ELb0E19rocblas_complex_numIdES1_PKPKS1_EviT5_lT_lS6_lS7_liPT4_.num_named_barrier, 0
	.set _ZL28rocblas_dot_batched_4_kernelIiLi32ELi4ELb0E19rocblas_complex_numIdES1_PKPKS1_EviT5_lT_lS6_lS7_liPT4_.private_seg_size, 0
	.set _ZL28rocblas_dot_batched_4_kernelIiLi32ELi4ELb0E19rocblas_complex_numIdES1_PKPKS1_EviT5_lT_lS6_lS7_liPT4_.uses_vcc, 1
	.set _ZL28rocblas_dot_batched_4_kernelIiLi32ELi4ELb0E19rocblas_complex_numIdES1_PKPKS1_EviT5_lT_lS6_lS7_liPT4_.uses_flat_scratch, 0
	.set _ZL28rocblas_dot_batched_4_kernelIiLi32ELi4ELb0E19rocblas_complex_numIdES1_PKPKS1_EviT5_lT_lS6_lS7_liPT4_.has_dyn_sized_stack, 0
	.set _ZL28rocblas_dot_batched_4_kernelIiLi32ELi4ELb0E19rocblas_complex_numIdES1_PKPKS1_EviT5_lT_lS6_lS7_liPT4_.has_recursion, 0
	.set _ZL28rocblas_dot_batched_4_kernelIiLi32ELi4ELb0E19rocblas_complex_numIdES1_PKPKS1_EviT5_lT_lS6_lS7_liPT4_.has_indirect_call, 0
	.section	.AMDGPU.csdata,"",@progbits
; Kernel info:
; codeLenInByte = 860
; TotalNumSgprs: 24
; NumVgprs: 22
; ScratchSize: 0
; MemoryBound: 0
; FloatMode: 240
; IeeeMode: 1
; LDSByteSize: 0 bytes/workgroup (compile time only)
; SGPRBlocks: 2
; VGPRBlocks: 5
; NumSGPRsForWavesPerEU: 24
; NumVGPRsForWavesPerEU: 22
; Occupancy: 10
; WaveLimiterHint : 0
; COMPUTE_PGM_RSRC2:SCRATCH_EN: 0
; COMPUTE_PGM_RSRC2:USER_SGPR: 6
; COMPUTE_PGM_RSRC2:TRAP_HANDLER: 0
; COMPUTE_PGM_RSRC2:TGID_X_EN: 1
; COMPUTE_PGM_RSRC2:TGID_Y_EN: 0
; COMPUTE_PGM_RSRC2:TGID_Z_EN: 0
; COMPUTE_PGM_RSRC2:TIDIG_COMP_CNT: 1
	.section	.text._ZL28rocblas_dot_batched_4_kernelIiLi64ELi4ELb0E19rocblas_complex_numIdES1_PKPKS1_EviT5_lT_lS6_lS7_liPT4_,"axG",@progbits,_ZL28rocblas_dot_batched_4_kernelIiLi64ELi4ELb0E19rocblas_complex_numIdES1_PKPKS1_EviT5_lT_lS6_lS7_liPT4_,comdat
	.globl	_ZL28rocblas_dot_batched_4_kernelIiLi64ELi4ELb0E19rocblas_complex_numIdES1_PKPKS1_EviT5_lT_lS6_lS7_liPT4_ ; -- Begin function _ZL28rocblas_dot_batched_4_kernelIiLi64ELi4ELb0E19rocblas_complex_numIdES1_PKPKS1_EviT5_lT_lS6_lS7_liPT4_
	.p2align	8
	.type	_ZL28rocblas_dot_batched_4_kernelIiLi64ELi4ELb0E19rocblas_complex_numIdES1_PKPKS1_EviT5_lT_lS6_lS7_liPT4_,@function
_ZL28rocblas_dot_batched_4_kernelIiLi64ELi4ELb0E19rocblas_complex_numIdES1_PKPKS1_EviT5_lT_lS6_lS7_liPT4_: ; @_ZL28rocblas_dot_batched_4_kernelIiLi64ELi4ELb0E19rocblas_complex_numIdES1_PKPKS1_EviT5_lT_lS6_lS7_liPT4_
; %bb.0:
	s_load_dword s0, s[4:5], 0x48
	v_lshl_add_u32 v1, s6, 2, v1
	s_waitcnt lgkmcnt(0)
	v_cmp_gt_u32_e32 vcc, s0, v1
	s_and_saveexec_b64 s[0:1], vcc
	s_cbranch_execz .LBB112_7
; %bb.1:
	s_load_dword s14, s[4:5], 0x0
	s_load_dwordx2 s[6:7], s[4:5], 0x50
	v_mov_b32_e32 v3, 0
	v_mov_b32_e32 v5, 0
	;; [unrolled: 1-line block ×5, first 2 shown]
	s_waitcnt lgkmcnt(0)
	v_cmp_gt_i32_e32 vcc, s14, v0
	s_and_saveexec_b64 s[12:13], vcc
	s_cbranch_execz .LBB112_5
; %bb.2:
	s_load_dwordx4 s[0:3], s[4:5], 0x8
	s_load_dwordx4 s[8:11], s[4:5], 0x28
	v_lshlrev_b64 v[3:4], 3, v[1:2]
	s_load_dword s16, s[4:5], 0x18
	s_load_dword s18, s[4:5], 0x38
	s_mov_b64 s[4:5], 0
	s_waitcnt lgkmcnt(0)
	v_mov_b32_e32 v9, s1
	v_mov_b32_e32 v6, s9
	v_add_co_u32_e32 v5, vcc, s8, v3
	v_addc_co_u32_e32 v6, vcc, v6, v4, vcc
	global_load_dwordx2 v[7:8], v[5:6], off
	v_add_co_u32_e32 v3, vcc, s0, v3
	v_addc_co_u32_e32 v4, vcc, v9, v4, vcc
	global_load_dwordx2 v[9:10], v[3:4], off
	v_mad_i64_i32 v[11:12], s[0:1], s18, v0, 0
	v_mad_i64_i32 v[13:14], s[8:9], s16, v0, 0
	v_lshlrev_b64 v[11:12], 4, v[11:12]
	s_lshl_b64 s[0:1], s[10:11], 4
	v_mov_b32_e32 v15, s1
	v_lshlrev_b64 v[13:14], 4, v[13:14]
	v_add_co_u32_e32 v11, vcc, s0, v11
	s_lshl_b64 s[10:11], s[2:3], 4
	v_addc_co_u32_e32 v12, vcc, v12, v15, vcc
	v_mov_b32_e32 v16, s11
	v_add_co_u32_e32 v13, vcc, s10, v13
	v_addc_co_u32_e32 v14, vcc, v14, v16, vcc
	v_mov_b32_e32 v3, 0
	v_mov_b32_e32 v5, 0
	s_ashr_i32 s17, s16, 31
	s_ashr_i32 s19, s18, 31
	v_mov_b32_e32 v4, 0
	v_mov_b32_e32 v6, 0
	s_lshl_b64 s[2:3], s[18:19], 10
	s_lshl_b64 s[8:9], s[16:17], 10
	s_waitcnt vmcnt(1)
	v_add_co_u32_e32 v7, vcc, v7, v11
	v_addc_co_u32_e32 v8, vcc, v8, v12, vcc
	v_mov_b32_e32 v11, v0
	s_waitcnt vmcnt(0)
	v_add_co_u32_e32 v9, vcc, v9, v13
	v_addc_co_u32_e32 v10, vcc, v10, v14, vcc
.LBB112_3:                              ; =>This Inner Loop Header: Depth=1
	flat_load_dwordx4 v[12:15], v[9:10]
	flat_load_dwordx4 v[16:19], v[7:8]
	v_add_co_u32_e64 v7, s[0:1], s2, v7
	v_add_u32_e32 v11, 64, v11
	v_add_co_u32_e32 v9, vcc, s8, v9
	s_waitcnt vmcnt(0) lgkmcnt(0)
	v_mul_f64 v[20:21], v[14:15], v[18:19]
	v_fma_f64 v[20:21], v[12:13], v[16:17], -v[20:21]
	v_mul_f64 v[12:13], v[12:13], v[18:19]
	v_add_f64 v[3:4], v[3:4], v[20:21]
	v_fma_f64 v[12:13], v[14:15], v[16:17], v[12:13]
	v_mov_b32_e32 v14, s3
	v_addc_co_u32_e64 v8, s[0:1], v8, v14, s[0:1]
	v_mov_b32_e32 v15, s9
	v_cmp_le_i32_e64 s[0:1], s14, v11
	s_or_b64 s[4:5], s[0:1], s[4:5]
	v_addc_co_u32_e32 v10, vcc, v10, v15, vcc
	v_add_f64 v[5:6], v[5:6], v[12:13]
	s_andn2_b64 exec, exec, s[4:5]
	s_cbranch_execnz .LBB112_3
; %bb.4:
	s_or_b64 exec, exec, s[4:5]
.LBB112_5:
	s_or_b64 exec, exec, s[12:13]
	v_mbcnt_lo_u32_b32 v7, -1, 0
	v_mbcnt_hi_u32_b32 v11, -1, v7
	v_mov_b32_e32 v7, 0x80
	v_lshl_or_b32 v10, v11, 2, v7
	ds_bpermute_b32 v7, v10, v3
	ds_bpermute_b32 v8, v10, v4
	;; [unrolled: 1-line block ×4, first 2 shown]
	v_and_b32_e32 v12, 63, v11
	v_cmp_gt_u32_e32 vcc, 48, v12
	s_waitcnt lgkmcnt(2)
	v_add_f64 v[3:4], v[3:4], v[7:8]
	v_cndmask_b32_e64 v7, 0, 16, vcc
	s_waitcnt lgkmcnt(0)
	v_add_f64 v[5:6], v[5:6], v[9:10]
	v_add_lshl_u32 v10, v7, v11, 2
	v_cmp_gt_u32_e32 vcc, 56, v12
	s_barrier
	ds_bpermute_b32 v7, v10, v3
	ds_bpermute_b32 v8, v10, v4
	;; [unrolled: 1-line block ×4, first 2 shown]
	s_waitcnt lgkmcnt(2)
	v_add_f64 v[3:4], v[3:4], v[7:8]
	v_cndmask_b32_e64 v7, 0, 8, vcc
	s_waitcnt lgkmcnt(0)
	v_add_f64 v[5:6], v[5:6], v[9:10]
	v_add_lshl_u32 v10, v7, v11, 2
	v_cmp_gt_u32_e32 vcc, 60, v12
	ds_bpermute_b32 v7, v10, v3
	ds_bpermute_b32 v8, v10, v4
	;; [unrolled: 1-line block ×4, first 2 shown]
	s_waitcnt lgkmcnt(2)
	v_add_f64 v[3:4], v[3:4], v[7:8]
	v_cndmask_b32_e64 v7, 0, 4, vcc
	s_waitcnt lgkmcnt(0)
	v_add_f64 v[5:6], v[5:6], v[9:10]
	v_add_lshl_u32 v10, v7, v11, 2
	v_cmp_gt_u32_e32 vcc, 62, v12
	ds_bpermute_b32 v7, v10, v3
	ds_bpermute_b32 v8, v10, v4
	;; [unrolled: 1-line block ×4, first 2 shown]
	s_waitcnt lgkmcnt(2)
	v_add_f64 v[3:4], v[3:4], v[7:8]
	v_cndmask_b32_e64 v7, 0, 2, vcc
	s_waitcnt lgkmcnt(0)
	v_add_f64 v[5:6], v[5:6], v[9:10]
	v_add_lshl_u32 v10, v7, v11, 2
	v_cmp_ne_u32_e32 vcc, 63, v12
	ds_bpermute_b32 v7, v10, v3
	ds_bpermute_b32 v8, v10, v4
	;; [unrolled: 1-line block ×4, first 2 shown]
	s_waitcnt lgkmcnt(2)
	v_add_f64 v[3:4], v[3:4], v[7:8]
	v_addc_co_u32_e32 v7, vcc, 0, v11, vcc
	s_waitcnt lgkmcnt(0)
	v_add_f64 v[5:6], v[5:6], v[9:10]
	v_lshlrev_b32_e32 v10, 2, v7
	v_cmp_eq_u32_e32 vcc, 0, v0
	ds_bpermute_b32 v7, v10, v3
	ds_bpermute_b32 v8, v10, v4
	;; [unrolled: 1-line block ×4, first 2 shown]
	s_and_b64 exec, exec, vcc
	s_cbranch_execz .LBB112_7
; %bb.6:
	s_waitcnt lgkmcnt(0)
	v_add_f64 v[5:6], v[5:6], v[9:10]
	v_add_f64 v[3:4], v[3:4], v[7:8]
	v_lshlrev_b64 v[0:1], 4, v[1:2]
	v_mov_b32_e32 v2, s7
	v_add_co_u32_e32 v0, vcc, s6, v0
	v_addc_co_u32_e32 v1, vcc, v2, v1, vcc
	global_store_dwordx4 v[0:1], v[3:6], off
.LBB112_7:
	s_endpgm
	.section	.rodata,"a",@progbits
	.p2align	6, 0x0
	.amdhsa_kernel _ZL28rocblas_dot_batched_4_kernelIiLi64ELi4ELb0E19rocblas_complex_numIdES1_PKPKS1_EviT5_lT_lS6_lS7_liPT4_
		.amdhsa_group_segment_fixed_size 0
		.amdhsa_private_segment_fixed_size 0
		.amdhsa_kernarg_size 88
		.amdhsa_user_sgpr_count 6
		.amdhsa_user_sgpr_private_segment_buffer 1
		.amdhsa_user_sgpr_dispatch_ptr 0
		.amdhsa_user_sgpr_queue_ptr 0
		.amdhsa_user_sgpr_kernarg_segment_ptr 1
		.amdhsa_user_sgpr_dispatch_id 0
		.amdhsa_user_sgpr_flat_scratch_init 0
		.amdhsa_user_sgpr_private_segment_size 0
		.amdhsa_uses_dynamic_stack 0
		.amdhsa_system_sgpr_private_segment_wavefront_offset 0
		.amdhsa_system_sgpr_workgroup_id_x 1
		.amdhsa_system_sgpr_workgroup_id_y 0
		.amdhsa_system_sgpr_workgroup_id_z 0
		.amdhsa_system_sgpr_workgroup_info 0
		.amdhsa_system_vgpr_workitem_id 1
		.amdhsa_next_free_vgpr 22
		.amdhsa_next_free_sgpr 20
		.amdhsa_reserve_vcc 1
		.amdhsa_reserve_flat_scratch 0
		.amdhsa_float_round_mode_32 0
		.amdhsa_float_round_mode_16_64 0
		.amdhsa_float_denorm_mode_32 3
		.amdhsa_float_denorm_mode_16_64 3
		.amdhsa_dx10_clamp 1
		.amdhsa_ieee_mode 1
		.amdhsa_fp16_overflow 0
		.amdhsa_exception_fp_ieee_invalid_op 0
		.amdhsa_exception_fp_denorm_src 0
		.amdhsa_exception_fp_ieee_div_zero 0
		.amdhsa_exception_fp_ieee_overflow 0
		.amdhsa_exception_fp_ieee_underflow 0
		.amdhsa_exception_fp_ieee_inexact 0
		.amdhsa_exception_int_div_zero 0
	.end_amdhsa_kernel
	.section	.text._ZL28rocblas_dot_batched_4_kernelIiLi64ELi4ELb0E19rocblas_complex_numIdES1_PKPKS1_EviT5_lT_lS6_lS7_liPT4_,"axG",@progbits,_ZL28rocblas_dot_batched_4_kernelIiLi64ELi4ELb0E19rocblas_complex_numIdES1_PKPKS1_EviT5_lT_lS6_lS7_liPT4_,comdat
.Lfunc_end112:
	.size	_ZL28rocblas_dot_batched_4_kernelIiLi64ELi4ELb0E19rocblas_complex_numIdES1_PKPKS1_EviT5_lT_lS6_lS7_liPT4_, .Lfunc_end112-_ZL28rocblas_dot_batched_4_kernelIiLi64ELi4ELb0E19rocblas_complex_numIdES1_PKPKS1_EviT5_lT_lS6_lS7_liPT4_
                                        ; -- End function
	.set _ZL28rocblas_dot_batched_4_kernelIiLi64ELi4ELb0E19rocblas_complex_numIdES1_PKPKS1_EviT5_lT_lS6_lS7_liPT4_.num_vgpr, 22
	.set _ZL28rocblas_dot_batched_4_kernelIiLi64ELi4ELb0E19rocblas_complex_numIdES1_PKPKS1_EviT5_lT_lS6_lS7_liPT4_.num_agpr, 0
	.set _ZL28rocblas_dot_batched_4_kernelIiLi64ELi4ELb0E19rocblas_complex_numIdES1_PKPKS1_EviT5_lT_lS6_lS7_liPT4_.numbered_sgpr, 20
	.set _ZL28rocblas_dot_batched_4_kernelIiLi64ELi4ELb0E19rocblas_complex_numIdES1_PKPKS1_EviT5_lT_lS6_lS7_liPT4_.num_named_barrier, 0
	.set _ZL28rocblas_dot_batched_4_kernelIiLi64ELi4ELb0E19rocblas_complex_numIdES1_PKPKS1_EviT5_lT_lS6_lS7_liPT4_.private_seg_size, 0
	.set _ZL28rocblas_dot_batched_4_kernelIiLi64ELi4ELb0E19rocblas_complex_numIdES1_PKPKS1_EviT5_lT_lS6_lS7_liPT4_.uses_vcc, 1
	.set _ZL28rocblas_dot_batched_4_kernelIiLi64ELi4ELb0E19rocblas_complex_numIdES1_PKPKS1_EviT5_lT_lS6_lS7_liPT4_.uses_flat_scratch, 0
	.set _ZL28rocblas_dot_batched_4_kernelIiLi64ELi4ELb0E19rocblas_complex_numIdES1_PKPKS1_EviT5_lT_lS6_lS7_liPT4_.has_dyn_sized_stack, 0
	.set _ZL28rocblas_dot_batched_4_kernelIiLi64ELi4ELb0E19rocblas_complex_numIdES1_PKPKS1_EviT5_lT_lS6_lS7_liPT4_.has_recursion, 0
	.set _ZL28rocblas_dot_batched_4_kernelIiLi64ELi4ELb0E19rocblas_complex_numIdES1_PKPKS1_EviT5_lT_lS6_lS7_liPT4_.has_indirect_call, 0
	.section	.AMDGPU.csdata,"",@progbits
; Kernel info:
; codeLenInByte = 936
; TotalNumSgprs: 24
; NumVgprs: 22
; ScratchSize: 0
; MemoryBound: 0
; FloatMode: 240
; IeeeMode: 1
; LDSByteSize: 0 bytes/workgroup (compile time only)
; SGPRBlocks: 2
; VGPRBlocks: 5
; NumSGPRsForWavesPerEU: 24
; NumVGPRsForWavesPerEU: 22
; Occupancy: 10
; WaveLimiterHint : 0
; COMPUTE_PGM_RSRC2:SCRATCH_EN: 0
; COMPUTE_PGM_RSRC2:USER_SGPR: 6
; COMPUTE_PGM_RSRC2:TRAP_HANDLER: 0
; COMPUTE_PGM_RSRC2:TGID_X_EN: 1
; COMPUTE_PGM_RSRC2:TGID_Y_EN: 0
; COMPUTE_PGM_RSRC2:TGID_Z_EN: 0
; COMPUTE_PGM_RSRC2:TIDIG_COMP_CNT: 1
	.section	.text._ZL26rocblas_dot_kernel_inc1by2ILb1ELi1024ELi32ELb0E19rocblas_complex_numIdEPKPKS1_S1_EviT4_llS6_lliPT5_PT3_,"axG",@progbits,_ZL26rocblas_dot_kernel_inc1by2ILb1ELi1024ELi32ELb0E19rocblas_complex_numIdEPKPKS1_S1_EviT4_llS6_lliPT5_PT3_,comdat
	.globl	_ZL26rocblas_dot_kernel_inc1by2ILb1ELi1024ELi32ELb0E19rocblas_complex_numIdEPKPKS1_S1_EviT4_llS6_lliPT5_PT3_ ; -- Begin function _ZL26rocblas_dot_kernel_inc1by2ILb1ELi1024ELi32ELb0E19rocblas_complex_numIdEPKPKS1_S1_EviT4_llS6_lliPT5_PT3_
	.p2align	8
	.type	_ZL26rocblas_dot_kernel_inc1by2ILb1ELi1024ELi32ELb0E19rocblas_complex_numIdEPKPKS1_S1_EviT4_llS6_lliPT5_PT3_,@function
_ZL26rocblas_dot_kernel_inc1by2ILb1ELi1024ELi32ELb0E19rocblas_complex_numIdEPKPKS1_S1_EviT4_llS6_lliPT5_PT3_: ; @_ZL26rocblas_dot_kernel_inc1by2ILb1ELi1024ELi32ELb0E19rocblas_complex_numIdEPKPKS1_S1_EviT4_llS6_lliPT5_PT3_
; %bb.0:
	s_mov_b32 s2, s7
	s_load_dword s10, s[4:5], 0x0
	s_load_dwordx2 s[6:7], s[4:5], 0x48
	v_mov_b32_e32 v1, 0
	v_mov_b32_e32 v3, 0
	s_mov_b32 s3, 0
	v_mov_b32_e32 v2, 0
	v_mov_b32_e32 v4, 0
	s_waitcnt lgkmcnt(0)
	v_cmp_gt_i32_e32 vcc, s10, v0
	s_and_saveexec_b64 s[8:9], vcc
	s_cbranch_execz .LBB113_4
; %bb.1:
	s_load_dwordx4 s[12:15], s[4:5], 0x8
	s_load_dwordx4 s[16:19], s[4:5], 0x20
	s_lshl_b64 s[0:1], s[2:3], 3
	v_lshlrev_b32_e32 v1, 4, v0
	v_mov_b32_e32 v3, 0
	s_waitcnt lgkmcnt(0)
	s_add_u32 s4, s12, s0
	s_addc_u32 s5, s13, s1
	s_add_u32 s0, s16, s0
	s_addc_u32 s1, s17, s1
	s_load_dwordx2 s[0:1], s[0:1], 0x0
	s_lshl_b64 s[12:13], s[18:19], 4
	s_load_dwordx2 s[4:5], s[4:5], 0x0
	v_or_b32_e32 v9, 0x400, v0
	v_mov_b32_e32 v4, 0
	s_waitcnt lgkmcnt(0)
	s_add_u32 s0, s0, s12
	s_addc_u32 s1, s1, s13
	v_mov_b32_e32 v2, s1
	v_add_co_u32_e32 v5, vcc, s0, v1
	s_lshl_b64 s[0:1], s[14:15], 4
	s_add_u32 s0, s4, s0
	v_addc_co_u32_e32 v6, vcc, 0, v2, vcc
	s_addc_u32 s1, s5, s1
	v_mov_b32_e32 v2, s1
	v_add_co_u32_e32 v7, vcc, s0, v1
	v_addc_co_u32_e32 v8, vcc, 0, v2, vcc
	v_mov_b32_e32 v1, 0
	v_mov_b32_e32 v2, 0
	s_mov_b64 s[4:5], 0
	s_mov_b32 s11, s3
.LBB113_2:                              ; =>This Inner Loop Header: Depth=1
	flat_load_dwordx4 v[10:13], v[5:6]
	flat_load_dwordx4 v[14:17], v[7:8]
	s_add_i32 s12, s11, 1
	s_cmp_gt_u32 s11, 30
	v_cmp_le_i32_e64 s[0:1], s10, v9
	v_add_co_u32_e32 v5, vcc, 0x4000, v5
	s_mov_b32 s11, s12
	s_cselect_b64 s[12:13], -1, 0
	v_addc_co_u32_e32 v6, vcc, 0, v6, vcc
	s_or_b64 s[0:1], s[12:13], s[0:1]
	v_add_co_u32_e32 v7, vcc, 0x4000, v7
	s_and_b64 s[0:1], exec, s[0:1]
	v_add_u32_e32 v9, 0x400, v9
	s_or_b64 s[4:5], s[0:1], s[4:5]
	v_addc_co_u32_e32 v8, vcc, 0, v8, vcc
	s_waitcnt vmcnt(0) lgkmcnt(0)
	v_mul_f64 v[18:19], v[12:13], v[16:17]
	v_fma_f64 v[18:19], v[10:11], v[14:15], -v[18:19]
	v_mul_f64 v[10:11], v[10:11], v[16:17]
	v_add_f64 v[3:4], v[3:4], v[18:19]
	v_fma_f64 v[10:11], v[12:13], v[14:15], v[10:11]
	v_add_f64 v[1:2], v[1:2], v[10:11]
	s_andn2_b64 exec, exec, s[4:5]
	s_cbranch_execnz .LBB113_2
; %bb.3:
	s_or_b64 exec, exec, s[4:5]
.LBB113_4:
	s_or_b64 exec, exec, s[8:9]
	v_and_b32_e32 v14, 63, v0
	v_cmp_gt_u32_e32 vcc, 64, v0
	v_lshlrev_b32_e32 v9, 4, v14
	s_and_saveexec_b64 s[0:1], vcc
; %bb.5:
	v_mov_b32_e32 v5, 0
	v_mov_b32_e32 v6, v5
	;; [unrolled: 1-line block ×4, first 2 shown]
	ds_write_b128 v9, v[5:8]
; %bb.6:
	s_or_b64 exec, exec, s[0:1]
	v_mbcnt_lo_u32_b32 v5, -1, 0
	v_mbcnt_hi_u32_b32 v13, -1, v5
	v_mov_b32_e32 v5, 0x80
	v_lshl_or_b32 v8, v13, 2, v5
	ds_bpermute_b32 v5, v8, v3
	ds_bpermute_b32 v6, v8, v4
	;; [unrolled: 1-line block ×4, first 2 shown]
	v_and_b32_e32 v15, 63, v13
	v_cmp_gt_u32_e64 s[0:1], 48, v15
	s_waitcnt lgkmcnt(2)
	v_add_f64 v[3:4], v[3:4], v[5:6]
	v_cndmask_b32_e64 v5, 0, 16, s[0:1]
	s_waitcnt lgkmcnt(0)
	v_add_f64 v[1:2], v[1:2], v[7:8]
	v_add_lshl_u32 v8, v5, v13, 2
	v_cmp_gt_u32_e64 s[0:1], 56, v15
	s_barrier
	ds_bpermute_b32 v5, v8, v3
	ds_bpermute_b32 v6, v8, v4
	;; [unrolled: 1-line block ×4, first 2 shown]
	s_waitcnt lgkmcnt(2)
	v_add_f64 v[3:4], v[3:4], v[5:6]
	v_cndmask_b32_e64 v5, 0, 8, s[0:1]
	s_waitcnt lgkmcnt(0)
	v_add_f64 v[1:2], v[1:2], v[7:8]
	v_add_lshl_u32 v10, v5, v13, 2
	v_cmp_gt_u32_e64 s[0:1], 60, v15
	ds_bpermute_b32 v5, v10, v3
	ds_bpermute_b32 v6, v10, v4
	;; [unrolled: 1-line block ×4, first 2 shown]
	s_waitcnt lgkmcnt(2)
	v_add_f64 v[3:4], v[3:4], v[5:6]
	v_cndmask_b32_e64 v5, 0, 4, s[0:1]
	s_waitcnt lgkmcnt(0)
	v_add_f64 v[1:2], v[1:2], v[7:8]
	v_add_lshl_u32 v11, v5, v13, 2
	v_cmp_gt_u32_e64 s[0:1], 62, v15
	ds_bpermute_b32 v5, v11, v3
	ds_bpermute_b32 v6, v11, v4
	ds_bpermute_b32 v7, v11, v1
	ds_bpermute_b32 v8, v11, v2
	s_waitcnt lgkmcnt(2)
	v_add_f64 v[3:4], v[3:4], v[5:6]
	s_waitcnt lgkmcnt(0)
	v_add_f64 v[5:6], v[1:2], v[7:8]
	v_cndmask_b32_e64 v1, 0, 2, s[0:1]
	v_add_lshl_u32 v12, v1, v13, 2
	v_cmp_ne_u32_e64 s[0:1], 63, v15
	ds_bpermute_b32 v1, v12, v3
	ds_bpermute_b32 v2, v12, v4
	;; [unrolled: 1-line block ×4, first 2 shown]
	s_waitcnt lgkmcnt(2)
	v_add_f64 v[1:2], v[3:4], v[1:2]
	s_waitcnt lgkmcnt(0)
	v_add_f64 v[3:4], v[5:6], v[7:8]
	v_addc_co_u32_e64 v5, s[0:1], 0, v13, s[0:1]
	v_lshlrev_b32_e32 v13, 2, v5
	v_cmp_eq_u32_e64 s[0:1], 0, v14
	ds_bpermute_b32 v5, v13, v1
	ds_bpermute_b32 v6, v13, v2
	;; [unrolled: 1-line block ×4, first 2 shown]
	s_and_saveexec_b64 s[4:5], s[0:1]
	s_cbranch_execz .LBB113_8
; %bb.7:
	s_waitcnt lgkmcnt(0)
	v_add_f64 v[3:4], v[3:4], v[7:8]
	v_add_f64 v[1:2], v[1:2], v[5:6]
	v_lshrrev_b32_e32 v5, 2, v0
	v_and_b32_e32 v5, 0xf0, v5
	ds_write_b128 v5, v[1:4]
.LBB113_8:
	s_or_b64 exec, exec, s[4:5]
	v_mov_b32_e32 v3, 0
	v_mov_b32_e32 v1, 0
	v_mov_b32_e32 v4, 0
	v_mov_b32_e32 v2, 0
	v_cmp_gt_u32_e64 s[0:1], 16, v0
	s_waitcnt lgkmcnt(0)
	s_barrier
	s_and_saveexec_b64 s[4:5], s[0:1]
	s_cbranch_execnz .LBB113_12
; %bb.9:
	s_or_b64 exec, exec, s[4:5]
	s_and_saveexec_b64 s[0:1], vcc
	s_cbranch_execnz .LBB113_13
.LBB113_10:
	s_or_b64 exec, exec, s[0:1]
	v_cmp_eq_u32_e32 vcc, 0, v0
	s_and_saveexec_b64 s[0:1], vcc
	s_cbranch_execnz .LBB113_14
.LBB113_11:
	s_endpgm
.LBB113_12:
	ds_read_b128 v[1:4], v9
	s_or_b64 exec, exec, s[4:5]
	s_and_saveexec_b64 s[0:1], vcc
	s_cbranch_execz .LBB113_10
.LBB113_13:
	s_waitcnt lgkmcnt(0)
	ds_bpermute_b32 v5, v10, v1
	ds_bpermute_b32 v6, v10, v2
	ds_bpermute_b32 v7, v10, v3
	ds_bpermute_b32 v8, v10, v4
	s_waitcnt lgkmcnt(2)
	v_add_f64 v[1:2], v[1:2], v[5:6]
	s_waitcnt lgkmcnt(0)
	v_add_f64 v[3:4], v[3:4], v[7:8]
	ds_bpermute_b32 v5, v11, v1
	ds_bpermute_b32 v6, v11, v2
	ds_bpermute_b32 v7, v11, v3
	ds_bpermute_b32 v8, v11, v4
	s_waitcnt lgkmcnt(2)
	v_add_f64 v[1:2], v[1:2], v[5:6]
	s_waitcnt lgkmcnt(0)
	v_add_f64 v[3:4], v[3:4], v[7:8]
	;; [unrolled: 8-line block ×4, first 2 shown]
	s_or_b64 exec, exec, s[0:1]
	v_cmp_eq_u32_e32 vcc, 0, v0
	s_and_saveexec_b64 s[0:1], vcc
	s_cbranch_execz .LBB113_11
.LBB113_14:
	s_lshl_b64 s[0:1], s[2:3], 4
	s_add_u32 s0, s6, s0
	s_addc_u32 s1, s7, s1
	v_mov_b32_e32 v0, 0
	s_waitcnt lgkmcnt(0)
	global_store_dwordx4 v0, v[1:4], s[0:1]
	s_endpgm
	.section	.rodata,"a",@progbits
	.p2align	6, 0x0
	.amdhsa_kernel _ZL26rocblas_dot_kernel_inc1by2ILb1ELi1024ELi32ELb0E19rocblas_complex_numIdEPKPKS1_S1_EviT4_llS6_lliPT5_PT3_
		.amdhsa_group_segment_fixed_size 1024
		.amdhsa_private_segment_fixed_size 0
		.amdhsa_kernarg_size 80
		.amdhsa_user_sgpr_count 6
		.amdhsa_user_sgpr_private_segment_buffer 1
		.amdhsa_user_sgpr_dispatch_ptr 0
		.amdhsa_user_sgpr_queue_ptr 0
		.amdhsa_user_sgpr_kernarg_segment_ptr 1
		.amdhsa_user_sgpr_dispatch_id 0
		.amdhsa_user_sgpr_flat_scratch_init 0
		.amdhsa_user_sgpr_private_segment_size 0
		.amdhsa_uses_dynamic_stack 0
		.amdhsa_system_sgpr_private_segment_wavefront_offset 0
		.amdhsa_system_sgpr_workgroup_id_x 1
		.amdhsa_system_sgpr_workgroup_id_y 0
		.amdhsa_system_sgpr_workgroup_id_z 1
		.amdhsa_system_sgpr_workgroup_info 0
		.amdhsa_system_vgpr_workitem_id 0
		.amdhsa_next_free_vgpr 20
		.amdhsa_next_free_sgpr 20
		.amdhsa_reserve_vcc 1
		.amdhsa_reserve_flat_scratch 0
		.amdhsa_float_round_mode_32 0
		.amdhsa_float_round_mode_16_64 0
		.amdhsa_float_denorm_mode_32 3
		.amdhsa_float_denorm_mode_16_64 3
		.amdhsa_dx10_clamp 1
		.amdhsa_ieee_mode 1
		.amdhsa_fp16_overflow 0
		.amdhsa_exception_fp_ieee_invalid_op 0
		.amdhsa_exception_fp_denorm_src 0
		.amdhsa_exception_fp_ieee_div_zero 0
		.amdhsa_exception_fp_ieee_overflow 0
		.amdhsa_exception_fp_ieee_underflow 0
		.amdhsa_exception_fp_ieee_inexact 0
		.amdhsa_exception_int_div_zero 0
	.end_amdhsa_kernel
	.section	.text._ZL26rocblas_dot_kernel_inc1by2ILb1ELi1024ELi32ELb0E19rocblas_complex_numIdEPKPKS1_S1_EviT4_llS6_lliPT5_PT3_,"axG",@progbits,_ZL26rocblas_dot_kernel_inc1by2ILb1ELi1024ELi32ELb0E19rocblas_complex_numIdEPKPKS1_S1_EviT4_llS6_lliPT5_PT3_,comdat
.Lfunc_end113:
	.size	_ZL26rocblas_dot_kernel_inc1by2ILb1ELi1024ELi32ELb0E19rocblas_complex_numIdEPKPKS1_S1_EviT4_llS6_lliPT5_PT3_, .Lfunc_end113-_ZL26rocblas_dot_kernel_inc1by2ILb1ELi1024ELi32ELb0E19rocblas_complex_numIdEPKPKS1_S1_EviT4_llS6_lliPT5_PT3_
                                        ; -- End function
	.set _ZL26rocblas_dot_kernel_inc1by2ILb1ELi1024ELi32ELb0E19rocblas_complex_numIdEPKPKS1_S1_EviT4_llS6_lliPT5_PT3_.num_vgpr, 20
	.set _ZL26rocblas_dot_kernel_inc1by2ILb1ELi1024ELi32ELb0E19rocblas_complex_numIdEPKPKS1_S1_EviT4_llS6_lliPT5_PT3_.num_agpr, 0
	.set _ZL26rocblas_dot_kernel_inc1by2ILb1ELi1024ELi32ELb0E19rocblas_complex_numIdEPKPKS1_S1_EviT4_llS6_lliPT5_PT3_.numbered_sgpr, 20
	.set _ZL26rocblas_dot_kernel_inc1by2ILb1ELi1024ELi32ELb0E19rocblas_complex_numIdEPKPKS1_S1_EviT4_llS6_lliPT5_PT3_.num_named_barrier, 0
	.set _ZL26rocblas_dot_kernel_inc1by2ILb1ELi1024ELi32ELb0E19rocblas_complex_numIdEPKPKS1_S1_EviT4_llS6_lliPT5_PT3_.private_seg_size, 0
	.set _ZL26rocblas_dot_kernel_inc1by2ILb1ELi1024ELi32ELb0E19rocblas_complex_numIdEPKPKS1_S1_EviT4_llS6_lliPT5_PT3_.uses_vcc, 1
	.set _ZL26rocblas_dot_kernel_inc1by2ILb1ELi1024ELi32ELb0E19rocblas_complex_numIdEPKPKS1_S1_EviT4_llS6_lliPT5_PT3_.uses_flat_scratch, 0
	.set _ZL26rocblas_dot_kernel_inc1by2ILb1ELi1024ELi32ELb0E19rocblas_complex_numIdEPKPKS1_S1_EviT4_llS6_lliPT5_PT3_.has_dyn_sized_stack, 0
	.set _ZL26rocblas_dot_kernel_inc1by2ILb1ELi1024ELi32ELb0E19rocblas_complex_numIdEPKPKS1_S1_EviT4_llS6_lliPT5_PT3_.has_recursion, 0
	.set _ZL26rocblas_dot_kernel_inc1by2ILb1ELi1024ELi32ELb0E19rocblas_complex_numIdEPKPKS1_S1_EviT4_llS6_lliPT5_PT3_.has_indirect_call, 0
	.section	.AMDGPU.csdata,"",@progbits
; Kernel info:
; codeLenInByte = 1292
; TotalNumSgprs: 24
; NumVgprs: 20
; ScratchSize: 0
; MemoryBound: 0
; FloatMode: 240
; IeeeMode: 1
; LDSByteSize: 1024 bytes/workgroup (compile time only)
; SGPRBlocks: 2
; VGPRBlocks: 4
; NumSGPRsForWavesPerEU: 24
; NumVGPRsForWavesPerEU: 20
; Occupancy: 10
; WaveLimiterHint : 0
; COMPUTE_PGM_RSRC2:SCRATCH_EN: 0
; COMPUTE_PGM_RSRC2:USER_SGPR: 6
; COMPUTE_PGM_RSRC2:TRAP_HANDLER: 0
; COMPUTE_PGM_RSRC2:TGID_X_EN: 1
; COMPUTE_PGM_RSRC2:TGID_Y_EN: 0
; COMPUTE_PGM_RSRC2:TGID_Z_EN: 1
; COMPUTE_PGM_RSRC2:TIDIG_COMP_CNT: 0
	.section	.text._ZL18rocblas_dot_kernelIiLb1ELi1024ELi32ELb0E19rocblas_complex_numIdEPKPKS1_S1_EviT5_lT_lS6_lS7_liPT6_PT4_,"axG",@progbits,_ZL18rocblas_dot_kernelIiLb1ELi1024ELi32ELb0E19rocblas_complex_numIdEPKPKS1_S1_EviT5_lT_lS6_lS7_liPT6_PT4_,comdat
	.globl	_ZL18rocblas_dot_kernelIiLb1ELi1024ELi32ELb0E19rocblas_complex_numIdEPKPKS1_S1_EviT5_lT_lS6_lS7_liPT6_PT4_ ; -- Begin function _ZL18rocblas_dot_kernelIiLb1ELi1024ELi32ELb0E19rocblas_complex_numIdEPKPKS1_S1_EviT5_lT_lS6_lS7_liPT6_PT4_
	.p2align	8
	.type	_ZL18rocblas_dot_kernelIiLb1ELi1024ELi32ELb0E19rocblas_complex_numIdEPKPKS1_S1_EviT5_lT_lS6_lS7_liPT6_PT4_,@function
_ZL18rocblas_dot_kernelIiLb1ELi1024ELi32ELb0E19rocblas_complex_numIdEPKPKS1_S1_EviT5_lT_lS6_lS7_liPT6_PT4_: ; @_ZL18rocblas_dot_kernelIiLb1ELi1024ELi32ELb0E19rocblas_complex_numIdEPKPKS1_S1_EviT5_lT_lS6_lS7_liPT6_PT4_
; %bb.0:
	s_load_dword s14, s[4:5], 0x0
	s_load_dwordx2 s[8:9], s[4:5], 0x58
	v_mov_b32_e32 v1, 0
	v_mov_b32_e32 v3, 0
	s_mov_b32 s6, s7
	s_mov_b32 s7, 0
	v_mov_b32_e32 v2, 0
	v_mov_b32_e32 v4, 0
	s_waitcnt lgkmcnt(0)
	v_cmp_gt_i32_e32 vcc, s14, v0
	s_and_saveexec_b64 s[10:11], vcc
	s_cbranch_execz .LBB114_4
; %bb.1:
	s_load_dwordx4 s[16:19], s[4:5], 0x8
	s_load_dwordx4 s[0:3], s[4:5], 0x28
	s_load_dword s22, s[4:5], 0x18
	s_lshl_b64 s[12:13], s[6:7], 3
	s_waitcnt lgkmcnt(0)
	s_add_u32 s16, s16, s12
	s_addc_u32 s17, s17, s13
	s_load_dwordx2 s[20:21], s[16:17], 0x0
	s_load_dword s23, s[4:5], 0x38
	s_load_dword s15, s[4:5], 0x60
	v_mad_i64_i32 v[1:2], s[4:5], s22, v0, 0
	s_add_u32 s0, s0, s12
	s_addc_u32 s1, s1, s13
	s_waitcnt lgkmcnt(0)
	s_lshl_b32 s15, s15, 10
	s_lshl_b64 s[4:5], s[18:19], 4
	v_lshlrev_b64 v[1:2], 4, v[1:2]
	s_add_u32 s4, s20, s4
	s_addc_u32 s5, s21, s5
	s_load_dwordx2 s[0:1], s[0:1], 0x0
	v_mov_b32_e32 v3, s5
	v_add_co_u32_e32 v5, vcc, s4, v1
	v_addc_co_u32_e32 v6, vcc, v3, v2, vcc
	v_mad_i64_i32 v[1:2], s[4:5], s23, v0, 0
	s_mul_hi_i32 s5, s22, s15
	s_mul_i32 s4, s22, s15
	s_lshl_b64 s[4:5], s[4:5], 4
	s_lshl_b64 s[2:3], s[2:3], 4
	v_lshlrev_b64 v[1:2], 4, v[1:2]
	s_waitcnt lgkmcnt(0)
	s_add_u32 s0, s0, s2
	s_addc_u32 s1, s1, s3
	v_mov_b32_e32 v3, s1
	v_add_co_u32_e32 v7, vcc, s0, v1
	s_mul_hi_i32 s1, s23, s15
	s_mul_i32 s0, s23, s15
	v_addc_co_u32_e32 v8, vcc, v3, v2, vcc
	s_lshl_b64 s[2:3], s[0:1], 4
	v_mov_b32_e32 v1, 0
	v_mov_b32_e32 v3, 0
	v_or_b32_e32 v9, s15, v0
	v_mov_b32_e32 v2, 0
	s_mov_b64 s[12:13], 0
	v_mov_b32_e32 v10, s5
	v_mov_b32_e32 v11, s3
	;; [unrolled: 1-line block ×3, first 2 shown]
	s_mov_b32 s3, s7
.LBB114_2:                              ; =>This Inner Loop Header: Depth=1
	flat_load_dwordx4 v[12:15], v[7:8]
	flat_load_dwordx4 v[16:19], v[5:6]
	v_add_co_u32_e64 v5, s[0:1], s4, v5
	v_addc_co_u32_e64 v6, s[0:1], v6, v10, s[0:1]
	s_add_i32 s5, s3, 1
	v_add_co_u32_e64 v7, s[0:1], s2, v7
	v_addc_co_u32_e64 v8, s[0:1], v8, v11, s[0:1]
	s_cmp_gt_u32 s3, 30
	v_cmp_le_i32_e32 vcc, s14, v9
	s_cselect_b64 s[0:1], -1, 0
	s_or_b64 s[0:1], s[0:1], vcc
	s_and_b64 s[0:1], exec, s[0:1]
	v_add_u32_e32 v9, s15, v9
	s_or_b64 s[12:13], s[0:1], s[12:13]
	s_mov_b32 s3, s5
	s_waitcnt vmcnt(0) lgkmcnt(0)
	v_mul_f64 v[20:21], v[14:15], v[18:19]
	v_fma_f64 v[20:21], v[12:13], v[16:17], -v[20:21]
	v_mul_f64 v[12:13], v[12:13], v[18:19]
	v_add_f64 v[3:4], v[3:4], v[20:21]
	v_fma_f64 v[12:13], v[14:15], v[16:17], v[12:13]
	v_add_f64 v[1:2], v[1:2], v[12:13]
	s_andn2_b64 exec, exec, s[12:13]
	s_cbranch_execnz .LBB114_2
; %bb.3:
	s_or_b64 exec, exec, s[12:13]
.LBB114_4:
	s_or_b64 exec, exec, s[10:11]
	v_and_b32_e32 v14, 63, v0
	v_cmp_gt_u32_e32 vcc, 64, v0
	v_lshlrev_b32_e32 v9, 4, v14
	s_and_saveexec_b64 s[0:1], vcc
; %bb.5:
	v_mov_b32_e32 v5, 0
	v_mov_b32_e32 v6, v5
	;; [unrolled: 1-line block ×4, first 2 shown]
	ds_write_b128 v9, v[5:8]
; %bb.6:
	s_or_b64 exec, exec, s[0:1]
	v_mbcnt_lo_u32_b32 v5, -1, 0
	v_mbcnt_hi_u32_b32 v13, -1, v5
	v_mov_b32_e32 v5, 0x80
	v_lshl_or_b32 v8, v13, 2, v5
	ds_bpermute_b32 v5, v8, v3
	ds_bpermute_b32 v6, v8, v4
	;; [unrolled: 1-line block ×4, first 2 shown]
	v_and_b32_e32 v15, 63, v13
	v_cmp_gt_u32_e64 s[0:1], 48, v15
	s_waitcnt lgkmcnt(2)
	v_add_f64 v[3:4], v[3:4], v[5:6]
	v_cndmask_b32_e64 v5, 0, 16, s[0:1]
	s_waitcnt lgkmcnt(0)
	v_add_f64 v[1:2], v[1:2], v[7:8]
	v_add_lshl_u32 v8, v5, v13, 2
	v_cmp_gt_u32_e64 s[0:1], 56, v15
	s_barrier
	ds_bpermute_b32 v5, v8, v3
	ds_bpermute_b32 v6, v8, v4
	;; [unrolled: 1-line block ×4, first 2 shown]
	s_waitcnt lgkmcnt(2)
	v_add_f64 v[3:4], v[3:4], v[5:6]
	v_cndmask_b32_e64 v5, 0, 8, s[0:1]
	s_waitcnt lgkmcnt(0)
	v_add_f64 v[1:2], v[1:2], v[7:8]
	v_add_lshl_u32 v10, v5, v13, 2
	v_cmp_gt_u32_e64 s[0:1], 60, v15
	ds_bpermute_b32 v5, v10, v3
	ds_bpermute_b32 v6, v10, v4
	;; [unrolled: 1-line block ×4, first 2 shown]
	s_waitcnt lgkmcnt(2)
	v_add_f64 v[3:4], v[3:4], v[5:6]
	v_cndmask_b32_e64 v5, 0, 4, s[0:1]
	s_waitcnt lgkmcnt(0)
	v_add_f64 v[1:2], v[1:2], v[7:8]
	v_add_lshl_u32 v11, v5, v13, 2
	v_cmp_gt_u32_e64 s[0:1], 62, v15
	ds_bpermute_b32 v5, v11, v3
	ds_bpermute_b32 v6, v11, v4
	;; [unrolled: 1-line block ×4, first 2 shown]
	s_waitcnt lgkmcnt(2)
	v_add_f64 v[3:4], v[3:4], v[5:6]
	s_waitcnt lgkmcnt(0)
	v_add_f64 v[5:6], v[1:2], v[7:8]
	v_cndmask_b32_e64 v1, 0, 2, s[0:1]
	v_add_lshl_u32 v12, v1, v13, 2
	v_cmp_ne_u32_e64 s[0:1], 63, v15
	ds_bpermute_b32 v1, v12, v3
	ds_bpermute_b32 v2, v12, v4
	;; [unrolled: 1-line block ×4, first 2 shown]
	s_waitcnt lgkmcnt(2)
	v_add_f64 v[1:2], v[3:4], v[1:2]
	s_waitcnt lgkmcnt(0)
	v_add_f64 v[3:4], v[5:6], v[7:8]
	v_addc_co_u32_e64 v5, s[0:1], 0, v13, s[0:1]
	v_lshlrev_b32_e32 v13, 2, v5
	v_cmp_eq_u32_e64 s[0:1], 0, v14
	ds_bpermute_b32 v5, v13, v1
	ds_bpermute_b32 v6, v13, v2
	;; [unrolled: 1-line block ×4, first 2 shown]
	s_and_saveexec_b64 s[2:3], s[0:1]
	s_cbranch_execz .LBB114_8
; %bb.7:
	s_waitcnt lgkmcnt(0)
	v_add_f64 v[3:4], v[3:4], v[7:8]
	v_add_f64 v[1:2], v[1:2], v[5:6]
	v_lshrrev_b32_e32 v5, 2, v0
	v_and_b32_e32 v5, 0xf0, v5
	ds_write_b128 v5, v[1:4]
.LBB114_8:
	s_or_b64 exec, exec, s[2:3]
	v_mov_b32_e32 v3, 0
	v_mov_b32_e32 v1, 0
	;; [unrolled: 1-line block ×4, first 2 shown]
	v_cmp_gt_u32_e64 s[0:1], 16, v0
	s_waitcnt lgkmcnt(0)
	s_barrier
	s_and_saveexec_b64 s[2:3], s[0:1]
	s_cbranch_execnz .LBB114_12
; %bb.9:
	s_or_b64 exec, exec, s[2:3]
	s_and_saveexec_b64 s[0:1], vcc
	s_cbranch_execnz .LBB114_13
.LBB114_10:
	s_or_b64 exec, exec, s[0:1]
	v_cmp_eq_u32_e32 vcc, 0, v0
	s_and_saveexec_b64 s[0:1], vcc
	s_cbranch_execnz .LBB114_14
.LBB114_11:
	s_endpgm
.LBB114_12:
	ds_read_b128 v[1:4], v9
	s_or_b64 exec, exec, s[2:3]
	s_and_saveexec_b64 s[0:1], vcc
	s_cbranch_execz .LBB114_10
.LBB114_13:
	s_waitcnt lgkmcnt(0)
	ds_bpermute_b32 v5, v10, v1
	ds_bpermute_b32 v6, v10, v2
	ds_bpermute_b32 v7, v10, v3
	ds_bpermute_b32 v8, v10, v4
	s_waitcnt lgkmcnt(2)
	v_add_f64 v[1:2], v[1:2], v[5:6]
	s_waitcnt lgkmcnt(0)
	v_add_f64 v[3:4], v[3:4], v[7:8]
	ds_bpermute_b32 v5, v11, v1
	ds_bpermute_b32 v6, v11, v2
	ds_bpermute_b32 v7, v11, v3
	ds_bpermute_b32 v8, v11, v4
	s_waitcnt lgkmcnt(2)
	v_add_f64 v[1:2], v[1:2], v[5:6]
	s_waitcnt lgkmcnt(0)
	v_add_f64 v[3:4], v[3:4], v[7:8]
	;; [unrolled: 8-line block ×4, first 2 shown]
	s_or_b64 exec, exec, s[0:1]
	v_cmp_eq_u32_e32 vcc, 0, v0
	s_and_saveexec_b64 s[0:1], vcc
	s_cbranch_execz .LBB114_11
.LBB114_14:
	s_lshl_b64 s[0:1], s[6:7], 4
	s_add_u32 s0, s8, s0
	s_addc_u32 s1, s9, s1
	v_mov_b32_e32 v0, 0
	s_waitcnt lgkmcnt(0)
	global_store_dwordx4 v0, v[1:4], s[0:1]
	s_endpgm
	.section	.rodata,"a",@progbits
	.p2align	6, 0x0
	.amdhsa_kernel _ZL18rocblas_dot_kernelIiLb1ELi1024ELi32ELb0E19rocblas_complex_numIdEPKPKS1_S1_EviT5_lT_lS6_lS7_liPT6_PT4_
		.amdhsa_group_segment_fixed_size 1024
		.amdhsa_private_segment_fixed_size 0
		.amdhsa_kernarg_size 352
		.amdhsa_user_sgpr_count 6
		.amdhsa_user_sgpr_private_segment_buffer 1
		.amdhsa_user_sgpr_dispatch_ptr 0
		.amdhsa_user_sgpr_queue_ptr 0
		.amdhsa_user_sgpr_kernarg_segment_ptr 1
		.amdhsa_user_sgpr_dispatch_id 0
		.amdhsa_user_sgpr_flat_scratch_init 0
		.amdhsa_user_sgpr_private_segment_size 0
		.amdhsa_uses_dynamic_stack 0
		.amdhsa_system_sgpr_private_segment_wavefront_offset 0
		.amdhsa_system_sgpr_workgroup_id_x 1
		.amdhsa_system_sgpr_workgroup_id_y 0
		.amdhsa_system_sgpr_workgroup_id_z 1
		.amdhsa_system_sgpr_workgroup_info 0
		.amdhsa_system_vgpr_workitem_id 0
		.amdhsa_next_free_vgpr 22
		.amdhsa_next_free_sgpr 24
		.amdhsa_reserve_vcc 1
		.amdhsa_reserve_flat_scratch 0
		.amdhsa_float_round_mode_32 0
		.amdhsa_float_round_mode_16_64 0
		.amdhsa_float_denorm_mode_32 3
		.amdhsa_float_denorm_mode_16_64 3
		.amdhsa_dx10_clamp 1
		.amdhsa_ieee_mode 1
		.amdhsa_fp16_overflow 0
		.amdhsa_exception_fp_ieee_invalid_op 0
		.amdhsa_exception_fp_denorm_src 0
		.amdhsa_exception_fp_ieee_div_zero 0
		.amdhsa_exception_fp_ieee_overflow 0
		.amdhsa_exception_fp_ieee_underflow 0
		.amdhsa_exception_fp_ieee_inexact 0
		.amdhsa_exception_int_div_zero 0
	.end_amdhsa_kernel
	.section	.text._ZL18rocblas_dot_kernelIiLb1ELi1024ELi32ELb0E19rocblas_complex_numIdEPKPKS1_S1_EviT5_lT_lS6_lS7_liPT6_PT4_,"axG",@progbits,_ZL18rocblas_dot_kernelIiLb1ELi1024ELi32ELb0E19rocblas_complex_numIdEPKPKS1_S1_EviT5_lT_lS6_lS7_liPT6_PT4_,comdat
.Lfunc_end114:
	.size	_ZL18rocblas_dot_kernelIiLb1ELi1024ELi32ELb0E19rocblas_complex_numIdEPKPKS1_S1_EviT5_lT_lS6_lS7_liPT6_PT4_, .Lfunc_end114-_ZL18rocblas_dot_kernelIiLb1ELi1024ELi32ELb0E19rocblas_complex_numIdEPKPKS1_S1_EviT5_lT_lS6_lS7_liPT6_PT4_
                                        ; -- End function
	.set _ZL18rocblas_dot_kernelIiLb1ELi1024ELi32ELb0E19rocblas_complex_numIdEPKPKS1_S1_EviT5_lT_lS6_lS7_liPT6_PT4_.num_vgpr, 22
	.set _ZL18rocblas_dot_kernelIiLb1ELi1024ELi32ELb0E19rocblas_complex_numIdEPKPKS1_S1_EviT5_lT_lS6_lS7_liPT6_PT4_.num_agpr, 0
	.set _ZL18rocblas_dot_kernelIiLb1ELi1024ELi32ELb0E19rocblas_complex_numIdEPKPKS1_S1_EviT5_lT_lS6_lS7_liPT6_PT4_.numbered_sgpr, 24
	.set _ZL18rocblas_dot_kernelIiLb1ELi1024ELi32ELb0E19rocblas_complex_numIdEPKPKS1_S1_EviT5_lT_lS6_lS7_liPT6_PT4_.num_named_barrier, 0
	.set _ZL18rocblas_dot_kernelIiLb1ELi1024ELi32ELb0E19rocblas_complex_numIdEPKPKS1_S1_EviT5_lT_lS6_lS7_liPT6_PT4_.private_seg_size, 0
	.set _ZL18rocblas_dot_kernelIiLb1ELi1024ELi32ELb0E19rocblas_complex_numIdEPKPKS1_S1_EviT5_lT_lS6_lS7_liPT6_PT4_.uses_vcc, 1
	.set _ZL18rocblas_dot_kernelIiLb1ELi1024ELi32ELb0E19rocblas_complex_numIdEPKPKS1_S1_EviT5_lT_lS6_lS7_liPT6_PT4_.uses_flat_scratch, 0
	.set _ZL18rocblas_dot_kernelIiLb1ELi1024ELi32ELb0E19rocblas_complex_numIdEPKPKS1_S1_EviT5_lT_lS6_lS7_liPT6_PT4_.has_dyn_sized_stack, 0
	.set _ZL18rocblas_dot_kernelIiLb1ELi1024ELi32ELb0E19rocblas_complex_numIdEPKPKS1_S1_EviT5_lT_lS6_lS7_liPT6_PT4_.has_recursion, 0
	.set _ZL18rocblas_dot_kernelIiLb1ELi1024ELi32ELb0E19rocblas_complex_numIdEPKPKS1_S1_EviT5_lT_lS6_lS7_liPT6_PT4_.has_indirect_call, 0
	.section	.AMDGPU.csdata,"",@progbits
; Kernel info:
; codeLenInByte = 1380
; TotalNumSgprs: 28
; NumVgprs: 22
; ScratchSize: 0
; MemoryBound: 0
; FloatMode: 240
; IeeeMode: 1
; LDSByteSize: 1024 bytes/workgroup (compile time only)
; SGPRBlocks: 3
; VGPRBlocks: 5
; NumSGPRsForWavesPerEU: 28
; NumVGPRsForWavesPerEU: 22
; Occupancy: 10
; WaveLimiterHint : 0
; COMPUTE_PGM_RSRC2:SCRATCH_EN: 0
; COMPUTE_PGM_RSRC2:USER_SGPR: 6
; COMPUTE_PGM_RSRC2:TRAP_HANDLER: 0
; COMPUTE_PGM_RSRC2:TGID_X_EN: 1
; COMPUTE_PGM_RSRC2:TGID_Y_EN: 0
; COMPUTE_PGM_RSRC2:TGID_Z_EN: 1
; COMPUTE_PGM_RSRC2:TIDIG_COMP_CNT: 0
	.section	.text._ZL24rocblas_dot_kernel_magsqIiLb1ELi1024ELi32ELb0E19rocblas_complex_numIdEPKPKS1_S1_EviT5_lT_liPT6_PT4_,"axG",@progbits,_ZL24rocblas_dot_kernel_magsqIiLb1ELi1024ELi32ELb0E19rocblas_complex_numIdEPKPKS1_S1_EviT5_lT_liPT6_PT4_,comdat
	.globl	_ZL24rocblas_dot_kernel_magsqIiLb1ELi1024ELi32ELb0E19rocblas_complex_numIdEPKPKS1_S1_EviT5_lT_liPT6_PT4_ ; -- Begin function _ZL24rocblas_dot_kernel_magsqIiLb1ELi1024ELi32ELb0E19rocblas_complex_numIdEPKPKS1_S1_EviT5_lT_liPT6_PT4_
	.p2align	8
	.type	_ZL24rocblas_dot_kernel_magsqIiLb1ELi1024ELi32ELb0E19rocblas_complex_numIdEPKPKS1_S1_EviT5_lT_liPT6_PT4_,@function
_ZL24rocblas_dot_kernel_magsqIiLb1ELi1024ELi32ELb0E19rocblas_complex_numIdEPKPKS1_S1_EviT5_lT_liPT6_PT4_: ; @_ZL24rocblas_dot_kernel_magsqIiLb1ELi1024ELi32ELb0E19rocblas_complex_numIdEPKPKS1_S1_EviT5_lT_liPT6_PT4_
; %bb.0:
	s_mov_b32 s2, s7
	s_load_dword s12, s[4:5], 0x0
	s_load_dwordx2 s[6:7], s[4:5], 0x38
	v_mov_b32_e32 v1, 0
	v_mov_b32_e32 v3, 0
	s_mov_b32 s3, 0
	v_mov_b32_e32 v2, 0
	v_mov_b32_e32 v4, 0
	s_waitcnt lgkmcnt(0)
	v_cmp_gt_i32_e32 vcc, s12, v0
	s_and_saveexec_b64 s[8:9], vcc
	s_cbranch_execz .LBB115_4
; %bb.1:
	s_load_dwordx4 s[16:19], s[4:5], 0x8
	s_lshl_b64 s[0:1], s[2:3], 3
	s_load_dword s10, s[4:5], 0x18
	s_load_dword s11, s[4:5], 0x40
	s_waitcnt lgkmcnt(0)
	s_add_u32 s0, s16, s0
	s_addc_u32 s1, s17, s1
	s_load_dwordx2 s[0:1], s[0:1], 0x0
	v_mad_i64_i32 v[1:2], s[4:5], s10, v0, 0
	s_lshl_b32 s13, s11, 10
	s_lshl_b64 s[4:5], s[18:19], 4
	v_lshlrev_b64 v[1:2], 4, v[1:2]
	s_waitcnt lgkmcnt(0)
	s_add_u32 s0, s0, s4
	s_addc_u32 s1, s1, s5
	v_mov_b32_e32 v3, s1
	v_add_co_u32_e32 v5, vcc, s0, v1
	s_mul_hi_i32 s1, s10, s13
	s_mul_i32 s0, s10, s13
	v_addc_co_u32_e32 v6, vcc, v3, v2, vcc
	s_lshl_b64 s[4:5], s[0:1], 4
	v_mov_b32_e32 v1, 0
	v_mov_b32_e32 v3, 0
	v_or_b32_e32 v7, s13, v0
	v_mov_b32_e32 v2, 0
	s_mov_b64 s[10:11], 0
	v_mov_b32_e32 v8, s5
	v_mov_b32_e32 v4, 0
	s_mov_b32 s5, s3
.LBB115_2:                              ; =>This Inner Loop Header: Depth=1
	flat_load_dwordx4 v[9:12], v[5:6]
	s_add_i32 s14, s5, 1
	v_add_co_u32_e64 v5, s[0:1], s4, v5
	v_addc_co_u32_e64 v6, s[0:1], v6, v8, s[0:1]
	s_cmp_gt_u32 s5, 30
	v_cmp_le_i32_e32 vcc, s12, v7
	s_cselect_b64 s[0:1], -1, 0
	s_or_b64 s[0:1], s[0:1], vcc
	s_and_b64 s[0:1], exec, s[0:1]
	v_add_u32_e32 v7, s13, v7
	s_or_b64 s[10:11], s[0:1], s[10:11]
	s_mov_b32 s5, s14
	s_waitcnt vmcnt(0) lgkmcnt(0)
	v_mul_f64 v[13:14], v[11:12], v[11:12]
	v_mul_f64 v[11:12], v[9:10], v[11:12]
	v_fma_f64 v[9:10], v[9:10], v[9:10], -v[13:14]
	v_fma_f64 v[1:2], v[11:12], 2.0, v[1:2]
	v_add_f64 v[3:4], v[3:4], v[9:10]
	s_andn2_b64 exec, exec, s[10:11]
	s_cbranch_execnz .LBB115_2
; %bb.3:
	s_or_b64 exec, exec, s[10:11]
.LBB115_4:
	s_or_b64 exec, exec, s[8:9]
	v_and_b32_e32 v14, 63, v0
	v_cmp_gt_u32_e32 vcc, 64, v0
	v_lshlrev_b32_e32 v9, 4, v14
	s_and_saveexec_b64 s[0:1], vcc
; %bb.5:
	v_mov_b32_e32 v5, 0
	v_mov_b32_e32 v6, v5
	;; [unrolled: 1-line block ×4, first 2 shown]
	ds_write_b128 v9, v[5:8]
; %bb.6:
	s_or_b64 exec, exec, s[0:1]
	v_mbcnt_lo_u32_b32 v5, -1, 0
	v_mbcnt_hi_u32_b32 v13, -1, v5
	v_mov_b32_e32 v5, 0x80
	v_lshl_or_b32 v8, v13, 2, v5
	ds_bpermute_b32 v5, v8, v3
	ds_bpermute_b32 v6, v8, v4
	;; [unrolled: 1-line block ×4, first 2 shown]
	v_and_b32_e32 v15, 63, v13
	v_cmp_gt_u32_e64 s[0:1], 48, v15
	s_waitcnt lgkmcnt(2)
	v_add_f64 v[3:4], v[3:4], v[5:6]
	v_cndmask_b32_e64 v5, 0, 16, s[0:1]
	s_waitcnt lgkmcnt(0)
	v_add_f64 v[1:2], v[1:2], v[7:8]
	v_add_lshl_u32 v8, v5, v13, 2
	v_cmp_gt_u32_e64 s[0:1], 56, v15
	s_barrier
	ds_bpermute_b32 v5, v8, v3
	ds_bpermute_b32 v6, v8, v4
	;; [unrolled: 1-line block ×4, first 2 shown]
	s_waitcnt lgkmcnt(2)
	v_add_f64 v[3:4], v[3:4], v[5:6]
	v_cndmask_b32_e64 v5, 0, 8, s[0:1]
	s_waitcnt lgkmcnt(0)
	v_add_f64 v[1:2], v[1:2], v[7:8]
	v_add_lshl_u32 v10, v5, v13, 2
	v_cmp_gt_u32_e64 s[0:1], 60, v15
	ds_bpermute_b32 v5, v10, v3
	ds_bpermute_b32 v6, v10, v4
	;; [unrolled: 1-line block ×4, first 2 shown]
	s_waitcnt lgkmcnt(2)
	v_add_f64 v[3:4], v[3:4], v[5:6]
	v_cndmask_b32_e64 v5, 0, 4, s[0:1]
	s_waitcnt lgkmcnt(0)
	v_add_f64 v[1:2], v[1:2], v[7:8]
	v_add_lshl_u32 v11, v5, v13, 2
	v_cmp_gt_u32_e64 s[0:1], 62, v15
	ds_bpermute_b32 v5, v11, v3
	ds_bpermute_b32 v6, v11, v4
	ds_bpermute_b32 v7, v11, v1
	ds_bpermute_b32 v8, v11, v2
	s_waitcnt lgkmcnt(2)
	v_add_f64 v[3:4], v[3:4], v[5:6]
	s_waitcnt lgkmcnt(0)
	v_add_f64 v[5:6], v[1:2], v[7:8]
	v_cndmask_b32_e64 v1, 0, 2, s[0:1]
	v_add_lshl_u32 v12, v1, v13, 2
	v_cmp_ne_u32_e64 s[0:1], 63, v15
	ds_bpermute_b32 v1, v12, v3
	ds_bpermute_b32 v2, v12, v4
	;; [unrolled: 1-line block ×4, first 2 shown]
	s_waitcnt lgkmcnt(2)
	v_add_f64 v[1:2], v[3:4], v[1:2]
	s_waitcnt lgkmcnt(0)
	v_add_f64 v[3:4], v[5:6], v[7:8]
	v_addc_co_u32_e64 v5, s[0:1], 0, v13, s[0:1]
	v_lshlrev_b32_e32 v13, 2, v5
	v_cmp_eq_u32_e64 s[0:1], 0, v14
	ds_bpermute_b32 v5, v13, v1
	ds_bpermute_b32 v6, v13, v2
	;; [unrolled: 1-line block ×4, first 2 shown]
	s_and_saveexec_b64 s[4:5], s[0:1]
	s_cbranch_execz .LBB115_8
; %bb.7:
	s_waitcnt lgkmcnt(0)
	v_add_f64 v[3:4], v[3:4], v[7:8]
	v_add_f64 v[1:2], v[1:2], v[5:6]
	v_lshrrev_b32_e32 v5, 2, v0
	v_and_b32_e32 v5, 0xf0, v5
	ds_write_b128 v5, v[1:4]
.LBB115_8:
	s_or_b64 exec, exec, s[4:5]
	v_mov_b32_e32 v3, 0
	v_mov_b32_e32 v1, 0
	;; [unrolled: 1-line block ×4, first 2 shown]
	v_cmp_gt_u32_e64 s[0:1], 16, v0
	s_waitcnt lgkmcnt(0)
	s_barrier
	s_and_saveexec_b64 s[4:5], s[0:1]
	s_cbranch_execnz .LBB115_12
; %bb.9:
	s_or_b64 exec, exec, s[4:5]
	s_and_saveexec_b64 s[0:1], vcc
	s_cbranch_execnz .LBB115_13
.LBB115_10:
	s_or_b64 exec, exec, s[0:1]
	v_cmp_eq_u32_e32 vcc, 0, v0
	s_and_saveexec_b64 s[0:1], vcc
	s_cbranch_execnz .LBB115_14
.LBB115_11:
	s_endpgm
.LBB115_12:
	ds_read_b128 v[1:4], v9
	s_or_b64 exec, exec, s[4:5]
	s_and_saveexec_b64 s[0:1], vcc
	s_cbranch_execz .LBB115_10
.LBB115_13:
	s_waitcnt lgkmcnt(0)
	ds_bpermute_b32 v5, v10, v1
	ds_bpermute_b32 v6, v10, v2
	ds_bpermute_b32 v7, v10, v3
	ds_bpermute_b32 v8, v10, v4
	s_waitcnt lgkmcnt(2)
	v_add_f64 v[1:2], v[1:2], v[5:6]
	s_waitcnt lgkmcnt(0)
	v_add_f64 v[3:4], v[3:4], v[7:8]
	ds_bpermute_b32 v5, v11, v1
	ds_bpermute_b32 v6, v11, v2
	ds_bpermute_b32 v7, v11, v3
	ds_bpermute_b32 v8, v11, v4
	s_waitcnt lgkmcnt(2)
	v_add_f64 v[1:2], v[1:2], v[5:6]
	s_waitcnt lgkmcnt(0)
	v_add_f64 v[3:4], v[3:4], v[7:8]
	;; [unrolled: 8-line block ×4, first 2 shown]
	s_or_b64 exec, exec, s[0:1]
	v_cmp_eq_u32_e32 vcc, 0, v0
	s_and_saveexec_b64 s[0:1], vcc
	s_cbranch_execz .LBB115_11
.LBB115_14:
	s_lshl_b64 s[0:1], s[2:3], 4
	s_add_u32 s0, s6, s0
	s_addc_u32 s1, s7, s1
	v_mov_b32_e32 v0, 0
	s_waitcnt lgkmcnt(0)
	global_store_dwordx4 v0, v[1:4], s[0:1]
	s_endpgm
	.section	.rodata,"a",@progbits
	.p2align	6, 0x0
	.amdhsa_kernel _ZL24rocblas_dot_kernel_magsqIiLb1ELi1024ELi32ELb0E19rocblas_complex_numIdEPKPKS1_S1_EviT5_lT_liPT6_PT4_
		.amdhsa_group_segment_fixed_size 1024
		.amdhsa_private_segment_fixed_size 0
		.amdhsa_kernarg_size 320
		.amdhsa_user_sgpr_count 6
		.amdhsa_user_sgpr_private_segment_buffer 1
		.amdhsa_user_sgpr_dispatch_ptr 0
		.amdhsa_user_sgpr_queue_ptr 0
		.amdhsa_user_sgpr_kernarg_segment_ptr 1
		.amdhsa_user_sgpr_dispatch_id 0
		.amdhsa_user_sgpr_flat_scratch_init 0
		.amdhsa_user_sgpr_private_segment_size 0
		.amdhsa_uses_dynamic_stack 0
		.amdhsa_system_sgpr_private_segment_wavefront_offset 0
		.amdhsa_system_sgpr_workgroup_id_x 1
		.amdhsa_system_sgpr_workgroup_id_y 0
		.amdhsa_system_sgpr_workgroup_id_z 1
		.amdhsa_system_sgpr_workgroup_info 0
		.amdhsa_system_vgpr_workitem_id 0
		.amdhsa_next_free_vgpr 16
		.amdhsa_next_free_sgpr 20
		.amdhsa_reserve_vcc 1
		.amdhsa_reserve_flat_scratch 0
		.amdhsa_float_round_mode_32 0
		.amdhsa_float_round_mode_16_64 0
		.amdhsa_float_denorm_mode_32 3
		.amdhsa_float_denorm_mode_16_64 3
		.amdhsa_dx10_clamp 1
		.amdhsa_ieee_mode 1
		.amdhsa_fp16_overflow 0
		.amdhsa_exception_fp_ieee_invalid_op 0
		.amdhsa_exception_fp_denorm_src 0
		.amdhsa_exception_fp_ieee_div_zero 0
		.amdhsa_exception_fp_ieee_overflow 0
		.amdhsa_exception_fp_ieee_underflow 0
		.amdhsa_exception_fp_ieee_inexact 0
		.amdhsa_exception_int_div_zero 0
	.end_amdhsa_kernel
	.section	.text._ZL24rocblas_dot_kernel_magsqIiLb1ELi1024ELi32ELb0E19rocblas_complex_numIdEPKPKS1_S1_EviT5_lT_liPT6_PT4_,"axG",@progbits,_ZL24rocblas_dot_kernel_magsqIiLb1ELi1024ELi32ELb0E19rocblas_complex_numIdEPKPKS1_S1_EviT5_lT_liPT6_PT4_,comdat
.Lfunc_end115:
	.size	_ZL24rocblas_dot_kernel_magsqIiLb1ELi1024ELi32ELb0E19rocblas_complex_numIdEPKPKS1_S1_EviT5_lT_liPT6_PT4_, .Lfunc_end115-_ZL24rocblas_dot_kernel_magsqIiLb1ELi1024ELi32ELb0E19rocblas_complex_numIdEPKPKS1_S1_EviT5_lT_liPT6_PT4_
                                        ; -- End function
	.set _ZL24rocblas_dot_kernel_magsqIiLb1ELi1024ELi32ELb0E19rocblas_complex_numIdEPKPKS1_S1_EviT5_lT_liPT6_PT4_.num_vgpr, 16
	.set _ZL24rocblas_dot_kernel_magsqIiLb1ELi1024ELi32ELb0E19rocblas_complex_numIdEPKPKS1_S1_EviT5_lT_liPT6_PT4_.num_agpr, 0
	.set _ZL24rocblas_dot_kernel_magsqIiLb1ELi1024ELi32ELb0E19rocblas_complex_numIdEPKPKS1_S1_EviT5_lT_liPT6_PT4_.numbered_sgpr, 20
	.set _ZL24rocblas_dot_kernel_magsqIiLb1ELi1024ELi32ELb0E19rocblas_complex_numIdEPKPKS1_S1_EviT5_lT_liPT6_PT4_.num_named_barrier, 0
	.set _ZL24rocblas_dot_kernel_magsqIiLb1ELi1024ELi32ELb0E19rocblas_complex_numIdEPKPKS1_S1_EviT5_lT_liPT6_PT4_.private_seg_size, 0
	.set _ZL24rocblas_dot_kernel_magsqIiLb1ELi1024ELi32ELb0E19rocblas_complex_numIdEPKPKS1_S1_EviT5_lT_liPT6_PT4_.uses_vcc, 1
	.set _ZL24rocblas_dot_kernel_magsqIiLb1ELi1024ELi32ELb0E19rocblas_complex_numIdEPKPKS1_S1_EviT5_lT_liPT6_PT4_.uses_flat_scratch, 0
	.set _ZL24rocblas_dot_kernel_magsqIiLb1ELi1024ELi32ELb0E19rocblas_complex_numIdEPKPKS1_S1_EviT5_lT_liPT6_PT4_.has_dyn_sized_stack, 0
	.set _ZL24rocblas_dot_kernel_magsqIiLb1ELi1024ELi32ELb0E19rocblas_complex_numIdEPKPKS1_S1_EviT5_lT_liPT6_PT4_.has_recursion, 0
	.set _ZL24rocblas_dot_kernel_magsqIiLb1ELi1024ELi32ELb0E19rocblas_complex_numIdEPKPKS1_S1_EviT5_lT_liPT6_PT4_.has_indirect_call, 0
	.section	.AMDGPU.csdata,"",@progbits
; Kernel info:
; codeLenInByte = 1256
; TotalNumSgprs: 24
; NumVgprs: 16
; ScratchSize: 0
; MemoryBound: 0
; FloatMode: 240
; IeeeMode: 1
; LDSByteSize: 1024 bytes/workgroup (compile time only)
; SGPRBlocks: 2
; VGPRBlocks: 3
; NumSGPRsForWavesPerEU: 24
; NumVGPRsForWavesPerEU: 16
; Occupancy: 10
; WaveLimiterHint : 0
; COMPUTE_PGM_RSRC2:SCRATCH_EN: 0
; COMPUTE_PGM_RSRC2:USER_SGPR: 6
; COMPUTE_PGM_RSRC2:TRAP_HANDLER: 0
; COMPUTE_PGM_RSRC2:TGID_X_EN: 1
; COMPUTE_PGM_RSRC2:TGID_Y_EN: 0
; COMPUTE_PGM_RSRC2:TGID_Z_EN: 1
; COMPUTE_PGM_RSRC2:TIDIG_COMP_CNT: 0
	.section	.text._ZL38rocblas_dot_kernel_gfx942_float_doubleIiLi1024E19rocblas_complex_numIdEPKPKS1_S1_EviT2_lT_lS6_lS7_lPT3_PT1_,"axG",@progbits,_ZL38rocblas_dot_kernel_gfx942_float_doubleIiLi1024E19rocblas_complex_numIdEPKPKS1_S1_EviT2_lT_lS6_lS7_lPT3_PT1_,comdat
	.globl	_ZL38rocblas_dot_kernel_gfx942_float_doubleIiLi1024E19rocblas_complex_numIdEPKPKS1_S1_EviT2_lT_lS6_lS7_lPT3_PT1_ ; -- Begin function _ZL38rocblas_dot_kernel_gfx942_float_doubleIiLi1024E19rocblas_complex_numIdEPKPKS1_S1_EviT2_lT_lS6_lS7_lPT3_PT1_
	.p2align	8
	.type	_ZL38rocblas_dot_kernel_gfx942_float_doubleIiLi1024E19rocblas_complex_numIdEPKPKS1_S1_EviT2_lT_lS6_lS7_lPT3_PT1_,@function
_ZL38rocblas_dot_kernel_gfx942_float_doubleIiLi1024E19rocblas_complex_numIdEPKPKS1_S1_EviT2_lT_lS6_lS7_lPT3_PT1_: ; @_ZL38rocblas_dot_kernel_gfx942_float_doubleIiLi1024E19rocblas_complex_numIdEPKPKS1_S1_EviT2_lT_lS6_lS7_lPT3_PT1_
; %bb.0:
	s_endpgm
	.section	.rodata,"a",@progbits
	.p2align	6, 0x0
	.amdhsa_kernel _ZL38rocblas_dot_kernel_gfx942_float_doubleIiLi1024E19rocblas_complex_numIdEPKPKS1_S1_EviT2_lT_lS6_lS7_lPT3_PT1_
		.amdhsa_group_segment_fixed_size 0
		.amdhsa_private_segment_fixed_size 0
		.amdhsa_kernarg_size 88
		.amdhsa_user_sgpr_count 6
		.amdhsa_user_sgpr_private_segment_buffer 1
		.amdhsa_user_sgpr_dispatch_ptr 0
		.amdhsa_user_sgpr_queue_ptr 0
		.amdhsa_user_sgpr_kernarg_segment_ptr 1
		.amdhsa_user_sgpr_dispatch_id 0
		.amdhsa_user_sgpr_flat_scratch_init 0
		.amdhsa_user_sgpr_private_segment_size 0
		.amdhsa_uses_dynamic_stack 0
		.amdhsa_system_sgpr_private_segment_wavefront_offset 0
		.amdhsa_system_sgpr_workgroup_id_x 1
		.amdhsa_system_sgpr_workgroup_id_y 0
		.amdhsa_system_sgpr_workgroup_id_z 0
		.amdhsa_system_sgpr_workgroup_info 0
		.amdhsa_system_vgpr_workitem_id 0
		.amdhsa_next_free_vgpr 1
		.amdhsa_next_free_sgpr 0
		.amdhsa_reserve_vcc 0
		.amdhsa_reserve_flat_scratch 0
		.amdhsa_float_round_mode_32 0
		.amdhsa_float_round_mode_16_64 0
		.amdhsa_float_denorm_mode_32 3
		.amdhsa_float_denorm_mode_16_64 3
		.amdhsa_dx10_clamp 1
		.amdhsa_ieee_mode 1
		.amdhsa_fp16_overflow 0
		.amdhsa_exception_fp_ieee_invalid_op 0
		.amdhsa_exception_fp_denorm_src 0
		.amdhsa_exception_fp_ieee_div_zero 0
		.amdhsa_exception_fp_ieee_overflow 0
		.amdhsa_exception_fp_ieee_underflow 0
		.amdhsa_exception_fp_ieee_inexact 0
		.amdhsa_exception_int_div_zero 0
	.end_amdhsa_kernel
	.section	.text._ZL38rocblas_dot_kernel_gfx942_float_doubleIiLi1024E19rocblas_complex_numIdEPKPKS1_S1_EviT2_lT_lS6_lS7_lPT3_PT1_,"axG",@progbits,_ZL38rocblas_dot_kernel_gfx942_float_doubleIiLi1024E19rocblas_complex_numIdEPKPKS1_S1_EviT2_lT_lS6_lS7_lPT3_PT1_,comdat
.Lfunc_end116:
	.size	_ZL38rocblas_dot_kernel_gfx942_float_doubleIiLi1024E19rocblas_complex_numIdEPKPKS1_S1_EviT2_lT_lS6_lS7_lPT3_PT1_, .Lfunc_end116-_ZL38rocblas_dot_kernel_gfx942_float_doubleIiLi1024E19rocblas_complex_numIdEPKPKS1_S1_EviT2_lT_lS6_lS7_lPT3_PT1_
                                        ; -- End function
	.set _ZL38rocblas_dot_kernel_gfx942_float_doubleIiLi1024E19rocblas_complex_numIdEPKPKS1_S1_EviT2_lT_lS6_lS7_lPT3_PT1_.num_vgpr, 0
	.set _ZL38rocblas_dot_kernel_gfx942_float_doubleIiLi1024E19rocblas_complex_numIdEPKPKS1_S1_EviT2_lT_lS6_lS7_lPT3_PT1_.num_agpr, 0
	.set _ZL38rocblas_dot_kernel_gfx942_float_doubleIiLi1024E19rocblas_complex_numIdEPKPKS1_S1_EviT2_lT_lS6_lS7_lPT3_PT1_.numbered_sgpr, 0
	.set _ZL38rocblas_dot_kernel_gfx942_float_doubleIiLi1024E19rocblas_complex_numIdEPKPKS1_S1_EviT2_lT_lS6_lS7_lPT3_PT1_.num_named_barrier, 0
	.set _ZL38rocblas_dot_kernel_gfx942_float_doubleIiLi1024E19rocblas_complex_numIdEPKPKS1_S1_EviT2_lT_lS6_lS7_lPT3_PT1_.private_seg_size, 0
	.set _ZL38rocblas_dot_kernel_gfx942_float_doubleIiLi1024E19rocblas_complex_numIdEPKPKS1_S1_EviT2_lT_lS6_lS7_lPT3_PT1_.uses_vcc, 0
	.set _ZL38rocblas_dot_kernel_gfx942_float_doubleIiLi1024E19rocblas_complex_numIdEPKPKS1_S1_EviT2_lT_lS6_lS7_lPT3_PT1_.uses_flat_scratch, 0
	.set _ZL38rocblas_dot_kernel_gfx942_float_doubleIiLi1024E19rocblas_complex_numIdEPKPKS1_S1_EviT2_lT_lS6_lS7_lPT3_PT1_.has_dyn_sized_stack, 0
	.set _ZL38rocblas_dot_kernel_gfx942_float_doubleIiLi1024E19rocblas_complex_numIdEPKPKS1_S1_EviT2_lT_lS6_lS7_lPT3_PT1_.has_recursion, 0
	.set _ZL38rocblas_dot_kernel_gfx942_float_doubleIiLi1024E19rocblas_complex_numIdEPKPKS1_S1_EviT2_lT_lS6_lS7_lPT3_PT1_.has_indirect_call, 0
	.section	.AMDGPU.csdata,"",@progbits
; Kernel info:
; codeLenInByte = 4
; TotalNumSgprs: 4
; NumVgprs: 0
; ScratchSize: 0
; MemoryBound: 0
; FloatMode: 240
; IeeeMode: 1
; LDSByteSize: 0 bytes/workgroup (compile time only)
; SGPRBlocks: 0
; VGPRBlocks: 0
; NumSGPRsForWavesPerEU: 4
; NumVGPRsForWavesPerEU: 1
; Occupancy: 10
; WaveLimiterHint : 0
; COMPUTE_PGM_RSRC2:SCRATCH_EN: 0
; COMPUTE_PGM_RSRC2:USER_SGPR: 6
; COMPUTE_PGM_RSRC2:TRAP_HANDLER: 0
; COMPUTE_PGM_RSRC2:TGID_X_EN: 1
; COMPUTE_PGM_RSRC2:TGID_Y_EN: 0
; COMPUTE_PGM_RSRC2:TGID_Z_EN: 0
; COMPUTE_PGM_RSRC2:TIDIG_COMP_CNT: 0
	.section	.text._ZL23rocblas_dot_kernel_inc1ILb0ELi512ELi2ELb0E19rocblas_complex_numIdEPKPKS1_S1_EviT4_llS6_lliPT5_PT3_,"axG",@progbits,_ZL23rocblas_dot_kernel_inc1ILb0ELi512ELi2ELb0E19rocblas_complex_numIdEPKPKS1_S1_EviT4_llS6_lliPT5_PT3_,comdat
	.globl	_ZL23rocblas_dot_kernel_inc1ILb0ELi512ELi2ELb0E19rocblas_complex_numIdEPKPKS1_S1_EviT4_llS6_lliPT5_PT3_ ; -- Begin function _ZL23rocblas_dot_kernel_inc1ILb0ELi512ELi2ELb0E19rocblas_complex_numIdEPKPKS1_S1_EviT4_llS6_lliPT5_PT3_
	.p2align	8
	.type	_ZL23rocblas_dot_kernel_inc1ILb0ELi512ELi2ELb0E19rocblas_complex_numIdEPKPKS1_S1_EviT4_llS6_lliPT5_PT3_,@function
_ZL23rocblas_dot_kernel_inc1ILb0ELi512ELi2ELb0E19rocblas_complex_numIdEPKPKS1_S1_EviT4_llS6_lliPT5_PT3_: ; @_ZL23rocblas_dot_kernel_inc1ILb0ELi512ELi2ELb0E19rocblas_complex_numIdEPKPKS1_S1_EviT4_llS6_lliPT5_PT3_
; %bb.0:
	s_mov_b32 s2, s7
	s_load_dword s7, s[4:5], 0x0
	s_load_dword s10, s[4:5], 0x50
	v_lshl_or_b32 v5, s6, 9, v0
	v_mov_b32_e32 v1, 0
	v_mov_b32_e32 v3, 0
	s_mov_b32 s3, 0
	v_mov_b32_e32 v2, 0
	v_mov_b32_e32 v4, 0
	s_waitcnt lgkmcnt(0)
	v_cmp_gt_i32_e32 vcc, s7, v5
	s_and_saveexec_b64 s[0:1], vcc
	s_cbranch_execz .LBB117_4
; %bb.1:
	s_load_dwordx4 s[12:15], s[4:5], 0x8
	s_load_dwordx4 s[16:19], s[4:5], 0x20
	s_lshl_b64 s[8:9], s[2:3], 3
	v_ashrrev_i32_e32 v6, 31, v5
	v_lshlrev_b64 v[1:2], 4, v[5:6]
	s_waitcnt lgkmcnt(0)
	s_add_u32 s12, s12, s8
	s_addc_u32 s13, s13, s9
	s_load_dwordx2 s[12:13], s[12:13], 0x0
	s_lshl_b64 s[14:15], s[14:15], 4
	s_waitcnt lgkmcnt(0)
	s_add_u32 s11, s12, s14
	s_addc_u32 s12, s13, s15
	s_add_u32 s8, s16, s8
	s_addc_u32 s9, s17, s9
	s_load_dwordx2 s[8:9], s[8:9], 0x0
	s_lshl_b64 s[14:15], s[18:19], 4
	v_mov_b32_e32 v3, s12
	s_waitcnt lgkmcnt(0)
	s_add_u32 s13, s8, s14
	s_addc_u32 s14, s9, s15
	v_mov_b32_e32 v4, s14
	v_add_co_u32_e32 v9, vcc, s13, v1
	v_addc_co_u32_e32 v10, vcc, v4, v2, vcc
	v_add_co_u32_e32 v11, vcc, s11, v1
	v_addc_co_u32_e32 v12, vcc, v3, v2, vcc
	flat_load_dwordx4 v[1:4], v[11:12]
	flat_load_dwordx4 v[5:8], v[9:10]
	s_add_i32 s8, s6, s10
	s_waitcnt vmcnt(0) lgkmcnt(0)
	v_mul_f64 v[9:10], v[7:8], v[3:4]
	v_mul_f64 v[3:4], v[5:6], v[3:4]
	v_fma_f64 v[5:6], v[5:6], v[1:2], -v[9:10]
	v_fma_f64 v[3:4], v[7:8], v[1:2], v[3:4]
	v_add_f64 v[1:2], v[5:6], 0
	v_add_f64 v[3:4], v[3:4], 0
	v_lshl_or_b32 v5, s8, 9, v0
	v_cmp_gt_i32_e32 vcc, s7, v5
	s_and_saveexec_b64 s[8:9], vcc
	s_cbranch_execz .LBB117_3
; %bb.2:
	v_ashrrev_i32_e32 v6, 31, v5
	v_lshlrev_b64 v[9:10], 4, v[5:6]
	v_mov_b32_e32 v6, s14
	v_add_co_u32_e32 v5, vcc, s13, v9
	v_addc_co_u32_e32 v6, vcc, v6, v10, vcc
	v_mov_b32_e32 v11, s12
	v_add_co_u32_e32 v9, vcc, s11, v9
	v_addc_co_u32_e32 v10, vcc, v11, v10, vcc
	flat_load_dwordx4 v[5:8], v[5:6]
	s_nop 0
	flat_load_dwordx4 v[9:12], v[9:10]
	s_waitcnt vmcnt(0) lgkmcnt(0)
	v_mul_f64 v[13:14], v[5:6], v[11:12]
	v_mul_f64 v[11:12], v[7:8], v[11:12]
	v_fma_f64 v[7:8], v[7:8], v[9:10], v[13:14]
	v_fma_f64 v[5:6], v[5:6], v[9:10], -v[11:12]
	v_add_f64 v[3:4], v[3:4], v[7:8]
	v_add_f64 v[1:2], v[1:2], v[5:6]
.LBB117_3:
	s_or_b64 exec, exec, s[8:9]
.LBB117_4:
	s_or_b64 exec, exec, s[0:1]
	v_and_b32_e32 v10, 63, v0
	v_cmp_gt_u32_e32 vcc, 64, v0
	v_lshlrev_b32_e32 v9, 4, v10
	s_and_saveexec_b64 s[0:1], vcc
; %bb.5:
	v_mov_b32_e32 v5, 0
	v_mov_b32_e32 v6, v5
	;; [unrolled: 1-line block ×4, first 2 shown]
	ds_write_b128 v9, v[5:8]
; %bb.6:
	s_or_b64 exec, exec, s[0:1]
	v_mbcnt_lo_u32_b32 v5, -1, 0
	v_mbcnt_hi_u32_b32 v13, -1, v5
	v_mov_b32_e32 v5, 0x80
	v_lshl_or_b32 v8, v13, 2, v5
	ds_bpermute_b32 v5, v8, v1
	ds_bpermute_b32 v6, v8, v2
	;; [unrolled: 1-line block ×4, first 2 shown]
	v_and_b32_e32 v14, 63, v13
	v_cmp_gt_u32_e64 s[0:1], 48, v14
	s_waitcnt lgkmcnt(2)
	v_add_f64 v[1:2], v[1:2], v[5:6]
	v_cndmask_b32_e64 v5, 0, 16, s[0:1]
	s_waitcnt lgkmcnt(0)
	v_add_f64 v[3:4], v[3:4], v[7:8]
	v_add_lshl_u32 v8, v5, v13, 2
	v_cmp_gt_u32_e64 s[0:1], 56, v14
	s_barrier
	ds_bpermute_b32 v5, v8, v1
	ds_bpermute_b32 v6, v8, v2
	;; [unrolled: 1-line block ×4, first 2 shown]
	s_waitcnt lgkmcnt(2)
	v_add_f64 v[1:2], v[1:2], v[5:6]
	v_cndmask_b32_e64 v5, 0, 8, s[0:1]
	s_waitcnt lgkmcnt(0)
	v_add_f64 v[3:4], v[3:4], v[7:8]
	v_add_lshl_u32 v8, v5, v13, 2
	v_cmp_gt_u32_e64 s[0:1], 60, v14
	ds_bpermute_b32 v5, v8, v1
	ds_bpermute_b32 v6, v8, v2
	;; [unrolled: 1-line block ×4, first 2 shown]
	s_waitcnt lgkmcnt(2)
	v_add_f64 v[1:2], v[1:2], v[5:6]
	v_cndmask_b32_e64 v5, 0, 4, s[0:1]
	s_waitcnt lgkmcnt(0)
	v_add_f64 v[3:4], v[3:4], v[7:8]
	v_add_lshl_u32 v11, v5, v13, 2
	v_cmp_gt_u32_e64 s[0:1], 62, v14
	ds_bpermute_b32 v5, v11, v1
	ds_bpermute_b32 v6, v11, v2
	;; [unrolled: 1-line block ×4, first 2 shown]
	s_waitcnt lgkmcnt(2)
	v_add_f64 v[1:2], v[1:2], v[5:6]
	v_cndmask_b32_e64 v5, 0, 2, s[0:1]
	s_waitcnt lgkmcnt(0)
	v_add_f64 v[3:4], v[3:4], v[7:8]
	v_add_lshl_u32 v12, v5, v13, 2
	v_cmp_ne_u32_e64 s[0:1], 63, v14
	ds_bpermute_b32 v5, v12, v1
	ds_bpermute_b32 v6, v12, v2
	;; [unrolled: 1-line block ×4, first 2 shown]
	s_waitcnt lgkmcnt(2)
	v_add_f64 v[1:2], v[1:2], v[5:6]
	v_addc_co_u32_e64 v5, s[0:1], 0, v13, s[0:1]
	s_waitcnt lgkmcnt(0)
	v_add_f64 v[3:4], v[3:4], v[7:8]
	v_lshlrev_b32_e32 v13, 2, v5
	v_cmp_eq_u32_e64 s[0:1], 0, v10
	ds_bpermute_b32 v5, v13, v1
	ds_bpermute_b32 v6, v13, v2
	;; [unrolled: 1-line block ×4, first 2 shown]
	s_and_saveexec_b64 s[8:9], s[0:1]
	s_cbranch_execz .LBB117_8
; %bb.7:
	s_waitcnt lgkmcnt(0)
	v_add_f64 v[3:4], v[3:4], v[7:8]
	v_add_f64 v[1:2], v[1:2], v[5:6]
	v_lshrrev_b32_e32 v5, 2, v0
	v_and_b32_e32 v5, 0x70, v5
	ds_write_b128 v5, v[1:4]
.LBB117_8:
	s_or_b64 exec, exec, s[8:9]
	v_mov_b32_e32 v3, 0
	v_mov_b32_e32 v1, 0
	;; [unrolled: 1-line block ×4, first 2 shown]
	v_cmp_gt_u32_e64 s[0:1], 8, v0
	s_waitcnt lgkmcnt(0)
	s_barrier
	s_and_saveexec_b64 s[8:9], s[0:1]
	s_cbranch_execnz .LBB117_12
; %bb.9:
	s_or_b64 exec, exec, s[8:9]
	s_and_saveexec_b64 s[0:1], vcc
	s_cbranch_execnz .LBB117_13
.LBB117_10:
	s_or_b64 exec, exec, s[0:1]
	v_cmp_eq_u32_e32 vcc, 0, v0
	s_and_saveexec_b64 s[0:1], vcc
	s_cbranch_execnz .LBB117_14
.LBB117_11:
	s_endpgm
.LBB117_12:
	ds_read_b128 v[1:4], v9
	s_or_b64 exec, exec, s[8:9]
	s_and_saveexec_b64 s[0:1], vcc
	s_cbranch_execz .LBB117_10
.LBB117_13:
	s_waitcnt lgkmcnt(0)
	ds_bpermute_b32 v5, v11, v1
	ds_bpermute_b32 v6, v11, v2
	ds_bpermute_b32 v7, v11, v3
	ds_bpermute_b32 v8, v11, v4
	s_waitcnt lgkmcnt(2)
	v_add_f64 v[1:2], v[1:2], v[5:6]
	s_waitcnt lgkmcnt(0)
	v_add_f64 v[3:4], v[3:4], v[7:8]
	ds_bpermute_b32 v5, v12, v1
	ds_bpermute_b32 v6, v12, v2
	ds_bpermute_b32 v7, v12, v3
	ds_bpermute_b32 v8, v12, v4
	s_waitcnt lgkmcnt(2)
	v_add_f64 v[1:2], v[1:2], v[5:6]
	s_waitcnt lgkmcnt(0)
	v_add_f64 v[3:4], v[3:4], v[7:8]
	;; [unrolled: 8-line block ×3, first 2 shown]
	s_or_b64 exec, exec, s[0:1]
	v_cmp_eq_u32_e32 vcc, 0, v0
	s_and_saveexec_b64 s[0:1], vcc
	s_cbranch_execz .LBB117_11
.LBB117_14:
	s_cmp_lg_u32 s10, 1
	s_cbranch_scc0 .LBB117_16
; %bb.15:
	s_load_dwordx2 s[0:1], s[4:5], 0x40
	s_mul_hi_u32 s9, s10, s2
	s_mul_i32 s8, s10, s2
	s_lshl_b64 s[8:9], s[8:9], 4
	s_mov_b32 s7, 0
	s_waitcnt lgkmcnt(0)
	s_add_u32 s8, s0, s8
	s_addc_u32 s9, s1, s9
	s_lshl_b64 s[0:1], s[6:7], 4
	s_add_u32 s0, s8, s0
	s_addc_u32 s1, s9, s1
	v_mov_b32_e32 v0, 0
	global_store_dwordx2 v0, v[1:2], s[0:1]
	s_cbranch_execz .LBB117_17
	s_branch .LBB117_18
.LBB117_16:
                                        ; implicit-def: $sgpr0_sgpr1
.LBB117_17:
	s_load_dwordx2 s[0:1], s[4:5], 0x48
	s_lshl_b64 s[2:3], s[2:3], 4
	v_mov_b32_e32 v0, 0
	s_waitcnt lgkmcnt(0)
	s_add_u32 s0, s0, s2
	s_addc_u32 s1, s1, s3
	global_store_dwordx2 v0, v[1:2], s[0:1]
.LBB117_18:
	v_mov_b32_e32 v0, 0
	s_waitcnt lgkmcnt(0)
	global_store_dwordx2 v0, v[3:4], s[0:1] offset:8
	s_endpgm
	.section	.rodata,"a",@progbits
	.p2align	6, 0x0
	.amdhsa_kernel _ZL23rocblas_dot_kernel_inc1ILb0ELi512ELi2ELb0E19rocblas_complex_numIdEPKPKS1_S1_EviT4_llS6_lliPT5_PT3_
		.amdhsa_group_segment_fixed_size 1024
		.amdhsa_private_segment_fixed_size 0
		.amdhsa_kernarg_size 336
		.amdhsa_user_sgpr_count 6
		.amdhsa_user_sgpr_private_segment_buffer 1
		.amdhsa_user_sgpr_dispatch_ptr 0
		.amdhsa_user_sgpr_queue_ptr 0
		.amdhsa_user_sgpr_kernarg_segment_ptr 1
		.amdhsa_user_sgpr_dispatch_id 0
		.amdhsa_user_sgpr_flat_scratch_init 0
		.amdhsa_user_sgpr_private_segment_size 0
		.amdhsa_uses_dynamic_stack 0
		.amdhsa_system_sgpr_private_segment_wavefront_offset 0
		.amdhsa_system_sgpr_workgroup_id_x 1
		.amdhsa_system_sgpr_workgroup_id_y 0
		.amdhsa_system_sgpr_workgroup_id_z 1
		.amdhsa_system_sgpr_workgroup_info 0
		.amdhsa_system_vgpr_workitem_id 0
		.amdhsa_next_free_vgpr 15
		.amdhsa_next_free_sgpr 20
		.amdhsa_reserve_vcc 1
		.amdhsa_reserve_flat_scratch 0
		.amdhsa_float_round_mode_32 0
		.amdhsa_float_round_mode_16_64 0
		.amdhsa_float_denorm_mode_32 3
		.amdhsa_float_denorm_mode_16_64 3
		.amdhsa_dx10_clamp 1
		.amdhsa_ieee_mode 1
		.amdhsa_fp16_overflow 0
		.amdhsa_exception_fp_ieee_invalid_op 0
		.amdhsa_exception_fp_denorm_src 0
		.amdhsa_exception_fp_ieee_div_zero 0
		.amdhsa_exception_fp_ieee_overflow 0
		.amdhsa_exception_fp_ieee_underflow 0
		.amdhsa_exception_fp_ieee_inexact 0
		.amdhsa_exception_int_div_zero 0
	.end_amdhsa_kernel
	.section	.text._ZL23rocblas_dot_kernel_inc1ILb0ELi512ELi2ELb0E19rocblas_complex_numIdEPKPKS1_S1_EviT4_llS6_lliPT5_PT3_,"axG",@progbits,_ZL23rocblas_dot_kernel_inc1ILb0ELi512ELi2ELb0E19rocblas_complex_numIdEPKPKS1_S1_EviT4_llS6_lliPT5_PT3_,comdat
.Lfunc_end117:
	.size	_ZL23rocblas_dot_kernel_inc1ILb0ELi512ELi2ELb0E19rocblas_complex_numIdEPKPKS1_S1_EviT4_llS6_lliPT5_PT3_, .Lfunc_end117-_ZL23rocblas_dot_kernel_inc1ILb0ELi512ELi2ELb0E19rocblas_complex_numIdEPKPKS1_S1_EviT4_llS6_lliPT5_PT3_
                                        ; -- End function
	.set _ZL23rocblas_dot_kernel_inc1ILb0ELi512ELi2ELb0E19rocblas_complex_numIdEPKPKS1_S1_EviT4_llS6_lliPT5_PT3_.num_vgpr, 15
	.set _ZL23rocblas_dot_kernel_inc1ILb0ELi512ELi2ELb0E19rocblas_complex_numIdEPKPKS1_S1_EviT4_llS6_lliPT5_PT3_.num_agpr, 0
	.set _ZL23rocblas_dot_kernel_inc1ILb0ELi512ELi2ELb0E19rocblas_complex_numIdEPKPKS1_S1_EviT4_llS6_lliPT5_PT3_.numbered_sgpr, 20
	.set _ZL23rocblas_dot_kernel_inc1ILb0ELi512ELi2ELb0E19rocblas_complex_numIdEPKPKS1_S1_EviT4_llS6_lliPT5_PT3_.num_named_barrier, 0
	.set _ZL23rocblas_dot_kernel_inc1ILb0ELi512ELi2ELb0E19rocblas_complex_numIdEPKPKS1_S1_EviT4_llS6_lliPT5_PT3_.private_seg_size, 0
	.set _ZL23rocblas_dot_kernel_inc1ILb0ELi512ELi2ELb0E19rocblas_complex_numIdEPKPKS1_S1_EviT4_llS6_lliPT5_PT3_.uses_vcc, 1
	.set _ZL23rocblas_dot_kernel_inc1ILb0ELi512ELi2ELb0E19rocblas_complex_numIdEPKPKS1_S1_EviT4_llS6_lliPT5_PT3_.uses_flat_scratch, 0
	.set _ZL23rocblas_dot_kernel_inc1ILb0ELi512ELi2ELb0E19rocblas_complex_numIdEPKPKS1_S1_EviT4_llS6_lliPT5_PT3_.has_dyn_sized_stack, 0
	.set _ZL23rocblas_dot_kernel_inc1ILb0ELi512ELi2ELb0E19rocblas_complex_numIdEPKPKS1_S1_EviT4_llS6_lliPT5_PT3_.has_recursion, 0
	.set _ZL23rocblas_dot_kernel_inc1ILb0ELi512ELi2ELb0E19rocblas_complex_numIdEPKPKS1_S1_EviT4_llS6_lliPT5_PT3_.has_indirect_call, 0
	.section	.AMDGPU.csdata,"",@progbits
; Kernel info:
; codeLenInByte = 1380
; TotalNumSgprs: 24
; NumVgprs: 15
; ScratchSize: 0
; MemoryBound: 0
; FloatMode: 240
; IeeeMode: 1
; LDSByteSize: 1024 bytes/workgroup (compile time only)
; SGPRBlocks: 2
; VGPRBlocks: 3
; NumSGPRsForWavesPerEU: 24
; NumVGPRsForWavesPerEU: 15
; Occupancy: 10
; WaveLimiterHint : 1
; COMPUTE_PGM_RSRC2:SCRATCH_EN: 0
; COMPUTE_PGM_RSRC2:USER_SGPR: 6
; COMPUTE_PGM_RSRC2:TRAP_HANDLER: 0
; COMPUTE_PGM_RSRC2:TGID_X_EN: 1
; COMPUTE_PGM_RSRC2:TGID_Y_EN: 0
; COMPUTE_PGM_RSRC2:TGID_Z_EN: 1
; COMPUTE_PGM_RSRC2:TIDIG_COMP_CNT: 0
	.section	.text._ZL18rocblas_dot_kernelIiLb0ELi512ELi2ELb0E19rocblas_complex_numIdEPKPKS1_S1_EviT5_lT_lS6_lS7_liPT6_PT4_,"axG",@progbits,_ZL18rocblas_dot_kernelIiLb0ELi512ELi2ELb0E19rocblas_complex_numIdEPKPKS1_S1_EviT5_lT_lS6_lS7_liPT6_PT4_,comdat
	.globl	_ZL18rocblas_dot_kernelIiLb0ELi512ELi2ELb0E19rocblas_complex_numIdEPKPKS1_S1_EviT5_lT_lS6_lS7_liPT6_PT4_ ; -- Begin function _ZL18rocblas_dot_kernelIiLb0ELi512ELi2ELb0E19rocblas_complex_numIdEPKPKS1_S1_EviT5_lT_lS6_lS7_liPT6_PT4_
	.p2align	8
	.type	_ZL18rocblas_dot_kernelIiLb0ELi512ELi2ELb0E19rocblas_complex_numIdEPKPKS1_S1_EviT5_lT_lS6_lS7_liPT6_PT4_,@function
_ZL18rocblas_dot_kernelIiLb0ELi512ELi2ELb0E19rocblas_complex_numIdEPKPKS1_S1_EviT5_lT_lS6_lS7_liPT6_PT4_: ; @_ZL18rocblas_dot_kernelIiLb0ELi512ELi2ELb0E19rocblas_complex_numIdEPKPKS1_S1_EviT5_lT_lS6_lS7_liPT6_PT4_
; %bb.0:
	s_load_dword s8, s[4:5], 0x0
	s_load_dword s10, s[4:5], 0x60
	v_lshl_or_b32 v5, s6, 9, v0
	v_mov_b32_e32 v1, 0
	v_mov_b32_e32 v3, 0
	s_mov_b32 s2, s7
	s_mov_b32 s3, 0
	v_mov_b32_e32 v2, 0
	v_mov_b32_e32 v4, 0
	s_waitcnt lgkmcnt(0)
	v_cmp_gt_i32_e32 vcc, s8, v5
	s_and_saveexec_b64 s[0:1], vcc
	s_cbranch_execz .LBB118_4
; %bb.1:
	s_load_dwordx4 s[16:19], s[4:5], 0x8
	s_load_dword s7, s[4:5], 0x18
	s_load_dword s13, s[4:5], 0x38
	s_lshl_b64 s[14:15], s[2:3], 3
	s_waitcnt lgkmcnt(0)
	s_add_u32 s16, s16, s14
	s_addc_u32 s17, s17, s15
	s_load_dwordx2 s[24:25], s[16:17], 0x0
	s_load_dwordx4 s[20:23], s[4:5], 0x28
	v_mad_i64_i32 v[1:2], s[16:17], v5, s13, 0
	s_lshl_b64 s[16:17], s[18:19], 4
	s_waitcnt lgkmcnt(0)
	s_add_u32 s11, s24, s16
	s_addc_u32 s12, s25, s17
	s_add_u32 s14, s20, s14
	s_addc_u32 s15, s21, s15
	s_load_dwordx2 s[14:15], s[14:15], 0x0
	v_mad_i64_i32 v[3:4], s[16:17], v5, s7, 0
	s_lshl_b64 s[16:17], s[22:23], 4
	v_lshlrev_b64 v[1:2], 4, v[1:2]
	s_waitcnt lgkmcnt(0)
	s_add_u32 s14, s14, s16
	s_addc_u32 s15, s15, s17
	v_mov_b32_e32 v5, s15
	v_add_co_u32_e32 v9, vcc, s14, v1
	v_addc_co_u32_e32 v10, vcc, v5, v2, vcc
	v_lshlrev_b64 v[1:2], 4, v[3:4]
	v_mov_b32_e32 v3, s12
	v_add_co_u32_e32 v11, vcc, s11, v1
	v_addc_co_u32_e32 v12, vcc, v3, v2, vcc
	flat_load_dwordx4 v[1:4], v[11:12]
	flat_load_dwordx4 v[5:8], v[9:10]
	s_add_i32 s9, s6, s10
	s_waitcnt vmcnt(0) lgkmcnt(0)
	v_mul_f64 v[9:10], v[7:8], v[3:4]
	v_mul_f64 v[3:4], v[5:6], v[3:4]
	v_fma_f64 v[5:6], v[5:6], v[1:2], -v[9:10]
	v_fma_f64 v[3:4], v[7:8], v[1:2], v[3:4]
	v_add_f64 v[1:2], v[5:6], 0
	v_add_f64 v[3:4], v[3:4], 0
	v_lshl_or_b32 v5, s9, 9, v0
	v_cmp_gt_i32_e32 vcc, s8, v5
	s_and_saveexec_b64 s[8:9], vcc
	s_cbranch_execz .LBB118_3
; %bb.2:
	v_mad_i64_i32 v[6:7], s[16:17], v5, s13, 0
	v_mad_i64_i32 v[9:10], s[16:17], v5, s7, 0
	v_lshlrev_b64 v[6:7], 4, v[6:7]
	v_mov_b32_e32 v8, s15
	v_add_co_u32_e32 v5, vcc, s14, v6
	v_lshlrev_b64 v[9:10], 4, v[9:10]
	v_addc_co_u32_e32 v6, vcc, v8, v7, vcc
	v_mov_b32_e32 v11, s12
	v_add_co_u32_e32 v9, vcc, s11, v9
	v_addc_co_u32_e32 v10, vcc, v11, v10, vcc
	flat_load_dwordx4 v[5:8], v[5:6]
	s_nop 0
	flat_load_dwordx4 v[9:12], v[9:10]
	s_waitcnt vmcnt(0) lgkmcnt(0)
	v_mul_f64 v[13:14], v[5:6], v[11:12]
	v_mul_f64 v[11:12], v[7:8], v[11:12]
	v_fma_f64 v[7:8], v[7:8], v[9:10], v[13:14]
	v_fma_f64 v[5:6], v[5:6], v[9:10], -v[11:12]
	v_add_f64 v[3:4], v[3:4], v[7:8]
	v_add_f64 v[1:2], v[1:2], v[5:6]
.LBB118_3:
	s_or_b64 exec, exec, s[8:9]
.LBB118_4:
	s_or_b64 exec, exec, s[0:1]
	v_and_b32_e32 v10, 63, v0
	v_cmp_gt_u32_e32 vcc, 64, v0
	v_lshlrev_b32_e32 v9, 4, v10
	s_and_saveexec_b64 s[0:1], vcc
; %bb.5:
	v_mov_b32_e32 v5, 0
	v_mov_b32_e32 v6, v5
	;; [unrolled: 1-line block ×4, first 2 shown]
	ds_write_b128 v9, v[5:8]
; %bb.6:
	s_or_b64 exec, exec, s[0:1]
	v_mbcnt_lo_u32_b32 v5, -1, 0
	v_mbcnt_hi_u32_b32 v13, -1, v5
	v_mov_b32_e32 v5, 0x80
	v_lshl_or_b32 v8, v13, 2, v5
	ds_bpermute_b32 v5, v8, v1
	ds_bpermute_b32 v6, v8, v2
	;; [unrolled: 1-line block ×4, first 2 shown]
	v_and_b32_e32 v14, 63, v13
	v_cmp_gt_u32_e64 s[0:1], 48, v14
	s_waitcnt lgkmcnt(2)
	v_add_f64 v[1:2], v[1:2], v[5:6]
	v_cndmask_b32_e64 v5, 0, 16, s[0:1]
	s_waitcnt lgkmcnt(0)
	v_add_f64 v[3:4], v[3:4], v[7:8]
	v_add_lshl_u32 v8, v5, v13, 2
	v_cmp_gt_u32_e64 s[0:1], 56, v14
	s_barrier
	ds_bpermute_b32 v5, v8, v1
	ds_bpermute_b32 v6, v8, v2
	ds_bpermute_b32 v7, v8, v3
	ds_bpermute_b32 v8, v8, v4
	s_waitcnt lgkmcnt(2)
	v_add_f64 v[1:2], v[1:2], v[5:6]
	v_cndmask_b32_e64 v5, 0, 8, s[0:1]
	s_waitcnt lgkmcnt(0)
	v_add_f64 v[3:4], v[3:4], v[7:8]
	v_add_lshl_u32 v8, v5, v13, 2
	v_cmp_gt_u32_e64 s[0:1], 60, v14
	ds_bpermute_b32 v5, v8, v1
	ds_bpermute_b32 v6, v8, v2
	;; [unrolled: 1-line block ×4, first 2 shown]
	s_waitcnt lgkmcnt(2)
	v_add_f64 v[1:2], v[1:2], v[5:6]
	v_cndmask_b32_e64 v5, 0, 4, s[0:1]
	s_waitcnt lgkmcnt(0)
	v_add_f64 v[3:4], v[3:4], v[7:8]
	v_add_lshl_u32 v11, v5, v13, 2
	v_cmp_gt_u32_e64 s[0:1], 62, v14
	ds_bpermute_b32 v5, v11, v1
	ds_bpermute_b32 v6, v11, v2
	;; [unrolled: 1-line block ×4, first 2 shown]
	s_waitcnt lgkmcnt(2)
	v_add_f64 v[1:2], v[1:2], v[5:6]
	v_cndmask_b32_e64 v5, 0, 2, s[0:1]
	s_waitcnt lgkmcnt(0)
	v_add_f64 v[3:4], v[3:4], v[7:8]
	v_add_lshl_u32 v12, v5, v13, 2
	v_cmp_ne_u32_e64 s[0:1], 63, v14
	ds_bpermute_b32 v5, v12, v1
	ds_bpermute_b32 v6, v12, v2
	ds_bpermute_b32 v7, v12, v3
	ds_bpermute_b32 v8, v12, v4
	s_waitcnt lgkmcnt(2)
	v_add_f64 v[1:2], v[1:2], v[5:6]
	v_addc_co_u32_e64 v5, s[0:1], 0, v13, s[0:1]
	s_waitcnt lgkmcnt(0)
	v_add_f64 v[3:4], v[3:4], v[7:8]
	v_lshlrev_b32_e32 v13, 2, v5
	v_cmp_eq_u32_e64 s[0:1], 0, v10
	ds_bpermute_b32 v5, v13, v1
	ds_bpermute_b32 v6, v13, v2
	;; [unrolled: 1-line block ×4, first 2 shown]
	s_and_saveexec_b64 s[8:9], s[0:1]
	s_cbranch_execz .LBB118_8
; %bb.7:
	s_waitcnt lgkmcnt(0)
	v_add_f64 v[3:4], v[3:4], v[7:8]
	v_add_f64 v[1:2], v[1:2], v[5:6]
	v_lshrrev_b32_e32 v5, 2, v0
	v_and_b32_e32 v5, 0x70, v5
	ds_write_b128 v5, v[1:4]
.LBB118_8:
	s_or_b64 exec, exec, s[8:9]
	v_mov_b32_e32 v3, 0
	v_mov_b32_e32 v1, 0
	;; [unrolled: 1-line block ×4, first 2 shown]
	v_cmp_gt_u32_e64 s[0:1], 8, v0
	s_waitcnt lgkmcnt(0)
	s_barrier
	s_and_saveexec_b64 s[8:9], s[0:1]
	s_cbranch_execnz .LBB118_12
; %bb.9:
	s_or_b64 exec, exec, s[8:9]
	s_and_saveexec_b64 s[0:1], vcc
	s_cbranch_execnz .LBB118_13
.LBB118_10:
	s_or_b64 exec, exec, s[0:1]
	v_cmp_eq_u32_e32 vcc, 0, v0
	s_and_saveexec_b64 s[0:1], vcc
	s_cbranch_execnz .LBB118_14
.LBB118_11:
	s_endpgm
.LBB118_12:
	ds_read_b128 v[1:4], v9
	s_or_b64 exec, exec, s[8:9]
	s_and_saveexec_b64 s[0:1], vcc
	s_cbranch_execz .LBB118_10
.LBB118_13:
	s_waitcnt lgkmcnt(0)
	ds_bpermute_b32 v5, v11, v1
	ds_bpermute_b32 v6, v11, v2
	ds_bpermute_b32 v7, v11, v3
	ds_bpermute_b32 v8, v11, v4
	s_waitcnt lgkmcnt(2)
	v_add_f64 v[1:2], v[1:2], v[5:6]
	s_waitcnt lgkmcnt(0)
	v_add_f64 v[3:4], v[3:4], v[7:8]
	ds_bpermute_b32 v5, v12, v1
	ds_bpermute_b32 v6, v12, v2
	ds_bpermute_b32 v7, v12, v3
	ds_bpermute_b32 v8, v12, v4
	s_waitcnt lgkmcnt(2)
	v_add_f64 v[1:2], v[1:2], v[5:6]
	s_waitcnt lgkmcnt(0)
	v_add_f64 v[3:4], v[3:4], v[7:8]
	;; [unrolled: 8-line block ×3, first 2 shown]
	s_or_b64 exec, exec, s[0:1]
	v_cmp_eq_u32_e32 vcc, 0, v0
	s_and_saveexec_b64 s[0:1], vcc
	s_cbranch_execz .LBB118_11
.LBB118_14:
	s_cmp_lg_u32 s10, 1
	s_cbranch_scc0 .LBB118_16
; %bb.15:
	s_load_dwordx2 s[0:1], s[4:5], 0x50
	s_mul_hi_u32 s9, s10, s2
	s_mul_i32 s8, s10, s2
	s_lshl_b64 s[8:9], s[8:9], 4
	s_mov_b32 s7, 0
	s_waitcnt lgkmcnt(0)
	s_add_u32 s8, s0, s8
	s_addc_u32 s9, s1, s9
	s_lshl_b64 s[0:1], s[6:7], 4
	s_add_u32 s0, s8, s0
	s_addc_u32 s1, s9, s1
	v_mov_b32_e32 v0, 0
	global_store_dwordx2 v0, v[1:2], s[0:1]
	s_cbranch_execz .LBB118_17
	s_branch .LBB118_18
.LBB118_16:
                                        ; implicit-def: $sgpr0_sgpr1
.LBB118_17:
	s_load_dwordx2 s[0:1], s[4:5], 0x58
	s_lshl_b64 s[2:3], s[2:3], 4
	v_mov_b32_e32 v0, 0
	s_waitcnt lgkmcnt(0)
	s_add_u32 s0, s0, s2
	s_addc_u32 s1, s1, s3
	global_store_dwordx2 v0, v[1:2], s[0:1]
.LBB118_18:
	v_mov_b32_e32 v0, 0
	s_waitcnt lgkmcnt(0)
	global_store_dwordx2 v0, v[3:4], s[0:1] offset:8
	s_endpgm
	.section	.rodata,"a",@progbits
	.p2align	6, 0x0
	.amdhsa_kernel _ZL18rocblas_dot_kernelIiLb0ELi512ELi2ELb0E19rocblas_complex_numIdEPKPKS1_S1_EviT5_lT_lS6_lS7_liPT6_PT4_
		.amdhsa_group_segment_fixed_size 1024
		.amdhsa_private_segment_fixed_size 0
		.amdhsa_kernarg_size 352
		.amdhsa_user_sgpr_count 6
		.amdhsa_user_sgpr_private_segment_buffer 1
		.amdhsa_user_sgpr_dispatch_ptr 0
		.amdhsa_user_sgpr_queue_ptr 0
		.amdhsa_user_sgpr_kernarg_segment_ptr 1
		.amdhsa_user_sgpr_dispatch_id 0
		.amdhsa_user_sgpr_flat_scratch_init 0
		.amdhsa_user_sgpr_private_segment_size 0
		.amdhsa_uses_dynamic_stack 0
		.amdhsa_system_sgpr_private_segment_wavefront_offset 0
		.amdhsa_system_sgpr_workgroup_id_x 1
		.amdhsa_system_sgpr_workgroup_id_y 0
		.amdhsa_system_sgpr_workgroup_id_z 1
		.amdhsa_system_sgpr_workgroup_info 0
		.amdhsa_system_vgpr_workitem_id 0
		.amdhsa_next_free_vgpr 15
		.amdhsa_next_free_sgpr 26
		.amdhsa_reserve_vcc 1
		.amdhsa_reserve_flat_scratch 0
		.amdhsa_float_round_mode_32 0
		.amdhsa_float_round_mode_16_64 0
		.amdhsa_float_denorm_mode_32 3
		.amdhsa_float_denorm_mode_16_64 3
		.amdhsa_dx10_clamp 1
		.amdhsa_ieee_mode 1
		.amdhsa_fp16_overflow 0
		.amdhsa_exception_fp_ieee_invalid_op 0
		.amdhsa_exception_fp_denorm_src 0
		.amdhsa_exception_fp_ieee_div_zero 0
		.amdhsa_exception_fp_ieee_overflow 0
		.amdhsa_exception_fp_ieee_underflow 0
		.amdhsa_exception_fp_ieee_inexact 0
		.amdhsa_exception_int_div_zero 0
	.end_amdhsa_kernel
	.section	.text._ZL18rocblas_dot_kernelIiLb0ELi512ELi2ELb0E19rocblas_complex_numIdEPKPKS1_S1_EviT5_lT_lS6_lS7_liPT6_PT4_,"axG",@progbits,_ZL18rocblas_dot_kernelIiLb0ELi512ELi2ELb0E19rocblas_complex_numIdEPKPKS1_S1_EviT5_lT_lS6_lS7_liPT6_PT4_,comdat
.Lfunc_end118:
	.size	_ZL18rocblas_dot_kernelIiLb0ELi512ELi2ELb0E19rocblas_complex_numIdEPKPKS1_S1_EviT5_lT_lS6_lS7_liPT6_PT4_, .Lfunc_end118-_ZL18rocblas_dot_kernelIiLb0ELi512ELi2ELb0E19rocblas_complex_numIdEPKPKS1_S1_EviT5_lT_lS6_lS7_liPT6_PT4_
                                        ; -- End function
	.set _ZL18rocblas_dot_kernelIiLb0ELi512ELi2ELb0E19rocblas_complex_numIdEPKPKS1_S1_EviT5_lT_lS6_lS7_liPT6_PT4_.num_vgpr, 15
	.set _ZL18rocblas_dot_kernelIiLb0ELi512ELi2ELb0E19rocblas_complex_numIdEPKPKS1_S1_EviT5_lT_lS6_lS7_liPT6_PT4_.num_agpr, 0
	.set _ZL18rocblas_dot_kernelIiLb0ELi512ELi2ELb0E19rocblas_complex_numIdEPKPKS1_S1_EviT5_lT_lS6_lS7_liPT6_PT4_.numbered_sgpr, 26
	.set _ZL18rocblas_dot_kernelIiLb0ELi512ELi2ELb0E19rocblas_complex_numIdEPKPKS1_S1_EviT5_lT_lS6_lS7_liPT6_PT4_.num_named_barrier, 0
	.set _ZL18rocblas_dot_kernelIiLb0ELi512ELi2ELb0E19rocblas_complex_numIdEPKPKS1_S1_EviT5_lT_lS6_lS7_liPT6_PT4_.private_seg_size, 0
	.set _ZL18rocblas_dot_kernelIiLb0ELi512ELi2ELb0E19rocblas_complex_numIdEPKPKS1_S1_EviT5_lT_lS6_lS7_liPT6_PT4_.uses_vcc, 1
	.set _ZL18rocblas_dot_kernelIiLb0ELi512ELi2ELb0E19rocblas_complex_numIdEPKPKS1_S1_EviT5_lT_lS6_lS7_liPT6_PT4_.uses_flat_scratch, 0
	.set _ZL18rocblas_dot_kernelIiLb0ELi512ELi2ELb0E19rocblas_complex_numIdEPKPKS1_S1_EviT5_lT_lS6_lS7_liPT6_PT4_.has_dyn_sized_stack, 0
	.set _ZL18rocblas_dot_kernelIiLb0ELi512ELi2ELb0E19rocblas_complex_numIdEPKPKS1_S1_EviT5_lT_lS6_lS7_liPT6_PT4_.has_recursion, 0
	.set _ZL18rocblas_dot_kernelIiLb0ELi512ELi2ELb0E19rocblas_complex_numIdEPKPKS1_S1_EviT5_lT_lS6_lS7_liPT6_PT4_.has_indirect_call, 0
	.section	.AMDGPU.csdata,"",@progbits
; Kernel info:
; codeLenInByte = 1436
; TotalNumSgprs: 30
; NumVgprs: 15
; ScratchSize: 0
; MemoryBound: 0
; FloatMode: 240
; IeeeMode: 1
; LDSByteSize: 1024 bytes/workgroup (compile time only)
; SGPRBlocks: 3
; VGPRBlocks: 3
; NumSGPRsForWavesPerEU: 30
; NumVGPRsForWavesPerEU: 15
; Occupancy: 10
; WaveLimiterHint : 1
; COMPUTE_PGM_RSRC2:SCRATCH_EN: 0
; COMPUTE_PGM_RSRC2:USER_SGPR: 6
; COMPUTE_PGM_RSRC2:TRAP_HANDLER: 0
; COMPUTE_PGM_RSRC2:TGID_X_EN: 1
; COMPUTE_PGM_RSRC2:TGID_Y_EN: 0
; COMPUTE_PGM_RSRC2:TGID_Z_EN: 1
; COMPUTE_PGM_RSRC2:TIDIG_COMP_CNT: 0
	.section	.text._ZL24rocblas_dot_kernel_magsqIiLb0ELi512ELi2ELb0E19rocblas_complex_numIdEPKPKS1_S1_EviT5_lT_liPT6_PT4_,"axG",@progbits,_ZL24rocblas_dot_kernel_magsqIiLb0ELi512ELi2ELb0E19rocblas_complex_numIdEPKPKS1_S1_EviT5_lT_liPT6_PT4_,comdat
	.globl	_ZL24rocblas_dot_kernel_magsqIiLb0ELi512ELi2ELb0E19rocblas_complex_numIdEPKPKS1_S1_EviT5_lT_liPT6_PT4_ ; -- Begin function _ZL24rocblas_dot_kernel_magsqIiLb0ELi512ELi2ELb0E19rocblas_complex_numIdEPKPKS1_S1_EviT5_lT_liPT6_PT4_
	.p2align	8
	.type	_ZL24rocblas_dot_kernel_magsqIiLb0ELi512ELi2ELb0E19rocblas_complex_numIdEPKPKS1_S1_EviT5_lT_liPT6_PT4_,@function
_ZL24rocblas_dot_kernel_magsqIiLb0ELi512ELi2ELb0E19rocblas_complex_numIdEPKPKS1_S1_EviT5_lT_liPT6_PT4_: ; @_ZL24rocblas_dot_kernel_magsqIiLb0ELi512ELi2ELb0E19rocblas_complex_numIdEPKPKS1_S1_EviT5_lT_liPT6_PT4_
; %bb.0:
	s_mov_b32 s2, s7
	s_load_dword s7, s[4:5], 0x0
	s_load_dword s10, s[4:5], 0x40
	v_lshl_or_b32 v5, s6, 9, v0
	v_mov_b32_e32 v1, 0
	v_mov_b32_e32 v3, 0
	s_mov_b32 s3, 0
	v_mov_b32_e32 v2, 0
	v_mov_b32_e32 v4, 0
	s_waitcnt lgkmcnt(0)
	v_cmp_gt_i32_e32 vcc, s7, v5
	s_and_saveexec_b64 s[0:1], vcc
	s_cbranch_execz .LBB119_4
; %bb.1:
	s_load_dwordx4 s[12:15], s[4:5], 0x8
	s_load_dword s11, s[4:5], 0x18
	s_lshl_b64 s[8:9], s[2:3], 3
	s_waitcnt lgkmcnt(0)
	s_add_u32 s8, s12, s8
	s_addc_u32 s9, s13, s9
	s_load_dwordx2 s[8:9], s[8:9], 0x0
	v_mad_i64_i32 v[1:2], s[16:17], v5, s11, 0
	s_lshl_b64 s[12:13], s[14:15], 4
	v_lshlrev_b64 v[1:2], 4, v[1:2]
	s_waitcnt lgkmcnt(0)
	s_add_u32 s12, s8, s12
	s_addc_u32 s13, s9, s13
	v_mov_b32_e32 v3, s13
	v_add_co_u32_e32 v1, vcc, s12, v1
	v_addc_co_u32_e32 v2, vcc, v3, v2, vcc
	flat_load_dwordx4 v[1:4], v[1:2]
	s_add_i32 s8, s6, s10
	s_waitcnt vmcnt(0) lgkmcnt(0)
	v_mul_f64 v[5:6], v[3:4], v[3:4]
	v_mul_f64 v[3:4], v[1:2], v[3:4]
	v_fma_f64 v[1:2], v[1:2], v[1:2], -v[5:6]
	v_fma_f64 v[3:4], v[3:4], 2.0, 0
	v_lshl_or_b32 v5, s8, 9, v0
	v_cmp_gt_i32_e32 vcc, s7, v5
	s_and_saveexec_b64 s[8:9], vcc
	s_cbranch_execz .LBB119_3
; %bb.2:
	v_mad_i64_i32 v[5:6], s[14:15], v5, s11, 0
	v_mov_b32_e32 v7, s13
	v_lshlrev_b64 v[5:6], 4, v[5:6]
	v_add_co_u32_e32 v5, vcc, s12, v5
	v_addc_co_u32_e32 v6, vcc, v7, v6, vcc
	flat_load_dwordx4 v[5:8], v[5:6]
	s_waitcnt vmcnt(0) lgkmcnt(0)
	v_mul_f64 v[9:10], v[7:8], v[7:8]
	v_mul_f64 v[7:8], v[5:6], v[7:8]
	v_fma_f64 v[5:6], v[5:6], v[5:6], -v[9:10]
	v_fma_f64 v[3:4], v[7:8], 2.0, v[3:4]
	v_add_f64 v[1:2], v[1:2], v[5:6]
.LBB119_3:
	s_or_b64 exec, exec, s[8:9]
.LBB119_4:
	s_or_b64 exec, exec, s[0:1]
	v_and_b32_e32 v10, 63, v0
	v_cmp_gt_u32_e32 vcc, 64, v0
	v_lshlrev_b32_e32 v9, 4, v10
	s_and_saveexec_b64 s[0:1], vcc
; %bb.5:
	v_mov_b32_e32 v5, 0
	v_mov_b32_e32 v6, v5
	;; [unrolled: 1-line block ×4, first 2 shown]
	ds_write_b128 v9, v[5:8]
; %bb.6:
	s_or_b64 exec, exec, s[0:1]
	v_mbcnt_lo_u32_b32 v5, -1, 0
	v_mbcnt_hi_u32_b32 v13, -1, v5
	v_mov_b32_e32 v5, 0x80
	v_lshl_or_b32 v8, v13, 2, v5
	ds_bpermute_b32 v5, v8, v1
	ds_bpermute_b32 v6, v8, v2
	;; [unrolled: 1-line block ×4, first 2 shown]
	v_and_b32_e32 v14, 63, v13
	v_cmp_gt_u32_e64 s[0:1], 48, v14
	s_waitcnt lgkmcnt(2)
	v_add_f64 v[1:2], v[1:2], v[5:6]
	v_cndmask_b32_e64 v5, 0, 16, s[0:1]
	s_waitcnt lgkmcnt(0)
	v_add_f64 v[3:4], v[3:4], v[7:8]
	v_add_lshl_u32 v8, v5, v13, 2
	v_cmp_gt_u32_e64 s[0:1], 56, v14
	s_barrier
	ds_bpermute_b32 v5, v8, v1
	ds_bpermute_b32 v6, v8, v2
	;; [unrolled: 1-line block ×4, first 2 shown]
	s_waitcnt lgkmcnt(2)
	v_add_f64 v[1:2], v[1:2], v[5:6]
	v_cndmask_b32_e64 v5, 0, 8, s[0:1]
	s_waitcnt lgkmcnt(0)
	v_add_f64 v[3:4], v[3:4], v[7:8]
	v_add_lshl_u32 v8, v5, v13, 2
	v_cmp_gt_u32_e64 s[0:1], 60, v14
	ds_bpermute_b32 v5, v8, v1
	ds_bpermute_b32 v6, v8, v2
	;; [unrolled: 1-line block ×4, first 2 shown]
	s_waitcnt lgkmcnt(2)
	v_add_f64 v[1:2], v[1:2], v[5:6]
	v_cndmask_b32_e64 v5, 0, 4, s[0:1]
	s_waitcnt lgkmcnt(0)
	v_add_f64 v[3:4], v[3:4], v[7:8]
	v_add_lshl_u32 v11, v5, v13, 2
	v_cmp_gt_u32_e64 s[0:1], 62, v14
	ds_bpermute_b32 v5, v11, v1
	ds_bpermute_b32 v6, v11, v2
	;; [unrolled: 1-line block ×4, first 2 shown]
	s_waitcnt lgkmcnt(2)
	v_add_f64 v[1:2], v[1:2], v[5:6]
	v_cndmask_b32_e64 v5, 0, 2, s[0:1]
	s_waitcnt lgkmcnt(0)
	v_add_f64 v[3:4], v[3:4], v[7:8]
	v_add_lshl_u32 v12, v5, v13, 2
	v_cmp_ne_u32_e64 s[0:1], 63, v14
	ds_bpermute_b32 v5, v12, v1
	ds_bpermute_b32 v6, v12, v2
	;; [unrolled: 1-line block ×4, first 2 shown]
	s_waitcnt lgkmcnt(2)
	v_add_f64 v[1:2], v[1:2], v[5:6]
	v_addc_co_u32_e64 v5, s[0:1], 0, v13, s[0:1]
	s_waitcnt lgkmcnt(0)
	v_add_f64 v[3:4], v[3:4], v[7:8]
	v_lshlrev_b32_e32 v13, 2, v5
	v_cmp_eq_u32_e64 s[0:1], 0, v10
	ds_bpermute_b32 v5, v13, v1
	ds_bpermute_b32 v6, v13, v2
	;; [unrolled: 1-line block ×4, first 2 shown]
	s_and_saveexec_b64 s[8:9], s[0:1]
	s_cbranch_execz .LBB119_8
; %bb.7:
	s_waitcnt lgkmcnt(0)
	v_add_f64 v[3:4], v[3:4], v[7:8]
	v_add_f64 v[1:2], v[1:2], v[5:6]
	v_lshrrev_b32_e32 v5, 2, v0
	v_and_b32_e32 v5, 0x70, v5
	ds_write_b128 v5, v[1:4]
.LBB119_8:
	s_or_b64 exec, exec, s[8:9]
	v_mov_b32_e32 v3, 0
	v_mov_b32_e32 v1, 0
	;; [unrolled: 1-line block ×4, first 2 shown]
	v_cmp_gt_u32_e64 s[0:1], 8, v0
	s_waitcnt lgkmcnt(0)
	s_barrier
	s_and_saveexec_b64 s[8:9], s[0:1]
	s_cbranch_execnz .LBB119_12
; %bb.9:
	s_or_b64 exec, exec, s[8:9]
	s_and_saveexec_b64 s[0:1], vcc
	s_cbranch_execnz .LBB119_13
.LBB119_10:
	s_or_b64 exec, exec, s[0:1]
	v_cmp_eq_u32_e32 vcc, 0, v0
	s_and_saveexec_b64 s[0:1], vcc
	s_cbranch_execnz .LBB119_14
.LBB119_11:
	s_endpgm
.LBB119_12:
	ds_read_b128 v[1:4], v9
	s_or_b64 exec, exec, s[8:9]
	s_and_saveexec_b64 s[0:1], vcc
	s_cbranch_execz .LBB119_10
.LBB119_13:
	s_waitcnt lgkmcnt(0)
	ds_bpermute_b32 v5, v11, v1
	ds_bpermute_b32 v6, v11, v2
	ds_bpermute_b32 v7, v11, v3
	ds_bpermute_b32 v8, v11, v4
	s_waitcnt lgkmcnt(2)
	v_add_f64 v[1:2], v[1:2], v[5:6]
	s_waitcnt lgkmcnt(0)
	v_add_f64 v[3:4], v[3:4], v[7:8]
	ds_bpermute_b32 v5, v12, v1
	ds_bpermute_b32 v6, v12, v2
	ds_bpermute_b32 v7, v12, v3
	ds_bpermute_b32 v8, v12, v4
	s_waitcnt lgkmcnt(2)
	v_add_f64 v[1:2], v[1:2], v[5:6]
	s_waitcnt lgkmcnt(0)
	v_add_f64 v[3:4], v[3:4], v[7:8]
	;; [unrolled: 8-line block ×3, first 2 shown]
	s_or_b64 exec, exec, s[0:1]
	v_cmp_eq_u32_e32 vcc, 0, v0
	s_and_saveexec_b64 s[0:1], vcc
	s_cbranch_execz .LBB119_11
.LBB119_14:
	s_cmp_lg_u32 s10, 1
	s_cbranch_scc0 .LBB119_16
; %bb.15:
	s_load_dwordx2 s[0:1], s[4:5], 0x30
	s_mul_hi_u32 s9, s10, s2
	s_mul_i32 s8, s10, s2
	s_lshl_b64 s[8:9], s[8:9], 4
	s_mov_b32 s7, 0
	s_waitcnt lgkmcnt(0)
	s_add_u32 s8, s0, s8
	s_addc_u32 s9, s1, s9
	s_lshl_b64 s[0:1], s[6:7], 4
	s_add_u32 s0, s8, s0
	s_addc_u32 s1, s9, s1
	v_mov_b32_e32 v0, 0
	global_store_dwordx2 v0, v[1:2], s[0:1]
	s_cbranch_execz .LBB119_17
	s_branch .LBB119_18
.LBB119_16:
                                        ; implicit-def: $sgpr0_sgpr1
.LBB119_17:
	s_load_dwordx2 s[0:1], s[4:5], 0x38
	s_lshl_b64 s[2:3], s[2:3], 4
	v_mov_b32_e32 v0, 0
	s_waitcnt lgkmcnt(0)
	s_add_u32 s0, s0, s2
	s_addc_u32 s1, s1, s3
	global_store_dwordx2 v0, v[1:2], s[0:1]
.LBB119_18:
	v_mov_b32_e32 v0, 0
	s_waitcnt lgkmcnt(0)
	global_store_dwordx2 v0, v[3:4], s[0:1] offset:8
	s_endpgm
	.section	.rodata,"a",@progbits
	.p2align	6, 0x0
	.amdhsa_kernel _ZL24rocblas_dot_kernel_magsqIiLb0ELi512ELi2ELb0E19rocblas_complex_numIdEPKPKS1_S1_EviT5_lT_liPT6_PT4_
		.amdhsa_group_segment_fixed_size 1024
		.amdhsa_private_segment_fixed_size 0
		.amdhsa_kernarg_size 320
		.amdhsa_user_sgpr_count 6
		.amdhsa_user_sgpr_private_segment_buffer 1
		.amdhsa_user_sgpr_dispatch_ptr 0
		.amdhsa_user_sgpr_queue_ptr 0
		.amdhsa_user_sgpr_kernarg_segment_ptr 1
		.amdhsa_user_sgpr_dispatch_id 0
		.amdhsa_user_sgpr_flat_scratch_init 0
		.amdhsa_user_sgpr_private_segment_size 0
		.amdhsa_uses_dynamic_stack 0
		.amdhsa_system_sgpr_private_segment_wavefront_offset 0
		.amdhsa_system_sgpr_workgroup_id_x 1
		.amdhsa_system_sgpr_workgroup_id_y 0
		.amdhsa_system_sgpr_workgroup_id_z 1
		.amdhsa_system_sgpr_workgroup_info 0
		.amdhsa_system_vgpr_workitem_id 0
		.amdhsa_next_free_vgpr 15
		.amdhsa_next_free_sgpr 18
		.amdhsa_reserve_vcc 1
		.amdhsa_reserve_flat_scratch 0
		.amdhsa_float_round_mode_32 0
		.amdhsa_float_round_mode_16_64 0
		.amdhsa_float_denorm_mode_32 3
		.amdhsa_float_denorm_mode_16_64 3
		.amdhsa_dx10_clamp 1
		.amdhsa_ieee_mode 1
		.amdhsa_fp16_overflow 0
		.amdhsa_exception_fp_ieee_invalid_op 0
		.amdhsa_exception_fp_denorm_src 0
		.amdhsa_exception_fp_ieee_div_zero 0
		.amdhsa_exception_fp_ieee_overflow 0
		.amdhsa_exception_fp_ieee_underflow 0
		.amdhsa_exception_fp_ieee_inexact 0
		.amdhsa_exception_int_div_zero 0
	.end_amdhsa_kernel
	.section	.text._ZL24rocblas_dot_kernel_magsqIiLb0ELi512ELi2ELb0E19rocblas_complex_numIdEPKPKS1_S1_EviT5_lT_liPT6_PT4_,"axG",@progbits,_ZL24rocblas_dot_kernel_magsqIiLb0ELi512ELi2ELb0E19rocblas_complex_numIdEPKPKS1_S1_EviT5_lT_liPT6_PT4_,comdat
.Lfunc_end119:
	.size	_ZL24rocblas_dot_kernel_magsqIiLb0ELi512ELi2ELb0E19rocblas_complex_numIdEPKPKS1_S1_EviT5_lT_liPT6_PT4_, .Lfunc_end119-_ZL24rocblas_dot_kernel_magsqIiLb0ELi512ELi2ELb0E19rocblas_complex_numIdEPKPKS1_S1_EviT5_lT_liPT6_PT4_
                                        ; -- End function
	.set _ZL24rocblas_dot_kernel_magsqIiLb0ELi512ELi2ELb0E19rocblas_complex_numIdEPKPKS1_S1_EviT5_lT_liPT6_PT4_.num_vgpr, 15
	.set _ZL24rocblas_dot_kernel_magsqIiLb0ELi512ELi2ELb0E19rocblas_complex_numIdEPKPKS1_S1_EviT5_lT_liPT6_PT4_.num_agpr, 0
	.set _ZL24rocblas_dot_kernel_magsqIiLb0ELi512ELi2ELb0E19rocblas_complex_numIdEPKPKS1_S1_EviT5_lT_liPT6_PT4_.numbered_sgpr, 18
	.set _ZL24rocblas_dot_kernel_magsqIiLb0ELi512ELi2ELb0E19rocblas_complex_numIdEPKPKS1_S1_EviT5_lT_liPT6_PT4_.num_named_barrier, 0
	.set _ZL24rocblas_dot_kernel_magsqIiLb0ELi512ELi2ELb0E19rocblas_complex_numIdEPKPKS1_S1_EviT5_lT_liPT6_PT4_.private_seg_size, 0
	.set _ZL24rocblas_dot_kernel_magsqIiLb0ELi512ELi2ELb0E19rocblas_complex_numIdEPKPKS1_S1_EviT5_lT_liPT6_PT4_.uses_vcc, 1
	.set _ZL24rocblas_dot_kernel_magsqIiLb0ELi512ELi2ELb0E19rocblas_complex_numIdEPKPKS1_S1_EviT5_lT_liPT6_PT4_.uses_flat_scratch, 0
	.set _ZL24rocblas_dot_kernel_magsqIiLb0ELi512ELi2ELb0E19rocblas_complex_numIdEPKPKS1_S1_EviT5_lT_liPT6_PT4_.has_dyn_sized_stack, 0
	.set _ZL24rocblas_dot_kernel_magsqIiLb0ELi512ELi2ELb0E19rocblas_complex_numIdEPKPKS1_S1_EviT5_lT_liPT6_PT4_.has_recursion, 0
	.set _ZL24rocblas_dot_kernel_magsqIiLb0ELi512ELi2ELb0E19rocblas_complex_numIdEPKPKS1_S1_EviT5_lT_liPT6_PT4_.has_indirect_call, 0
	.section	.AMDGPU.csdata,"",@progbits
; Kernel info:
; codeLenInByte = 1288
; TotalNumSgprs: 22
; NumVgprs: 15
; ScratchSize: 0
; MemoryBound: 0
; FloatMode: 240
; IeeeMode: 1
; LDSByteSize: 1024 bytes/workgroup (compile time only)
; SGPRBlocks: 2
; VGPRBlocks: 3
; NumSGPRsForWavesPerEU: 22
; NumVGPRsForWavesPerEU: 15
; Occupancy: 10
; WaveLimiterHint : 1
; COMPUTE_PGM_RSRC2:SCRATCH_EN: 0
; COMPUTE_PGM_RSRC2:USER_SGPR: 6
; COMPUTE_PGM_RSRC2:TRAP_HANDLER: 0
; COMPUTE_PGM_RSRC2:TGID_X_EN: 1
; COMPUTE_PGM_RSRC2:TGID_Y_EN: 0
; COMPUTE_PGM_RSRC2:TGID_Z_EN: 1
; COMPUTE_PGM_RSRC2:TIDIG_COMP_CNT: 0
	.section	.text._ZL28rocblas_dot_batched_4_kernelIiLi32ELi4ELb1E19rocblas_complex_numIfES1_PKPKS1_EviT5_lT_lS6_lS7_liPT4_,"axG",@progbits,_ZL28rocblas_dot_batched_4_kernelIiLi32ELi4ELb1E19rocblas_complex_numIfES1_PKPKS1_EviT5_lT_lS6_lS7_liPT4_,comdat
	.globl	_ZL28rocblas_dot_batched_4_kernelIiLi32ELi4ELb1E19rocblas_complex_numIfES1_PKPKS1_EviT5_lT_lS6_lS7_liPT4_ ; -- Begin function _ZL28rocblas_dot_batched_4_kernelIiLi32ELi4ELb1E19rocblas_complex_numIfES1_PKPKS1_EviT5_lT_lS6_lS7_liPT4_
	.p2align	8
	.type	_ZL28rocblas_dot_batched_4_kernelIiLi32ELi4ELb1E19rocblas_complex_numIfES1_PKPKS1_EviT5_lT_lS6_lS7_liPT4_,@function
_ZL28rocblas_dot_batched_4_kernelIiLi32ELi4ELb1E19rocblas_complex_numIfES1_PKPKS1_EviT5_lT_lS6_lS7_liPT4_: ; @_ZL28rocblas_dot_batched_4_kernelIiLi32ELi4ELb1E19rocblas_complex_numIfES1_PKPKS1_EviT5_lT_lS6_lS7_liPT4_
; %bb.0:
	s_load_dword s0, s[4:5], 0x48
	v_lshl_add_u32 v2, s6, 2, v1
	s_waitcnt lgkmcnt(0)
	v_cmp_gt_u32_e32 vcc, s0, v2
	s_and_saveexec_b64 s[0:1], vcc
	s_cbranch_execz .LBB120_7
; %bb.1:
	s_load_dword s14, s[4:5], 0x0
	s_load_dwordx2 s[6:7], s[4:5], 0x50
	v_mov_b32_e32 v3, 0
	v_lshlrev_b64 v[1:2], 3, v[2:3]
	v_mov_b32_e32 v8, v3
	s_waitcnt lgkmcnt(0)
	v_cmp_gt_i32_e32 vcc, s14, v0
	s_and_saveexec_b64 s[12:13], vcc
	s_cbranch_execz .LBB120_5
; %bb.2:
	s_load_dwordx4 s[0:3], s[4:5], 0x8
	s_load_dwordx4 s[8:11], s[4:5], 0x28
	s_load_dword s16, s[4:5], 0x18
	v_mov_b32_e32 v9, v0
	s_load_dword s4, s[4:5], 0x38
	s_waitcnt lgkmcnt(0)
	v_mov_b32_e32 v4, s1
	v_add_co_u32_e32 v3, vcc, s0, v1
	v_addc_co_u32_e32 v4, vcc, v4, v2, vcc
	global_load_dwordx2 v[4:5], v[3:4], off
	v_mov_b32_e32 v3, s9
	v_add_co_u32_e32 v6, vcc, s8, v1
	v_addc_co_u32_e32 v7, vcc, v3, v2, vcc
	global_load_dwordx2 v[6:7], v[6:7], off
	v_mad_i64_i32 v[12:13], s[8:9], s16, v0, 0
	s_lshl_b64 s[8:9], s[2:3], 3
	v_mad_i64_i32 v[14:15], s[2:3], s4, v0, 0
	v_lshlrev_b64 v[12:13], 3, v[12:13]
	v_mov_b32_e32 v8, s9
	v_lshlrev_b64 v[14:15], 3, v[14:15]
	v_add_co_u32_e32 v12, vcc, s8, v12
	s_lshl_b64 s[10:11], s[10:11], 3
	v_addc_co_u32_e32 v8, vcc, v13, v8, vcc
	v_mov_b32_e32 v16, s11
	v_add_co_u32_e32 v13, vcc, s10, v14
	v_addc_co_u32_e32 v14, vcc, v15, v16, vcc
	s_ashr_i32 s17, s16, 31
	s_ashr_i32 s5, s4, 31
	s_lshl_b64 s[2:3], s[16:17], 8
	s_lshl_b64 s[4:5], s[4:5], 8
	v_mov_b32_e32 v3, 0
	s_mov_b64 s[0:1], 0
	v_mov_b32_e32 v10, s3
	v_mov_b32_e32 v11, s5
	s_waitcnt vmcnt(1)
	v_add_co_u32_e32 v4, vcc, v4, v12
	v_addc_co_u32_e32 v5, vcc, v5, v8, vcc
	v_mov_b32_e32 v8, 0
	s_waitcnt vmcnt(0)
	v_add_co_u32_e32 v6, vcc, v6, v13
	v_addc_co_u32_e32 v7, vcc, v7, v14, vcc
.LBB120_3:                              ; =>This Inner Loop Header: Depth=1
	flat_load_dwordx2 v[12:13], v[4:5]
	flat_load_dwordx2 v[14:15], v[6:7]
	v_add_co_u32_e32 v4, vcc, s2, v4
	v_addc_co_u32_e32 v5, vcc, v5, v10, vcc
	v_add_co_u32_e32 v6, vcc, s4, v6
	v_add_u32_e32 v9, 32, v9
	v_addc_co_u32_e32 v7, vcc, v7, v11, vcc
	v_cmp_le_i32_e32 vcc, s14, v9
	s_or_b64 s[0:1], vcc, s[0:1]
	s_waitcnt vmcnt(0) lgkmcnt(0)
	v_mul_f32_e32 v16, v13, v15
	v_mul_f32_e32 v13, v13, v14
	v_fmac_f32_e32 v16, v12, v14
	v_fma_f32 v12, v12, v15, -v13
	v_add_f32_e32 v3, v3, v16
	v_add_f32_e32 v8, v8, v12
	s_andn2_b64 exec, exec, s[0:1]
	s_cbranch_execnz .LBB120_3
; %bb.4:
	s_or_b64 exec, exec, s[0:1]
.LBB120_5:
	s_or_b64 exec, exec, s[12:13]
	v_mbcnt_lo_u32_b32 v4, -1, 0
	v_mbcnt_hi_u32_b32 v5, -1, v4
	v_and_b32_e32 v6, 63, v5
	v_cmp_gt_u32_e32 vcc, 48, v6
	v_cndmask_b32_e64 v4, 0, 16, vcc
	v_add_lshl_u32 v4, v4, v5, 2
	ds_bpermute_b32 v7, v4, v3
	ds_bpermute_b32 v4, v4, v8
	v_cmp_gt_u32_e32 vcc, 56, v6
	s_waitcnt lgkmcnt(0)
	s_barrier
	v_add_f32_e32 v3, v3, v7
	v_cndmask_b32_e64 v7, 0, 8, vcc
	v_add_f32_e32 v4, v8, v4
	v_add_lshl_u32 v7, v7, v5, 2
	ds_bpermute_b32 v8, v7, v3
	ds_bpermute_b32 v7, v7, v4
	v_cmp_gt_u32_e32 vcc, 60, v6
	s_waitcnt lgkmcnt(0)
	v_add_f32_e32 v3, v3, v8
	v_add_f32_e32 v4, v4, v7
	v_cndmask_b32_e64 v7, 0, 4, vcc
	v_add_lshl_u32 v7, v7, v5, 2
	ds_bpermute_b32 v8, v7, v3
	ds_bpermute_b32 v7, v7, v4
	v_cmp_gt_u32_e32 vcc, 62, v6
	s_waitcnt lgkmcnt(1)
	v_add_f32_e32 v3, v3, v8
	s_waitcnt lgkmcnt(0)
	v_add_f32_e32 v4, v4, v7
	v_cndmask_b32_e64 v7, 0, 2, vcc
	v_add_lshl_u32 v7, v7, v5, 2
	ds_bpermute_b32 v8, v7, v3
	ds_bpermute_b32 v7, v7, v4
	v_cmp_ne_u32_e32 vcc, 63, v6
	v_addc_co_u32_e32 v5, vcc, 0, v5, vcc
	s_waitcnt lgkmcnt(1)
	v_add_f32_e32 v3, v3, v8
	s_waitcnt lgkmcnt(0)
	v_add_f32_e32 v4, v4, v7
	v_lshlrev_b32_e32 v6, 2, v5
	ds_bpermute_b32 v5, v6, v3
	ds_bpermute_b32 v6, v6, v4
	v_cmp_eq_u32_e32 vcc, 0, v0
	s_and_b64 exec, exec, vcc
	s_cbranch_execz .LBB120_7
; %bb.6:
	v_mov_b32_e32 v7, s7
	v_add_co_u32_e32 v0, vcc, s6, v1
	v_addc_co_u32_e32 v1, vcc, v7, v2, vcc
	s_waitcnt lgkmcnt(0)
	v_add_f32_e32 v4, v4, v6
	v_add_f32_e32 v3, v3, v5
	global_store_dwordx2 v[0:1], v[3:4], off
.LBB120_7:
	s_endpgm
	.section	.rodata,"a",@progbits
	.p2align	6, 0x0
	.amdhsa_kernel _ZL28rocblas_dot_batched_4_kernelIiLi32ELi4ELb1E19rocblas_complex_numIfES1_PKPKS1_EviT5_lT_lS6_lS7_liPT4_
		.amdhsa_group_segment_fixed_size 0
		.amdhsa_private_segment_fixed_size 0
		.amdhsa_kernarg_size 88
		.amdhsa_user_sgpr_count 6
		.amdhsa_user_sgpr_private_segment_buffer 1
		.amdhsa_user_sgpr_dispatch_ptr 0
		.amdhsa_user_sgpr_queue_ptr 0
		.amdhsa_user_sgpr_kernarg_segment_ptr 1
		.amdhsa_user_sgpr_dispatch_id 0
		.amdhsa_user_sgpr_flat_scratch_init 0
		.amdhsa_user_sgpr_private_segment_size 0
		.amdhsa_uses_dynamic_stack 0
		.amdhsa_system_sgpr_private_segment_wavefront_offset 0
		.amdhsa_system_sgpr_workgroup_id_x 1
		.amdhsa_system_sgpr_workgroup_id_y 0
		.amdhsa_system_sgpr_workgroup_id_z 0
		.amdhsa_system_sgpr_workgroup_info 0
		.amdhsa_system_vgpr_workitem_id 1
		.amdhsa_next_free_vgpr 17
		.amdhsa_next_free_sgpr 18
		.amdhsa_reserve_vcc 1
		.amdhsa_reserve_flat_scratch 0
		.amdhsa_float_round_mode_32 0
		.amdhsa_float_round_mode_16_64 0
		.amdhsa_float_denorm_mode_32 3
		.amdhsa_float_denorm_mode_16_64 3
		.amdhsa_dx10_clamp 1
		.amdhsa_ieee_mode 1
		.amdhsa_fp16_overflow 0
		.amdhsa_exception_fp_ieee_invalid_op 0
		.amdhsa_exception_fp_denorm_src 0
		.amdhsa_exception_fp_ieee_div_zero 0
		.amdhsa_exception_fp_ieee_overflow 0
		.amdhsa_exception_fp_ieee_underflow 0
		.amdhsa_exception_fp_ieee_inexact 0
		.amdhsa_exception_int_div_zero 0
	.end_amdhsa_kernel
	.section	.text._ZL28rocblas_dot_batched_4_kernelIiLi32ELi4ELb1E19rocblas_complex_numIfES1_PKPKS1_EviT5_lT_lS6_lS7_liPT4_,"axG",@progbits,_ZL28rocblas_dot_batched_4_kernelIiLi32ELi4ELb1E19rocblas_complex_numIfES1_PKPKS1_EviT5_lT_lS6_lS7_liPT4_,comdat
.Lfunc_end120:
	.size	_ZL28rocblas_dot_batched_4_kernelIiLi32ELi4ELb1E19rocblas_complex_numIfES1_PKPKS1_EviT5_lT_lS6_lS7_liPT4_, .Lfunc_end120-_ZL28rocblas_dot_batched_4_kernelIiLi32ELi4ELb1E19rocblas_complex_numIfES1_PKPKS1_EviT5_lT_lS6_lS7_liPT4_
                                        ; -- End function
	.set _ZL28rocblas_dot_batched_4_kernelIiLi32ELi4ELb1E19rocblas_complex_numIfES1_PKPKS1_EviT5_lT_lS6_lS7_liPT4_.num_vgpr, 17
	.set _ZL28rocblas_dot_batched_4_kernelIiLi32ELi4ELb1E19rocblas_complex_numIfES1_PKPKS1_EviT5_lT_lS6_lS7_liPT4_.num_agpr, 0
	.set _ZL28rocblas_dot_batched_4_kernelIiLi32ELi4ELb1E19rocblas_complex_numIfES1_PKPKS1_EviT5_lT_lS6_lS7_liPT4_.numbered_sgpr, 18
	.set _ZL28rocblas_dot_batched_4_kernelIiLi32ELi4ELb1E19rocblas_complex_numIfES1_PKPKS1_EviT5_lT_lS6_lS7_liPT4_.num_named_barrier, 0
	.set _ZL28rocblas_dot_batched_4_kernelIiLi32ELi4ELb1E19rocblas_complex_numIfES1_PKPKS1_EviT5_lT_lS6_lS7_liPT4_.private_seg_size, 0
	.set _ZL28rocblas_dot_batched_4_kernelIiLi32ELi4ELb1E19rocblas_complex_numIfES1_PKPKS1_EviT5_lT_lS6_lS7_liPT4_.uses_vcc, 1
	.set _ZL28rocblas_dot_batched_4_kernelIiLi32ELi4ELb1E19rocblas_complex_numIfES1_PKPKS1_EviT5_lT_lS6_lS7_liPT4_.uses_flat_scratch, 0
	.set _ZL28rocblas_dot_batched_4_kernelIiLi32ELi4ELb1E19rocblas_complex_numIfES1_PKPKS1_EviT5_lT_lS6_lS7_liPT4_.has_dyn_sized_stack, 0
	.set _ZL28rocblas_dot_batched_4_kernelIiLi32ELi4ELb1E19rocblas_complex_numIfES1_PKPKS1_EviT5_lT_lS6_lS7_liPT4_.has_recursion, 0
	.set _ZL28rocblas_dot_batched_4_kernelIiLi32ELi4ELb1E19rocblas_complex_numIfES1_PKPKS1_EviT5_lT_lS6_lS7_liPT4_.has_indirect_call, 0
	.section	.AMDGPU.csdata,"",@progbits
; Kernel info:
; codeLenInByte = 676
; TotalNumSgprs: 22
; NumVgprs: 17
; ScratchSize: 0
; MemoryBound: 0
; FloatMode: 240
; IeeeMode: 1
; LDSByteSize: 0 bytes/workgroup (compile time only)
; SGPRBlocks: 2
; VGPRBlocks: 4
; NumSGPRsForWavesPerEU: 22
; NumVGPRsForWavesPerEU: 17
; Occupancy: 10
; WaveLimiterHint : 0
; COMPUTE_PGM_RSRC2:SCRATCH_EN: 0
; COMPUTE_PGM_RSRC2:USER_SGPR: 6
; COMPUTE_PGM_RSRC2:TRAP_HANDLER: 0
; COMPUTE_PGM_RSRC2:TGID_X_EN: 1
; COMPUTE_PGM_RSRC2:TGID_Y_EN: 0
; COMPUTE_PGM_RSRC2:TGID_Z_EN: 0
; COMPUTE_PGM_RSRC2:TIDIG_COMP_CNT: 1
	.section	.text._ZL28rocblas_dot_batched_4_kernelIiLi64ELi4ELb1E19rocblas_complex_numIfES1_PKPKS1_EviT5_lT_lS6_lS7_liPT4_,"axG",@progbits,_ZL28rocblas_dot_batched_4_kernelIiLi64ELi4ELb1E19rocblas_complex_numIfES1_PKPKS1_EviT5_lT_lS6_lS7_liPT4_,comdat
	.globl	_ZL28rocblas_dot_batched_4_kernelIiLi64ELi4ELb1E19rocblas_complex_numIfES1_PKPKS1_EviT5_lT_lS6_lS7_liPT4_ ; -- Begin function _ZL28rocblas_dot_batched_4_kernelIiLi64ELi4ELb1E19rocblas_complex_numIfES1_PKPKS1_EviT5_lT_lS6_lS7_liPT4_
	.p2align	8
	.type	_ZL28rocblas_dot_batched_4_kernelIiLi64ELi4ELb1E19rocblas_complex_numIfES1_PKPKS1_EviT5_lT_lS6_lS7_liPT4_,@function
_ZL28rocblas_dot_batched_4_kernelIiLi64ELi4ELb1E19rocblas_complex_numIfES1_PKPKS1_EviT5_lT_lS6_lS7_liPT4_: ; @_ZL28rocblas_dot_batched_4_kernelIiLi64ELi4ELb1E19rocblas_complex_numIfES1_PKPKS1_EviT5_lT_lS6_lS7_liPT4_
; %bb.0:
	s_load_dword s0, s[4:5], 0x48
	v_lshl_add_u32 v2, s6, 2, v1
	s_waitcnt lgkmcnt(0)
	v_cmp_gt_u32_e32 vcc, s0, v2
	s_and_saveexec_b64 s[0:1], vcc
	s_cbranch_execz .LBB121_7
; %bb.1:
	s_load_dword s14, s[4:5], 0x0
	s_load_dwordx2 s[6:7], s[4:5], 0x50
	v_mov_b32_e32 v3, 0
	v_lshlrev_b64 v[1:2], 3, v[2:3]
	v_mov_b32_e32 v8, v3
	s_waitcnt lgkmcnt(0)
	v_cmp_gt_i32_e32 vcc, s14, v0
	s_and_saveexec_b64 s[12:13], vcc
	s_cbranch_execz .LBB121_5
; %bb.2:
	s_load_dwordx4 s[0:3], s[4:5], 0x8
	s_load_dwordx4 s[8:11], s[4:5], 0x28
	s_load_dword s16, s[4:5], 0x18
	v_mov_b32_e32 v9, v0
	s_waitcnt lgkmcnt(0)
	v_mov_b32_e32 v4, s1
	v_add_co_u32_e32 v3, vcc, s0, v1
	v_addc_co_u32_e32 v4, vcc, v4, v2, vcc
	global_load_dwordx2 v[4:5], v[3:4], off
	v_mov_b32_e32 v3, s9
	v_add_co_u32_e32 v6, vcc, s8, v1
	v_addc_co_u32_e32 v7, vcc, v3, v2, vcc
	global_load_dwordx2 v[6:7], v[6:7], off
	s_load_dword s0, s[4:5], 0x38
	v_mad_i64_i32 v[10:11], s[8:9], s16, v0, 0
	s_lshl_b64 s[18:19], s[2:3], 3
	v_mov_b32_e32 v8, s19
	s_waitcnt lgkmcnt(0)
	v_mad_i64_i32 v[12:13], s[2:3], s0, v0, 0
	v_lshlrev_b64 v[10:11], 3, v[10:11]
	s_lshl_b64 s[10:11], s[10:11], 3
	v_lshlrev_b64 v[12:13], 3, v[12:13]
	v_add_co_u32_e32 v10, vcc, s18, v10
	v_addc_co_u32_e32 v8, vcc, v11, v8, vcc
	v_mov_b32_e32 v14, s11
	v_add_co_u32_e32 v11, vcc, s10, v12
	v_addc_co_u32_e32 v12, vcc, v13, v14, vcc
	s_ashr_i32 s17, s16, 31
	s_ashr_i32 s1, s0, 31
	v_mov_b32_e32 v3, 0
	s_mov_b64 s[4:5], 0
	s_lshl_b64 s[2:3], s[16:17], 9
	s_lshl_b64 s[8:9], s[0:1], 9
	s_waitcnt vmcnt(1)
	v_add_co_u32_e32 v4, vcc, v4, v10
	v_addc_co_u32_e32 v5, vcc, v5, v8, vcc
	v_mov_b32_e32 v8, 0
	s_waitcnt vmcnt(0)
	v_add_co_u32_e32 v6, vcc, v6, v11
	v_addc_co_u32_e32 v7, vcc, v7, v12, vcc
.LBB121_3:                              ; =>This Inner Loop Header: Depth=1
	flat_load_dwordx2 v[10:11], v[4:5]
	flat_load_dwordx2 v[12:13], v[6:7]
	v_mov_b32_e32 v14, s3
	v_mov_b32_e32 v15, s9
	v_add_co_u32_e32 v6, vcc, s8, v6
	v_add_co_u32_e64 v4, s[0:1], s2, v4
	v_add_u32_e32 v9, 64, v9
	v_addc_co_u32_e64 v5, s[0:1], v5, v14, s[0:1]
	v_addc_co_u32_e32 v7, vcc, v7, v15, vcc
	v_cmp_le_i32_e32 vcc, s14, v9
	s_or_b64 s[4:5], vcc, s[4:5]
	s_waitcnt vmcnt(0) lgkmcnt(0)
	v_mul_f32_e32 v14, v11, v13
	v_mul_f32_e32 v11, v11, v12
	v_fmac_f32_e32 v14, v10, v12
	v_fma_f32 v10, v10, v13, -v11
	v_add_f32_e32 v3, v3, v14
	v_add_f32_e32 v8, v8, v10
	s_andn2_b64 exec, exec, s[4:5]
	s_cbranch_execnz .LBB121_3
; %bb.4:
	s_or_b64 exec, exec, s[4:5]
.LBB121_5:
	s_or_b64 exec, exec, s[12:13]
	v_mbcnt_lo_u32_b32 v4, -1, 0
	v_mbcnt_hi_u32_b32 v5, -1, v4
	v_mov_b32_e32 v4, 0x80
	v_lshl_or_b32 v4, v5, 2, v4
	ds_bpermute_b32 v6, v4, v3
	ds_bpermute_b32 v4, v4, v8
	v_and_b32_e32 v7, 63, v5
	v_cmp_gt_u32_e32 vcc, 48, v7
	s_waitcnt lgkmcnt(0)
	v_add_f32_e32 v3, v3, v6
	v_cndmask_b32_e64 v6, 0, 16, vcc
	v_add_f32_e32 v4, v8, v4
	v_add_lshl_u32 v6, v6, v5, 2
	ds_bpermute_b32 v8, v6, v3
	ds_bpermute_b32 v6, v6, v4
	v_cmp_gt_u32_e32 vcc, 56, v7
	s_waitcnt lgkmcnt(0)
	s_barrier
	v_add_f32_e32 v3, v3, v8
	v_add_f32_e32 v4, v4, v6
	v_cndmask_b32_e64 v6, 0, 8, vcc
	v_add_lshl_u32 v6, v6, v5, 2
	ds_bpermute_b32 v8, v6, v3
	ds_bpermute_b32 v6, v6, v4
	v_cmp_gt_u32_e32 vcc, 60, v7
	s_waitcnt lgkmcnt(1)
	v_add_f32_e32 v3, v3, v8
	s_waitcnt lgkmcnt(0)
	v_add_f32_e32 v4, v4, v6
	v_cndmask_b32_e64 v6, 0, 4, vcc
	v_add_lshl_u32 v6, v6, v5, 2
	ds_bpermute_b32 v8, v6, v3
	ds_bpermute_b32 v6, v6, v4
	v_cmp_gt_u32_e32 vcc, 62, v7
	s_waitcnt lgkmcnt(1)
	v_add_f32_e32 v3, v3, v8
	s_waitcnt lgkmcnt(0)
	v_add_f32_e32 v4, v4, v6
	v_cndmask_b32_e64 v6, 0, 2, vcc
	v_add_lshl_u32 v6, v6, v5, 2
	ds_bpermute_b32 v8, v6, v3
	ds_bpermute_b32 v6, v6, v4
	v_cmp_ne_u32_e32 vcc, 63, v7
	v_addc_co_u32_e32 v5, vcc, 0, v5, vcc
	s_waitcnt lgkmcnt(1)
	v_add_f32_e32 v3, v3, v8
	s_waitcnt lgkmcnt(0)
	v_add_f32_e32 v4, v4, v6
	v_lshlrev_b32_e32 v6, 2, v5
	ds_bpermute_b32 v5, v6, v3
	ds_bpermute_b32 v6, v6, v4
	v_cmp_eq_u32_e32 vcc, 0, v0
	s_and_b64 exec, exec, vcc
	s_cbranch_execz .LBB121_7
; %bb.6:
	v_mov_b32_e32 v7, s7
	v_add_co_u32_e32 v0, vcc, s6, v1
	v_addc_co_u32_e32 v1, vcc, v7, v2, vcc
	s_waitcnt lgkmcnt(0)
	v_add_f32_e32 v4, v4, v6
	v_add_f32_e32 v3, v3, v5
	global_store_dwordx2 v[0:1], v[3:4], off
.LBB121_7:
	s_endpgm
	.section	.rodata,"a",@progbits
	.p2align	6, 0x0
	.amdhsa_kernel _ZL28rocblas_dot_batched_4_kernelIiLi64ELi4ELb1E19rocblas_complex_numIfES1_PKPKS1_EviT5_lT_lS6_lS7_liPT4_
		.amdhsa_group_segment_fixed_size 0
		.amdhsa_private_segment_fixed_size 0
		.amdhsa_kernarg_size 88
		.amdhsa_user_sgpr_count 6
		.amdhsa_user_sgpr_private_segment_buffer 1
		.amdhsa_user_sgpr_dispatch_ptr 0
		.amdhsa_user_sgpr_queue_ptr 0
		.amdhsa_user_sgpr_kernarg_segment_ptr 1
		.amdhsa_user_sgpr_dispatch_id 0
		.amdhsa_user_sgpr_flat_scratch_init 0
		.amdhsa_user_sgpr_private_segment_size 0
		.amdhsa_uses_dynamic_stack 0
		.amdhsa_system_sgpr_private_segment_wavefront_offset 0
		.amdhsa_system_sgpr_workgroup_id_x 1
		.amdhsa_system_sgpr_workgroup_id_y 0
		.amdhsa_system_sgpr_workgroup_id_z 0
		.amdhsa_system_sgpr_workgroup_info 0
		.amdhsa_system_vgpr_workitem_id 1
		.amdhsa_next_free_vgpr 16
		.amdhsa_next_free_sgpr 20
		.amdhsa_reserve_vcc 1
		.amdhsa_reserve_flat_scratch 0
		.amdhsa_float_round_mode_32 0
		.amdhsa_float_round_mode_16_64 0
		.amdhsa_float_denorm_mode_32 3
		.amdhsa_float_denorm_mode_16_64 3
		.amdhsa_dx10_clamp 1
		.amdhsa_ieee_mode 1
		.amdhsa_fp16_overflow 0
		.amdhsa_exception_fp_ieee_invalid_op 0
		.amdhsa_exception_fp_denorm_src 0
		.amdhsa_exception_fp_ieee_div_zero 0
		.amdhsa_exception_fp_ieee_overflow 0
		.amdhsa_exception_fp_ieee_underflow 0
		.amdhsa_exception_fp_ieee_inexact 0
		.amdhsa_exception_int_div_zero 0
	.end_amdhsa_kernel
	.section	.text._ZL28rocblas_dot_batched_4_kernelIiLi64ELi4ELb1E19rocblas_complex_numIfES1_PKPKS1_EviT5_lT_lS6_lS7_liPT4_,"axG",@progbits,_ZL28rocblas_dot_batched_4_kernelIiLi64ELi4ELb1E19rocblas_complex_numIfES1_PKPKS1_EviT5_lT_lS6_lS7_liPT4_,comdat
.Lfunc_end121:
	.size	_ZL28rocblas_dot_batched_4_kernelIiLi64ELi4ELb1E19rocblas_complex_numIfES1_PKPKS1_EviT5_lT_lS6_lS7_liPT4_, .Lfunc_end121-_ZL28rocblas_dot_batched_4_kernelIiLi64ELi4ELb1E19rocblas_complex_numIfES1_PKPKS1_EviT5_lT_lS6_lS7_liPT4_
                                        ; -- End function
	.set _ZL28rocblas_dot_batched_4_kernelIiLi64ELi4ELb1E19rocblas_complex_numIfES1_PKPKS1_EviT5_lT_lS6_lS7_liPT4_.num_vgpr, 16
	.set _ZL28rocblas_dot_batched_4_kernelIiLi64ELi4ELb1E19rocblas_complex_numIfES1_PKPKS1_EviT5_lT_lS6_lS7_liPT4_.num_agpr, 0
	.set _ZL28rocblas_dot_batched_4_kernelIiLi64ELi4ELb1E19rocblas_complex_numIfES1_PKPKS1_EviT5_lT_lS6_lS7_liPT4_.numbered_sgpr, 20
	.set _ZL28rocblas_dot_batched_4_kernelIiLi64ELi4ELb1E19rocblas_complex_numIfES1_PKPKS1_EviT5_lT_lS6_lS7_liPT4_.num_named_barrier, 0
	.set _ZL28rocblas_dot_batched_4_kernelIiLi64ELi4ELb1E19rocblas_complex_numIfES1_PKPKS1_EviT5_lT_lS6_lS7_liPT4_.private_seg_size, 0
	.set _ZL28rocblas_dot_batched_4_kernelIiLi64ELi4ELb1E19rocblas_complex_numIfES1_PKPKS1_EviT5_lT_lS6_lS7_liPT4_.uses_vcc, 1
	.set _ZL28rocblas_dot_batched_4_kernelIiLi64ELi4ELb1E19rocblas_complex_numIfES1_PKPKS1_EviT5_lT_lS6_lS7_liPT4_.uses_flat_scratch, 0
	.set _ZL28rocblas_dot_batched_4_kernelIiLi64ELi4ELb1E19rocblas_complex_numIfES1_PKPKS1_EviT5_lT_lS6_lS7_liPT4_.has_dyn_sized_stack, 0
	.set _ZL28rocblas_dot_batched_4_kernelIiLi64ELi4ELb1E19rocblas_complex_numIfES1_PKPKS1_EviT5_lT_lS6_lS7_liPT4_.has_recursion, 0
	.set _ZL28rocblas_dot_batched_4_kernelIiLi64ELi4ELb1E19rocblas_complex_numIfES1_PKPKS1_EviT5_lT_lS6_lS7_liPT4_.has_indirect_call, 0
	.section	.AMDGPU.csdata,"",@progbits
; Kernel info:
; codeLenInByte = 736
; TotalNumSgprs: 24
; NumVgprs: 16
; ScratchSize: 0
; MemoryBound: 0
; FloatMode: 240
; IeeeMode: 1
; LDSByteSize: 0 bytes/workgroup (compile time only)
; SGPRBlocks: 2
; VGPRBlocks: 3
; NumSGPRsForWavesPerEU: 24
; NumVGPRsForWavesPerEU: 16
; Occupancy: 10
; WaveLimiterHint : 0
; COMPUTE_PGM_RSRC2:SCRATCH_EN: 0
; COMPUTE_PGM_RSRC2:USER_SGPR: 6
; COMPUTE_PGM_RSRC2:TRAP_HANDLER: 0
; COMPUTE_PGM_RSRC2:TGID_X_EN: 1
; COMPUTE_PGM_RSRC2:TGID_Y_EN: 0
; COMPUTE_PGM_RSRC2:TGID_Z_EN: 0
; COMPUTE_PGM_RSRC2:TIDIG_COMP_CNT: 1
	.section	.text._ZL26rocblas_dot_kernel_inc1by2ILb1ELi1024ELi32ELb1E19rocblas_complex_numIfEPKPKS1_S1_EviT4_llS6_lliPT5_PT3_,"axG",@progbits,_ZL26rocblas_dot_kernel_inc1by2ILb1ELi1024ELi32ELb1E19rocblas_complex_numIfEPKPKS1_S1_EviT4_llS6_lliPT5_PT3_,comdat
	.globl	_ZL26rocblas_dot_kernel_inc1by2ILb1ELi1024ELi32ELb1E19rocblas_complex_numIfEPKPKS1_S1_EviT4_llS6_lliPT5_PT3_ ; -- Begin function _ZL26rocblas_dot_kernel_inc1by2ILb1ELi1024ELi32ELb1E19rocblas_complex_numIfEPKPKS1_S1_EviT4_llS6_lliPT5_PT3_
	.p2align	8
	.type	_ZL26rocblas_dot_kernel_inc1by2ILb1ELi1024ELi32ELb1E19rocblas_complex_numIfEPKPKS1_S1_EviT4_llS6_lliPT5_PT3_,@function
_ZL26rocblas_dot_kernel_inc1by2ILb1ELi1024ELi32ELb1E19rocblas_complex_numIfEPKPKS1_S1_EviT4_llS6_lliPT5_PT3_: ; @_ZL26rocblas_dot_kernel_inc1by2ILb1ELi1024ELi32ELb1E19rocblas_complex_numIfEPKPKS1_S1_EviT4_llS6_lliPT5_PT3_
; %bb.0:
	s_mov_b32 s2, s7
	s_load_dword s10, s[4:5], 0x0
	s_load_dwordx2 s[6:7], s[4:5], 0x48
	s_mov_b32 s3, 0
	v_mov_b32_e32 v5, 0
	v_mov_b32_e32 v6, 0
	s_waitcnt lgkmcnt(0)
	v_cmp_gt_i32_e32 vcc, s10, v0
	s_and_saveexec_b64 s[8:9], vcc
	s_cbranch_execz .LBB122_4
; %bb.1:
	s_load_dwordx4 s[12:15], s[4:5], 0x8
	s_load_dwordx4 s[16:19], s[4:5], 0x20
	s_lshl_b64 s[0:1], s[2:3], 3
	v_lshlrev_b32_e32 v3, 3, v0
	v_or_b32_e32 v7, 0x400, v0
	s_waitcnt lgkmcnt(0)
	s_add_u32 s4, s12, s0
	s_addc_u32 s5, s13, s1
	s_add_u32 s0, s16, s0
	s_addc_u32 s1, s17, s1
	s_load_dwordx2 s[0:1], s[0:1], 0x0
	s_lshl_b64 s[12:13], s[18:19], 3
	s_load_dwordx2 s[4:5], s[4:5], 0x0
	v_mov_b32_e32 v5, 0
	s_mov_b32 s11, s3
	s_waitcnt lgkmcnt(0)
	s_add_u32 s0, s0, s12
	s_addc_u32 s1, s1, s13
	v_mov_b32_e32 v2, s1
	v_add_co_u32_e32 v1, vcc, s0, v3
	s_lshl_b64 s[0:1], s[14:15], 3
	s_add_u32 s0, s4, s0
	v_addc_co_u32_e32 v2, vcc, 0, v2, vcc
	s_addc_u32 s1, s5, s1
	v_mov_b32_e32 v4, s1
	v_add_co_u32_e32 v3, vcc, s0, v3
	v_addc_co_u32_e32 v4, vcc, 0, v4, vcc
	s_mov_b64 s[4:5], 0
	v_mov_b32_e32 v6, 0
.LBB122_2:                              ; =>This Inner Loop Header: Depth=1
	flat_load_dwordx2 v[8:9], v[1:2]
	flat_load_dwordx2 v[10:11], v[3:4]
	s_add_i32 s12, s11, 1
	s_cmp_gt_u32 s11, 30
	v_cmp_le_i32_e64 s[0:1], s10, v7
	v_add_co_u32_e32 v1, vcc, 0x2000, v1
	s_mov_b32 s11, s12
	s_cselect_b64 s[12:13], -1, 0
	v_addc_co_u32_e32 v2, vcc, 0, v2, vcc
	s_or_b64 s[0:1], s[12:13], s[0:1]
	v_add_co_u32_e32 v3, vcc, 0x2000, v3
	s_and_b64 s[0:1], exec, s[0:1]
	v_add_u32_e32 v7, 0x400, v7
	v_addc_co_u32_e32 v4, vcc, 0, v4, vcc
	s_or_b64 s[4:5], s[0:1], s[4:5]
	s_waitcnt vmcnt(0) lgkmcnt(0)
	v_mul_f32_e32 v12, v11, v9
	v_mul_f32_e32 v11, v11, v8
	v_fmac_f32_e32 v12, v10, v8
	v_fma_f32 v8, v10, v9, -v11
	v_add_f32_e32 v6, v6, v12
	v_add_f32_e32 v5, v5, v8
	s_andn2_b64 exec, exec, s[4:5]
	s_cbranch_execnz .LBB122_2
; %bb.3:
	s_or_b64 exec, exec, s[4:5]
.LBB122_4:
	s_or_b64 exec, exec, s[8:9]
	v_and_b32_e32 v1, 63, v0
	v_cmp_gt_u32_e32 vcc, 64, v0
	v_lshlrev_b32_e32 v3, 3, v1
	s_and_saveexec_b64 s[0:1], vcc
; %bb.5:
	v_mov_b32_e32 v7, 0
	v_mov_b32_e32 v8, v7
	ds_write_b64 v3, v[7:8]
; %bb.6:
	s_or_b64 exec, exec, s[0:1]
	v_mbcnt_lo_u32_b32 v2, -1, 0
	v_mbcnt_hi_u32_b32 v7, -1, v2
	v_mov_b32_e32 v2, 0x80
	v_lshl_or_b32 v2, v7, 2, v2
	ds_bpermute_b32 v4, v2, v6
	ds_bpermute_b32 v2, v2, v5
	v_and_b32_e32 v9, 63, v7
	v_cmp_gt_u32_e64 s[0:1], 48, v9
	s_waitcnt lgkmcnt(0)
	v_add_f32_e32 v4, v6, v4
	v_add_f32_e32 v2, v5, v2
	v_cndmask_b32_e64 v5, 0, 16, s[0:1]
	v_add_lshl_u32 v5, v5, v7, 2
	ds_bpermute_b32 v6, v5, v4
	ds_bpermute_b32 v5, v5, v2
	v_cmp_gt_u32_e64 s[0:1], 56, v9
	s_waitcnt lgkmcnt(0)
	s_barrier
	v_add_f32_e32 v6, v4, v6
	v_cndmask_b32_e64 v4, 0, 8, s[0:1]
	v_add_lshl_u32 v4, v4, v7, 2
	v_add_f32_e32 v2, v2, v5
	ds_bpermute_b32 v5, v4, v6
	ds_bpermute_b32 v8, v4, v2
	v_cmp_gt_u32_e64 s[0:1], 60, v9
	s_waitcnt lgkmcnt(1)
	v_add_f32_e32 v6, v6, v5
	v_cndmask_b32_e64 v5, 0, 4, s[0:1]
	s_waitcnt lgkmcnt(0)
	v_add_f32_e32 v2, v2, v8
	v_add_lshl_u32 v5, v5, v7, 2
	ds_bpermute_b32 v10, v5, v2
	ds_bpermute_b32 v8, v5, v6
	v_cmp_gt_u32_e64 s[0:1], 62, v9
	s_waitcnt lgkmcnt(1)
	v_add_f32_e32 v10, v2, v10
	v_cndmask_b32_e64 v2, 0, 2, s[0:1]
	s_waitcnt lgkmcnt(0)
	v_add_f32_e32 v8, v6, v8
	v_add_lshl_u32 v6, v2, v7, 2
	ds_bpermute_b32 v2, v6, v8
	ds_bpermute_b32 v11, v6, v10
	v_cmp_ne_u32_e64 s[0:1], 63, v9
	v_addc_co_u32_e64 v7, s[0:1], 0, v7, s[0:1]
	s_waitcnt lgkmcnt(1)
	v_add_f32_e32 v2, v8, v2
	s_waitcnt lgkmcnt(0)
	v_add_f32_e32 v8, v10, v11
	v_lshlrev_b32_e32 v7, 2, v7
	ds_bpermute_b32 v9, v7, v2
	ds_bpermute_b32 v10, v7, v8
	v_cmp_eq_u32_e64 s[0:1], 0, v1
	s_and_saveexec_b64 s[4:5], s[0:1]
	s_cbranch_execz .LBB122_8
; %bb.7:
	s_waitcnt lgkmcnt(1)
	v_add_f32_e32 v1, v2, v9
	s_waitcnt lgkmcnt(0)
	v_add_f32_e32 v2, v8, v10
	v_lshrrev_b32_e32 v8, 3, v0
	v_and_b32_e32 v8, 0x78, v8
	ds_write_b64 v8, v[1:2]
.LBB122_8:
	s_or_b64 exec, exec, s[4:5]
	v_cmp_gt_u32_e64 s[0:1], 16, v0
	v_mov_b32_e32 v2, 0
	v_mov_b32_e32 v1, 0
	s_waitcnt lgkmcnt(0)
	s_barrier
	s_and_saveexec_b64 s[4:5], s[0:1]
	s_cbranch_execnz .LBB122_12
; %bb.9:
	s_or_b64 exec, exec, s[4:5]
	s_and_saveexec_b64 s[0:1], vcc
	s_cbranch_execnz .LBB122_13
.LBB122_10:
	s_or_b64 exec, exec, s[0:1]
	v_cmp_eq_u32_e32 vcc, 0, v0
	s_and_saveexec_b64 s[0:1], vcc
	s_cbranch_execnz .LBB122_14
.LBB122_11:
	s_endpgm
.LBB122_12:
	ds_read_b64 v[1:2], v3
	s_or_b64 exec, exec, s[4:5]
	s_and_saveexec_b64 s[0:1], vcc
	s_cbranch_execz .LBB122_10
.LBB122_13:
	s_waitcnt lgkmcnt(0)
	ds_bpermute_b32 v3, v4, v1
	ds_bpermute_b32 v4, v4, v2
	s_waitcnt lgkmcnt(1)
	v_add_f32_e32 v1, v1, v3
	s_waitcnt lgkmcnt(0)
	v_add_f32_e32 v2, v2, v4
	ds_bpermute_b32 v3, v5, v1
	ds_bpermute_b32 v4, v5, v2
	s_waitcnt lgkmcnt(1)
	v_add_f32_e32 v1, v1, v3
	s_waitcnt lgkmcnt(0)
	v_add_f32_e32 v2, v2, v4
	;; [unrolled: 6-line block ×4, first 2 shown]
	s_or_b64 exec, exec, s[0:1]
	v_cmp_eq_u32_e32 vcc, 0, v0
	s_and_saveexec_b64 s[0:1], vcc
	s_cbranch_execz .LBB122_11
.LBB122_14:
	s_lshl_b64 s[0:1], s[2:3], 3
	s_add_u32 s0, s6, s0
	s_addc_u32 s1, s7, s1
	v_mov_b32_e32 v0, 0
	s_waitcnt lgkmcnt(0)
	global_store_dwordx2 v0, v[1:2], s[0:1]
	s_endpgm
	.section	.rodata,"a",@progbits
	.p2align	6, 0x0
	.amdhsa_kernel _ZL26rocblas_dot_kernel_inc1by2ILb1ELi1024ELi32ELb1E19rocblas_complex_numIfEPKPKS1_S1_EviT4_llS6_lliPT5_PT3_
		.amdhsa_group_segment_fixed_size 512
		.amdhsa_private_segment_fixed_size 0
		.amdhsa_kernarg_size 80
		.amdhsa_user_sgpr_count 6
		.amdhsa_user_sgpr_private_segment_buffer 1
		.amdhsa_user_sgpr_dispatch_ptr 0
		.amdhsa_user_sgpr_queue_ptr 0
		.amdhsa_user_sgpr_kernarg_segment_ptr 1
		.amdhsa_user_sgpr_dispatch_id 0
		.amdhsa_user_sgpr_flat_scratch_init 0
		.amdhsa_user_sgpr_private_segment_size 0
		.amdhsa_uses_dynamic_stack 0
		.amdhsa_system_sgpr_private_segment_wavefront_offset 0
		.amdhsa_system_sgpr_workgroup_id_x 1
		.amdhsa_system_sgpr_workgroup_id_y 0
		.amdhsa_system_sgpr_workgroup_id_z 1
		.amdhsa_system_sgpr_workgroup_info 0
		.amdhsa_system_vgpr_workitem_id 0
		.amdhsa_next_free_vgpr 13
		.amdhsa_next_free_sgpr 20
		.amdhsa_reserve_vcc 1
		.amdhsa_reserve_flat_scratch 0
		.amdhsa_float_round_mode_32 0
		.amdhsa_float_round_mode_16_64 0
		.amdhsa_float_denorm_mode_32 3
		.amdhsa_float_denorm_mode_16_64 3
		.amdhsa_dx10_clamp 1
		.amdhsa_ieee_mode 1
		.amdhsa_fp16_overflow 0
		.amdhsa_exception_fp_ieee_invalid_op 0
		.amdhsa_exception_fp_denorm_src 0
		.amdhsa_exception_fp_ieee_div_zero 0
		.amdhsa_exception_fp_ieee_overflow 0
		.amdhsa_exception_fp_ieee_underflow 0
		.amdhsa_exception_fp_ieee_inexact 0
		.amdhsa_exception_int_div_zero 0
	.end_amdhsa_kernel
	.section	.text._ZL26rocblas_dot_kernel_inc1by2ILb1ELi1024ELi32ELb1E19rocblas_complex_numIfEPKPKS1_S1_EviT4_llS6_lliPT5_PT3_,"axG",@progbits,_ZL26rocblas_dot_kernel_inc1by2ILb1ELi1024ELi32ELb1E19rocblas_complex_numIfEPKPKS1_S1_EviT4_llS6_lliPT5_PT3_,comdat
.Lfunc_end122:
	.size	_ZL26rocblas_dot_kernel_inc1by2ILb1ELi1024ELi32ELb1E19rocblas_complex_numIfEPKPKS1_S1_EviT4_llS6_lliPT5_PT3_, .Lfunc_end122-_ZL26rocblas_dot_kernel_inc1by2ILb1ELi1024ELi32ELb1E19rocblas_complex_numIfEPKPKS1_S1_EviT4_llS6_lliPT5_PT3_
                                        ; -- End function
	.set _ZL26rocblas_dot_kernel_inc1by2ILb1ELi1024ELi32ELb1E19rocblas_complex_numIfEPKPKS1_S1_EviT4_llS6_lliPT5_PT3_.num_vgpr, 13
	.set _ZL26rocblas_dot_kernel_inc1by2ILb1ELi1024ELi32ELb1E19rocblas_complex_numIfEPKPKS1_S1_EviT4_llS6_lliPT5_PT3_.num_agpr, 0
	.set _ZL26rocblas_dot_kernel_inc1by2ILb1ELi1024ELi32ELb1E19rocblas_complex_numIfEPKPKS1_S1_EviT4_llS6_lliPT5_PT3_.numbered_sgpr, 20
	.set _ZL26rocblas_dot_kernel_inc1by2ILb1ELi1024ELi32ELb1E19rocblas_complex_numIfEPKPKS1_S1_EviT4_llS6_lliPT5_PT3_.num_named_barrier, 0
	.set _ZL26rocblas_dot_kernel_inc1by2ILb1ELi1024ELi32ELb1E19rocblas_complex_numIfEPKPKS1_S1_EviT4_llS6_lliPT5_PT3_.private_seg_size, 0
	.set _ZL26rocblas_dot_kernel_inc1by2ILb1ELi1024ELi32ELb1E19rocblas_complex_numIfEPKPKS1_S1_EviT4_llS6_lliPT5_PT3_.uses_vcc, 1
	.set _ZL26rocblas_dot_kernel_inc1by2ILb1ELi1024ELi32ELb1E19rocblas_complex_numIfEPKPKS1_S1_EviT4_llS6_lliPT5_PT3_.uses_flat_scratch, 0
	.set _ZL26rocblas_dot_kernel_inc1by2ILb1ELi1024ELi32ELb1E19rocblas_complex_numIfEPKPKS1_S1_EviT4_llS6_lliPT5_PT3_.has_dyn_sized_stack, 0
	.set _ZL26rocblas_dot_kernel_inc1by2ILb1ELi1024ELi32ELb1E19rocblas_complex_numIfEPKPKS1_S1_EviT4_llS6_lliPT5_PT3_.has_recursion, 0
	.set _ZL26rocblas_dot_kernel_inc1by2ILb1ELi1024ELi32ELb1E19rocblas_complex_numIfEPKPKS1_S1_EviT4_llS6_lliPT5_PT3_.has_indirect_call, 0
	.section	.AMDGPU.csdata,"",@progbits
; Kernel info:
; codeLenInByte = 996
; TotalNumSgprs: 24
; NumVgprs: 13
; ScratchSize: 0
; MemoryBound: 0
; FloatMode: 240
; IeeeMode: 1
; LDSByteSize: 512 bytes/workgroup (compile time only)
; SGPRBlocks: 2
; VGPRBlocks: 3
; NumSGPRsForWavesPerEU: 24
; NumVGPRsForWavesPerEU: 13
; Occupancy: 10
; WaveLimiterHint : 0
; COMPUTE_PGM_RSRC2:SCRATCH_EN: 0
; COMPUTE_PGM_RSRC2:USER_SGPR: 6
; COMPUTE_PGM_RSRC2:TRAP_HANDLER: 0
; COMPUTE_PGM_RSRC2:TGID_X_EN: 1
; COMPUTE_PGM_RSRC2:TGID_Y_EN: 0
; COMPUTE_PGM_RSRC2:TGID_Z_EN: 1
; COMPUTE_PGM_RSRC2:TIDIG_COMP_CNT: 0
	.section	.text._ZL18rocblas_dot_kernelIiLb1ELi1024ELi32ELb1E19rocblas_complex_numIfEPKPKS1_S1_EviT5_lT_lS6_lS7_liPT6_PT4_,"axG",@progbits,_ZL18rocblas_dot_kernelIiLb1ELi1024ELi32ELb1E19rocblas_complex_numIfEPKPKS1_S1_EviT5_lT_lS6_lS7_liPT6_PT4_,comdat
	.globl	_ZL18rocblas_dot_kernelIiLb1ELi1024ELi32ELb1E19rocblas_complex_numIfEPKPKS1_S1_EviT5_lT_lS6_lS7_liPT6_PT4_ ; -- Begin function _ZL18rocblas_dot_kernelIiLb1ELi1024ELi32ELb1E19rocblas_complex_numIfEPKPKS1_S1_EviT5_lT_lS6_lS7_liPT6_PT4_
	.p2align	8
	.type	_ZL18rocblas_dot_kernelIiLb1ELi1024ELi32ELb1E19rocblas_complex_numIfEPKPKS1_S1_EviT5_lT_lS6_lS7_liPT6_PT4_,@function
_ZL18rocblas_dot_kernelIiLb1ELi1024ELi32ELb1E19rocblas_complex_numIfEPKPKS1_S1_EviT5_lT_lS6_lS7_liPT6_PT4_: ; @_ZL18rocblas_dot_kernelIiLb1ELi1024ELi32ELb1E19rocblas_complex_numIfEPKPKS1_S1_EviT5_lT_lS6_lS7_liPT6_PT4_
; %bb.0:
	s_load_dword s14, s[4:5], 0x0
	s_load_dwordx2 s[8:9], s[4:5], 0x58
	s_mov_b32 s6, s7
	s_mov_b32 s7, 0
	v_mov_b32_e32 v5, 0
	s_waitcnt lgkmcnt(0)
	v_cmp_gt_i32_e32 vcc, s14, v0
	v_mov_b32_e32 v7, 0
	s_and_saveexec_b64 s[10:11], vcc
	s_cbranch_execz .LBB123_4
; %bb.1:
	s_load_dwordx4 s[16:19], s[4:5], 0x8
	s_load_dwordx4 s[0:3], s[4:5], 0x28
	s_load_dword s22, s[4:5], 0x18
	s_lshl_b64 s[12:13], s[6:7], 3
	v_mov_b32_e32 v7, 0
	s_waitcnt lgkmcnt(0)
	s_add_u32 s16, s16, s12
	s_addc_u32 s17, s17, s13
	s_load_dwordx2 s[20:21], s[16:17], 0x0
	s_load_dword s23, s[4:5], 0x38
	s_load_dword s15, s[4:5], 0x60
	v_mad_i64_i32 v[1:2], s[4:5], s22, v0, 0
	s_add_u32 s0, s0, s12
	s_addc_u32 s1, s1, s13
	s_waitcnt lgkmcnt(0)
	s_lshl_b32 s15, s15, 10
	s_lshl_b64 s[4:5], s[18:19], 3
	v_lshlrev_b64 v[1:2], 3, v[1:2]
	s_add_u32 s4, s20, s4
	s_addc_u32 s5, s21, s5
	s_load_dwordx2 s[0:1], s[0:1], 0x0
	v_mov_b32_e32 v3, s5
	v_add_co_u32_e32 v1, vcc, s4, v1
	v_addc_co_u32_e32 v2, vcc, v3, v2, vcc
	v_mad_i64_i32 v[3:4], s[4:5], s23, v0, 0
	s_mul_hi_i32 s5, s22, s15
	s_mul_i32 s4, s22, s15
	s_lshl_b64 s[4:5], s[4:5], 3
	s_lshl_b64 s[2:3], s[2:3], 3
	v_lshlrev_b64 v[3:4], 3, v[3:4]
	s_waitcnt lgkmcnt(0)
	s_add_u32 s0, s0, s2
	s_addc_u32 s1, s1, s3
	v_mov_b32_e32 v5, s1
	v_add_co_u32_e32 v3, vcc, s0, v3
	s_mul_hi_i32 s1, s23, s15
	s_mul_i32 s0, s23, s15
	s_lshl_b64 s[2:3], s[0:1], 3
	v_or_b32_e32 v6, s15, v0
	v_addc_co_u32_e32 v4, vcc, v5, v4, vcc
	v_mov_b32_e32 v5, 0
	s_mov_b64 s[12:13], 0
	v_mov_b32_e32 v8, s5
	v_mov_b32_e32 v9, s3
	s_mov_b32 s3, s7
.LBB123_2:                              ; =>This Inner Loop Header: Depth=1
	flat_load_dwordx2 v[10:11], v[3:4]
	flat_load_dwordx2 v[12:13], v[1:2]
	v_add_co_u32_e64 v1, s[0:1], s4, v1
	v_addc_co_u32_e64 v2, s[0:1], v2, v8, s[0:1]
	s_add_i32 s5, s3, 1
	v_add_co_u32_e64 v3, s[0:1], s2, v3
	v_addc_co_u32_e64 v4, s[0:1], v4, v9, s[0:1]
	s_cmp_gt_u32 s3, 30
	v_cmp_le_i32_e32 vcc, s14, v6
	s_cselect_b64 s[0:1], -1, 0
	s_or_b64 s[0:1], s[0:1], vcc
	s_and_b64 s[0:1], exec, s[0:1]
	v_add_u32_e32 v6, s15, v6
	s_mov_b32 s3, s5
	s_or_b64 s[12:13], s[0:1], s[12:13]
	s_waitcnt vmcnt(0) lgkmcnt(0)
	v_mul_f32_e32 v14, v13, v11
	v_mul_f32_e32 v13, v13, v10
	v_fmac_f32_e32 v14, v12, v10
	v_fma_f32 v10, v12, v11, -v13
	v_add_f32_e32 v7, v7, v14
	v_add_f32_e32 v5, v5, v10
	s_andn2_b64 exec, exec, s[12:13]
	s_cbranch_execnz .LBB123_2
; %bb.3:
	s_or_b64 exec, exec, s[12:13]
.LBB123_4:
	s_or_b64 exec, exec, s[10:11]
	v_and_b32_e32 v1, 63, v0
	v_cmp_gt_u32_e32 vcc, 64, v0
	v_lshlrev_b32_e32 v3, 3, v1
	s_and_saveexec_b64 s[0:1], vcc
; %bb.5:
	v_mov_b32_e32 v8, 0
	v_mov_b32_e32 v9, v8
	ds_write_b64 v3, v[8:9]
; %bb.6:
	s_or_b64 exec, exec, s[0:1]
	v_mbcnt_lo_u32_b32 v2, -1, 0
	v_mbcnt_hi_u32_b32 v9, -1, v2
	v_mov_b32_e32 v2, 0x80
	v_lshl_or_b32 v2, v9, 2, v2
	ds_bpermute_b32 v4, v2, v7
	ds_bpermute_b32 v2, v2, v5
	v_and_b32_e32 v10, 63, v9
	v_cmp_gt_u32_e64 s[0:1], 48, v10
	s_waitcnt lgkmcnt(0)
	v_add_f32_e32 v4, v7, v4
	v_add_f32_e32 v2, v5, v2
	v_cndmask_b32_e64 v5, 0, 16, s[0:1]
	v_add_lshl_u32 v5, v5, v9, 2
	ds_bpermute_b32 v6, v5, v4
	ds_bpermute_b32 v5, v5, v2
	v_cmp_gt_u32_e64 s[0:1], 56, v10
	s_waitcnt lgkmcnt(0)
	s_barrier
	v_add_f32_e32 v6, v4, v6
	v_cndmask_b32_e64 v4, 0, 8, s[0:1]
	v_add_lshl_u32 v4, v4, v9, 2
	v_add_f32_e32 v2, v2, v5
	ds_bpermute_b32 v5, v4, v6
	ds_bpermute_b32 v7, v4, v2
	v_cmp_gt_u32_e64 s[0:1], 60, v10
	s_waitcnt lgkmcnt(1)
	v_add_f32_e32 v6, v6, v5
	v_cndmask_b32_e64 v5, 0, 4, s[0:1]
	s_waitcnt lgkmcnt(0)
	v_add_f32_e32 v2, v2, v7
	v_add_lshl_u32 v5, v5, v9, 2
	ds_bpermute_b32 v8, v5, v2
	ds_bpermute_b32 v7, v5, v6
	v_cmp_gt_u32_e64 s[0:1], 62, v10
	s_waitcnt lgkmcnt(1)
	v_add_f32_e32 v8, v2, v8
	v_cndmask_b32_e64 v2, 0, 2, s[0:1]
	s_waitcnt lgkmcnt(0)
	v_add_f32_e32 v7, v6, v7
	v_add_lshl_u32 v6, v2, v9, 2
	ds_bpermute_b32 v2, v6, v7
	ds_bpermute_b32 v11, v6, v8
	v_cmp_ne_u32_e64 s[0:1], 63, v10
	s_waitcnt lgkmcnt(1)
	v_add_f32_e32 v2, v7, v2
	v_addc_co_u32_e64 v7, s[0:1], 0, v9, s[0:1]
	s_waitcnt lgkmcnt(0)
	v_add_f32_e32 v8, v8, v11
	v_lshlrev_b32_e32 v7, 2, v7
	ds_bpermute_b32 v9, v7, v2
	ds_bpermute_b32 v10, v7, v8
	v_cmp_eq_u32_e64 s[0:1], 0, v1
	s_and_saveexec_b64 s[2:3], s[0:1]
	s_cbranch_execz .LBB123_8
; %bb.7:
	s_waitcnt lgkmcnt(1)
	v_add_f32_e32 v1, v2, v9
	s_waitcnt lgkmcnt(0)
	v_add_f32_e32 v2, v8, v10
	v_lshrrev_b32_e32 v8, 3, v0
	v_and_b32_e32 v8, 0x78, v8
	ds_write_b64 v8, v[1:2]
.LBB123_8:
	s_or_b64 exec, exec, s[2:3]
	v_cmp_gt_u32_e64 s[0:1], 16, v0
	v_mov_b32_e32 v2, 0
	v_mov_b32_e32 v1, 0
	s_waitcnt lgkmcnt(0)
	s_barrier
	s_and_saveexec_b64 s[2:3], s[0:1]
	s_cbranch_execnz .LBB123_12
; %bb.9:
	s_or_b64 exec, exec, s[2:3]
	s_and_saveexec_b64 s[0:1], vcc
	s_cbranch_execnz .LBB123_13
.LBB123_10:
	s_or_b64 exec, exec, s[0:1]
	v_cmp_eq_u32_e32 vcc, 0, v0
	s_and_saveexec_b64 s[0:1], vcc
	s_cbranch_execnz .LBB123_14
.LBB123_11:
	s_endpgm
.LBB123_12:
	ds_read_b64 v[1:2], v3
	s_or_b64 exec, exec, s[2:3]
	s_and_saveexec_b64 s[0:1], vcc
	s_cbranch_execz .LBB123_10
.LBB123_13:
	s_waitcnt lgkmcnt(0)
	ds_bpermute_b32 v3, v4, v1
	ds_bpermute_b32 v4, v4, v2
	s_waitcnt lgkmcnt(1)
	v_add_f32_e32 v1, v1, v3
	s_waitcnt lgkmcnt(0)
	v_add_f32_e32 v2, v2, v4
	ds_bpermute_b32 v3, v5, v1
	ds_bpermute_b32 v4, v5, v2
	s_waitcnt lgkmcnt(1)
	v_add_f32_e32 v1, v1, v3
	s_waitcnt lgkmcnt(0)
	v_add_f32_e32 v2, v2, v4
	;; [unrolled: 6-line block ×4, first 2 shown]
	s_or_b64 exec, exec, s[0:1]
	v_cmp_eq_u32_e32 vcc, 0, v0
	s_and_saveexec_b64 s[0:1], vcc
	s_cbranch_execz .LBB123_11
.LBB123_14:
	s_lshl_b64 s[0:1], s[6:7], 3
	s_add_u32 s0, s8, s0
	s_addc_u32 s1, s9, s1
	v_mov_b32_e32 v0, 0
	s_waitcnt lgkmcnt(0)
	global_store_dwordx2 v0, v[1:2], s[0:1]
	s_endpgm
	.section	.rodata,"a",@progbits
	.p2align	6, 0x0
	.amdhsa_kernel _ZL18rocblas_dot_kernelIiLb1ELi1024ELi32ELb1E19rocblas_complex_numIfEPKPKS1_S1_EviT5_lT_lS6_lS7_liPT6_PT4_
		.amdhsa_group_segment_fixed_size 512
		.amdhsa_private_segment_fixed_size 0
		.amdhsa_kernarg_size 352
		.amdhsa_user_sgpr_count 6
		.amdhsa_user_sgpr_private_segment_buffer 1
		.amdhsa_user_sgpr_dispatch_ptr 0
		.amdhsa_user_sgpr_queue_ptr 0
		.amdhsa_user_sgpr_kernarg_segment_ptr 1
		.amdhsa_user_sgpr_dispatch_id 0
		.amdhsa_user_sgpr_flat_scratch_init 0
		.amdhsa_user_sgpr_private_segment_size 0
		.amdhsa_uses_dynamic_stack 0
		.amdhsa_system_sgpr_private_segment_wavefront_offset 0
		.amdhsa_system_sgpr_workgroup_id_x 1
		.amdhsa_system_sgpr_workgroup_id_y 0
		.amdhsa_system_sgpr_workgroup_id_z 1
		.amdhsa_system_sgpr_workgroup_info 0
		.amdhsa_system_vgpr_workitem_id 0
		.amdhsa_next_free_vgpr 15
		.amdhsa_next_free_sgpr 24
		.amdhsa_reserve_vcc 1
		.amdhsa_reserve_flat_scratch 0
		.amdhsa_float_round_mode_32 0
		.amdhsa_float_round_mode_16_64 0
		.amdhsa_float_denorm_mode_32 3
		.amdhsa_float_denorm_mode_16_64 3
		.amdhsa_dx10_clamp 1
		.amdhsa_ieee_mode 1
		.amdhsa_fp16_overflow 0
		.amdhsa_exception_fp_ieee_invalid_op 0
		.amdhsa_exception_fp_denorm_src 0
		.amdhsa_exception_fp_ieee_div_zero 0
		.amdhsa_exception_fp_ieee_overflow 0
		.amdhsa_exception_fp_ieee_underflow 0
		.amdhsa_exception_fp_ieee_inexact 0
		.amdhsa_exception_int_div_zero 0
	.end_amdhsa_kernel
	.section	.text._ZL18rocblas_dot_kernelIiLb1ELi1024ELi32ELb1E19rocblas_complex_numIfEPKPKS1_S1_EviT5_lT_lS6_lS7_liPT6_PT4_,"axG",@progbits,_ZL18rocblas_dot_kernelIiLb1ELi1024ELi32ELb1E19rocblas_complex_numIfEPKPKS1_S1_EviT5_lT_lS6_lS7_liPT6_PT4_,comdat
.Lfunc_end123:
	.size	_ZL18rocblas_dot_kernelIiLb1ELi1024ELi32ELb1E19rocblas_complex_numIfEPKPKS1_S1_EviT5_lT_lS6_lS7_liPT6_PT4_, .Lfunc_end123-_ZL18rocblas_dot_kernelIiLb1ELi1024ELi32ELb1E19rocblas_complex_numIfEPKPKS1_S1_EviT5_lT_lS6_lS7_liPT6_PT4_
                                        ; -- End function
	.set _ZL18rocblas_dot_kernelIiLb1ELi1024ELi32ELb1E19rocblas_complex_numIfEPKPKS1_S1_EviT5_lT_lS6_lS7_liPT6_PT4_.num_vgpr, 15
	.set _ZL18rocblas_dot_kernelIiLb1ELi1024ELi32ELb1E19rocblas_complex_numIfEPKPKS1_S1_EviT5_lT_lS6_lS7_liPT6_PT4_.num_agpr, 0
	.set _ZL18rocblas_dot_kernelIiLb1ELi1024ELi32ELb1E19rocblas_complex_numIfEPKPKS1_S1_EviT5_lT_lS6_lS7_liPT6_PT4_.numbered_sgpr, 24
	.set _ZL18rocblas_dot_kernelIiLb1ELi1024ELi32ELb1E19rocblas_complex_numIfEPKPKS1_S1_EviT5_lT_lS6_lS7_liPT6_PT4_.num_named_barrier, 0
	.set _ZL18rocblas_dot_kernelIiLb1ELi1024ELi32ELb1E19rocblas_complex_numIfEPKPKS1_S1_EviT5_lT_lS6_lS7_liPT6_PT4_.private_seg_size, 0
	.set _ZL18rocblas_dot_kernelIiLb1ELi1024ELi32ELb1E19rocblas_complex_numIfEPKPKS1_S1_EviT5_lT_lS6_lS7_liPT6_PT4_.uses_vcc, 1
	.set _ZL18rocblas_dot_kernelIiLb1ELi1024ELi32ELb1E19rocblas_complex_numIfEPKPKS1_S1_EviT5_lT_lS6_lS7_liPT6_PT4_.uses_flat_scratch, 0
	.set _ZL18rocblas_dot_kernelIiLb1ELi1024ELi32ELb1E19rocblas_complex_numIfEPKPKS1_S1_EviT5_lT_lS6_lS7_liPT6_PT4_.has_dyn_sized_stack, 0
	.set _ZL18rocblas_dot_kernelIiLb1ELi1024ELi32ELb1E19rocblas_complex_numIfEPKPKS1_S1_EviT5_lT_lS6_lS7_liPT6_PT4_.has_recursion, 0
	.set _ZL18rocblas_dot_kernelIiLb1ELi1024ELi32ELb1E19rocblas_complex_numIfEPKPKS1_S1_EviT5_lT_lS6_lS7_liPT6_PT4_.has_indirect_call, 0
	.section	.AMDGPU.csdata,"",@progbits
; Kernel info:
; codeLenInByte = 1084
; TotalNumSgprs: 28
; NumVgprs: 15
; ScratchSize: 0
; MemoryBound: 0
; FloatMode: 240
; IeeeMode: 1
; LDSByteSize: 512 bytes/workgroup (compile time only)
; SGPRBlocks: 3
; VGPRBlocks: 3
; NumSGPRsForWavesPerEU: 28
; NumVGPRsForWavesPerEU: 15
; Occupancy: 10
; WaveLimiterHint : 0
; COMPUTE_PGM_RSRC2:SCRATCH_EN: 0
; COMPUTE_PGM_RSRC2:USER_SGPR: 6
; COMPUTE_PGM_RSRC2:TRAP_HANDLER: 0
; COMPUTE_PGM_RSRC2:TGID_X_EN: 1
; COMPUTE_PGM_RSRC2:TGID_Y_EN: 0
; COMPUTE_PGM_RSRC2:TGID_Z_EN: 1
; COMPUTE_PGM_RSRC2:TIDIG_COMP_CNT: 0
	.section	.text._ZL24rocblas_dot_kernel_magsqIiLb1ELi1024ELi32ELb1E19rocblas_complex_numIfEPKPKS1_S1_EviT5_lT_liPT6_PT4_,"axG",@progbits,_ZL24rocblas_dot_kernel_magsqIiLb1ELi1024ELi32ELb1E19rocblas_complex_numIfEPKPKS1_S1_EviT5_lT_liPT6_PT4_,comdat
	.globl	_ZL24rocblas_dot_kernel_magsqIiLb1ELi1024ELi32ELb1E19rocblas_complex_numIfEPKPKS1_S1_EviT5_lT_liPT6_PT4_ ; -- Begin function _ZL24rocblas_dot_kernel_magsqIiLb1ELi1024ELi32ELb1E19rocblas_complex_numIfEPKPKS1_S1_EviT5_lT_liPT6_PT4_
	.p2align	8
	.type	_ZL24rocblas_dot_kernel_magsqIiLb1ELi1024ELi32ELb1E19rocblas_complex_numIfEPKPKS1_S1_EviT5_lT_liPT6_PT4_,@function
_ZL24rocblas_dot_kernel_magsqIiLb1ELi1024ELi32ELb1E19rocblas_complex_numIfEPKPKS1_S1_EviT5_lT_liPT6_PT4_: ; @_ZL24rocblas_dot_kernel_magsqIiLb1ELi1024ELi32ELb1E19rocblas_complex_numIfEPKPKS1_S1_EviT5_lT_liPT6_PT4_
; %bb.0:
	s_mov_b32 s2, s7
	s_load_dword s12, s[4:5], 0x0
	s_load_dwordx2 s[6:7], s[4:5], 0x38
	s_mov_b32 s3, 0
	v_mov_b32_e32 v3, 0
	v_mov_b32_e32 v5, 0
	s_waitcnt lgkmcnt(0)
	v_cmp_gt_i32_e32 vcc, s12, v0
	s_and_saveexec_b64 s[8:9], vcc
	s_cbranch_execz .LBB124_4
; %bb.1:
	s_load_dwordx4 s[16:19], s[4:5], 0x8
	s_lshl_b64 s[0:1], s[2:3], 3
	s_load_dword s10, s[4:5], 0x18
	s_load_dword s11, s[4:5], 0x40
	v_mov_b32_e32 v5, 0
	s_waitcnt lgkmcnt(0)
	s_add_u32 s0, s16, s0
	s_addc_u32 s1, s17, s1
	s_load_dwordx2 s[0:1], s[0:1], 0x0
	v_mad_i64_i32 v[1:2], s[4:5], s10, v0, 0
	s_lshl_b32 s13, s11, 10
	s_lshl_b64 s[4:5], s[18:19], 3
	v_lshlrev_b64 v[1:2], 3, v[1:2]
	s_waitcnt lgkmcnt(0)
	s_add_u32 s0, s0, s4
	s_addc_u32 s1, s1, s5
	v_mov_b32_e32 v3, s1
	v_add_co_u32_e32 v1, vcc, s0, v1
	s_mul_hi_i32 s1, s10, s13
	s_mul_i32 s0, s10, s13
	s_lshl_b64 s[4:5], s[0:1], 3
	v_or_b32_e32 v4, s13, v0
	v_addc_co_u32_e32 v2, vcc, v3, v2, vcc
	v_mov_b32_e32 v3, 0
	s_mov_b64 s[10:11], 0
	v_mov_b32_e32 v6, s5
	s_mov_b32 s5, s3
.LBB124_2:                              ; =>This Inner Loop Header: Depth=1
	flat_load_dwordx2 v[7:8], v[1:2]
	s_add_i32 s14, s5, 1
	v_add_co_u32_e64 v1, s[0:1], s4, v1
	v_addc_co_u32_e64 v2, s[0:1], v2, v6, s[0:1]
	s_cmp_gt_u32 s5, 30
	v_cmp_le_i32_e32 vcc, s12, v4
	s_cselect_b64 s[0:1], -1, 0
	s_or_b64 s[0:1], s[0:1], vcc
	s_and_b64 s[0:1], exec, s[0:1]
	v_add_u32_e32 v4, s13, v4
	s_mov_b32 s5, s14
	s_or_b64 s[10:11], s[0:1], s[10:11]
	s_waitcnt vmcnt(0) lgkmcnt(0)
	v_mul_f32_e32 v9, v8, v8
	v_mul_f32_e32 v10, v7, v8
	v_fmac_f32_e32 v9, v7, v7
	v_fma_f32 v7, v7, v8, -v10
	v_add_f32_e32 v5, v5, v9
	v_add_f32_e32 v3, v3, v7
	s_andn2_b64 exec, exec, s[10:11]
	s_cbranch_execnz .LBB124_2
; %bb.3:
	s_or_b64 exec, exec, s[10:11]
.LBB124_4:
	s_or_b64 exec, exec, s[8:9]
	v_and_b32_e32 v1, 63, v0
	v_cmp_gt_u32_e32 vcc, 64, v0
	v_lshlrev_b32_e32 v4, 3, v1
	s_and_saveexec_b64 s[0:1], vcc
; %bb.5:
	v_mov_b32_e32 v6, 0
	v_mov_b32_e32 v7, v6
	ds_write_b64 v4, v[6:7]
; %bb.6:
	s_or_b64 exec, exec, s[0:1]
	v_mbcnt_lo_u32_b32 v2, -1, 0
	v_mbcnt_hi_u32_b32 v7, -1, v2
	v_mov_b32_e32 v2, 0x80
	v_lshl_or_b32 v2, v7, 2, v2
	ds_bpermute_b32 v6, v2, v5
	ds_bpermute_b32 v2, v2, v3
	v_and_b32_e32 v9, 63, v7
	v_cmp_gt_u32_e64 s[0:1], 48, v9
	s_waitcnt lgkmcnt(0)
	v_add_f32_e32 v5, v5, v6
	v_add_f32_e32 v2, v3, v2
	v_cndmask_b32_e64 v3, 0, 16, s[0:1]
	v_add_lshl_u32 v3, v3, v7, 2
	ds_bpermute_b32 v6, v3, v5
	ds_bpermute_b32 v3, v3, v2
	v_cmp_gt_u32_e64 s[0:1], 56, v9
	s_waitcnt lgkmcnt(0)
	s_barrier
	v_add_f32_e32 v5, v5, v6
	v_add_f32_e32 v2, v2, v3
	v_cndmask_b32_e64 v3, 0, 8, s[0:1]
	v_add_lshl_u32 v3, v3, v7, 2
	ds_bpermute_b32 v6, v3, v5
	ds_bpermute_b32 v8, v3, v2
	v_cmp_gt_u32_e64 s[0:1], 60, v9
	s_waitcnt lgkmcnt(1)
	v_add_f32_e32 v6, v5, v6
	v_cndmask_b32_e64 v5, 0, 4, s[0:1]
	s_waitcnt lgkmcnt(0)
	v_add_f32_e32 v2, v2, v8
	v_add_lshl_u32 v5, v5, v7, 2
	ds_bpermute_b32 v10, v5, v2
	ds_bpermute_b32 v8, v5, v6
	v_cmp_gt_u32_e64 s[0:1], 62, v9
	s_waitcnt lgkmcnt(1)
	v_add_f32_e32 v10, v2, v10
	v_cndmask_b32_e64 v2, 0, 2, s[0:1]
	s_waitcnt lgkmcnt(0)
	v_add_f32_e32 v8, v6, v8
	v_add_lshl_u32 v6, v2, v7, 2
	ds_bpermute_b32 v2, v6, v8
	ds_bpermute_b32 v11, v6, v10
	v_cmp_ne_u32_e64 s[0:1], 63, v9
	v_addc_co_u32_e64 v7, s[0:1], 0, v7, s[0:1]
	s_waitcnt lgkmcnt(1)
	v_add_f32_e32 v2, v8, v2
	s_waitcnt lgkmcnt(0)
	v_add_f32_e32 v8, v10, v11
	v_lshlrev_b32_e32 v7, 2, v7
	ds_bpermute_b32 v9, v7, v2
	ds_bpermute_b32 v10, v7, v8
	v_cmp_eq_u32_e64 s[0:1], 0, v1
	s_and_saveexec_b64 s[4:5], s[0:1]
	s_cbranch_execz .LBB124_8
; %bb.7:
	s_waitcnt lgkmcnt(1)
	v_add_f32_e32 v1, v2, v9
	s_waitcnt lgkmcnt(0)
	v_add_f32_e32 v2, v8, v10
	v_lshrrev_b32_e32 v8, 3, v0
	v_and_b32_e32 v8, 0x78, v8
	ds_write_b64 v8, v[1:2]
.LBB124_8:
	s_or_b64 exec, exec, s[4:5]
	v_cmp_gt_u32_e64 s[0:1], 16, v0
	v_mov_b32_e32 v2, 0
	v_mov_b32_e32 v1, 0
	s_waitcnt lgkmcnt(0)
	s_barrier
	s_and_saveexec_b64 s[4:5], s[0:1]
	s_cbranch_execnz .LBB124_12
; %bb.9:
	s_or_b64 exec, exec, s[4:5]
	s_and_saveexec_b64 s[0:1], vcc
	s_cbranch_execnz .LBB124_13
.LBB124_10:
	s_or_b64 exec, exec, s[0:1]
	v_cmp_eq_u32_e32 vcc, 0, v0
	s_and_saveexec_b64 s[0:1], vcc
	s_cbranch_execnz .LBB124_14
.LBB124_11:
	s_endpgm
.LBB124_12:
	ds_read_b64 v[1:2], v4
	s_or_b64 exec, exec, s[4:5]
	s_and_saveexec_b64 s[0:1], vcc
	s_cbranch_execz .LBB124_10
.LBB124_13:
	s_waitcnt lgkmcnt(0)
	ds_bpermute_b32 v4, v3, v1
	ds_bpermute_b32 v3, v3, v2
	s_waitcnt lgkmcnt(1)
	v_add_f32_e32 v1, v1, v4
	s_waitcnt lgkmcnt(0)
	v_add_f32_e32 v2, v2, v3
	ds_bpermute_b32 v3, v5, v1
	ds_bpermute_b32 v4, v5, v2
	s_waitcnt lgkmcnt(1)
	v_add_f32_e32 v1, v1, v3
	s_waitcnt lgkmcnt(0)
	v_add_f32_e32 v2, v2, v4
	;; [unrolled: 6-line block ×4, first 2 shown]
	s_or_b64 exec, exec, s[0:1]
	v_cmp_eq_u32_e32 vcc, 0, v0
	s_and_saveexec_b64 s[0:1], vcc
	s_cbranch_execz .LBB124_11
.LBB124_14:
	s_lshl_b64 s[0:1], s[2:3], 3
	s_add_u32 s0, s6, s0
	s_addc_u32 s1, s7, s1
	v_mov_b32_e32 v0, 0
	s_waitcnt lgkmcnt(0)
	global_store_dwordx2 v0, v[1:2], s[0:1]
	s_endpgm
	.section	.rodata,"a",@progbits
	.p2align	6, 0x0
	.amdhsa_kernel _ZL24rocblas_dot_kernel_magsqIiLb1ELi1024ELi32ELb1E19rocblas_complex_numIfEPKPKS1_S1_EviT5_lT_liPT6_PT4_
		.amdhsa_group_segment_fixed_size 512
		.amdhsa_private_segment_fixed_size 0
		.amdhsa_kernarg_size 320
		.amdhsa_user_sgpr_count 6
		.amdhsa_user_sgpr_private_segment_buffer 1
		.amdhsa_user_sgpr_dispatch_ptr 0
		.amdhsa_user_sgpr_queue_ptr 0
		.amdhsa_user_sgpr_kernarg_segment_ptr 1
		.amdhsa_user_sgpr_dispatch_id 0
		.amdhsa_user_sgpr_flat_scratch_init 0
		.amdhsa_user_sgpr_private_segment_size 0
		.amdhsa_uses_dynamic_stack 0
		.amdhsa_system_sgpr_private_segment_wavefront_offset 0
		.amdhsa_system_sgpr_workgroup_id_x 1
		.amdhsa_system_sgpr_workgroup_id_y 0
		.amdhsa_system_sgpr_workgroup_id_z 1
		.amdhsa_system_sgpr_workgroup_info 0
		.amdhsa_system_vgpr_workitem_id 0
		.amdhsa_next_free_vgpr 12
		.amdhsa_next_free_sgpr 20
		.amdhsa_reserve_vcc 1
		.amdhsa_reserve_flat_scratch 0
		.amdhsa_float_round_mode_32 0
		.amdhsa_float_round_mode_16_64 0
		.amdhsa_float_denorm_mode_32 3
		.amdhsa_float_denorm_mode_16_64 3
		.amdhsa_dx10_clamp 1
		.amdhsa_ieee_mode 1
		.amdhsa_fp16_overflow 0
		.amdhsa_exception_fp_ieee_invalid_op 0
		.amdhsa_exception_fp_denorm_src 0
		.amdhsa_exception_fp_ieee_div_zero 0
		.amdhsa_exception_fp_ieee_overflow 0
		.amdhsa_exception_fp_ieee_underflow 0
		.amdhsa_exception_fp_ieee_inexact 0
		.amdhsa_exception_int_div_zero 0
	.end_amdhsa_kernel
	.section	.text._ZL24rocblas_dot_kernel_magsqIiLb1ELi1024ELi32ELb1E19rocblas_complex_numIfEPKPKS1_S1_EviT5_lT_liPT6_PT4_,"axG",@progbits,_ZL24rocblas_dot_kernel_magsqIiLb1ELi1024ELi32ELb1E19rocblas_complex_numIfEPKPKS1_S1_EviT5_lT_liPT6_PT4_,comdat
.Lfunc_end124:
	.size	_ZL24rocblas_dot_kernel_magsqIiLb1ELi1024ELi32ELb1E19rocblas_complex_numIfEPKPKS1_S1_EviT5_lT_liPT6_PT4_, .Lfunc_end124-_ZL24rocblas_dot_kernel_magsqIiLb1ELi1024ELi32ELb1E19rocblas_complex_numIfEPKPKS1_S1_EviT5_lT_liPT6_PT4_
                                        ; -- End function
	.set _ZL24rocblas_dot_kernel_magsqIiLb1ELi1024ELi32ELb1E19rocblas_complex_numIfEPKPKS1_S1_EviT5_lT_liPT6_PT4_.num_vgpr, 12
	.set _ZL24rocblas_dot_kernel_magsqIiLb1ELi1024ELi32ELb1E19rocblas_complex_numIfEPKPKS1_S1_EviT5_lT_liPT6_PT4_.num_agpr, 0
	.set _ZL24rocblas_dot_kernel_magsqIiLb1ELi1024ELi32ELb1E19rocblas_complex_numIfEPKPKS1_S1_EviT5_lT_liPT6_PT4_.numbered_sgpr, 20
	.set _ZL24rocblas_dot_kernel_magsqIiLb1ELi1024ELi32ELb1E19rocblas_complex_numIfEPKPKS1_S1_EviT5_lT_liPT6_PT4_.num_named_barrier, 0
	.set _ZL24rocblas_dot_kernel_magsqIiLb1ELi1024ELi32ELb1E19rocblas_complex_numIfEPKPKS1_S1_EviT5_lT_liPT6_PT4_.private_seg_size, 0
	.set _ZL24rocblas_dot_kernel_magsqIiLb1ELi1024ELi32ELb1E19rocblas_complex_numIfEPKPKS1_S1_EviT5_lT_liPT6_PT4_.uses_vcc, 1
	.set _ZL24rocblas_dot_kernel_magsqIiLb1ELi1024ELi32ELb1E19rocblas_complex_numIfEPKPKS1_S1_EviT5_lT_liPT6_PT4_.uses_flat_scratch, 0
	.set _ZL24rocblas_dot_kernel_magsqIiLb1ELi1024ELi32ELb1E19rocblas_complex_numIfEPKPKS1_S1_EviT5_lT_liPT6_PT4_.has_dyn_sized_stack, 0
	.set _ZL24rocblas_dot_kernel_magsqIiLb1ELi1024ELi32ELb1E19rocblas_complex_numIfEPKPKS1_S1_EviT5_lT_liPT6_PT4_.has_recursion, 0
	.set _ZL24rocblas_dot_kernel_magsqIiLb1ELi1024ELi32ELb1E19rocblas_complex_numIfEPKPKS1_S1_EviT5_lT_liPT6_PT4_.has_indirect_call, 0
	.section	.AMDGPU.csdata,"",@progbits
; Kernel info:
; codeLenInByte = 968
; TotalNumSgprs: 24
; NumVgprs: 12
; ScratchSize: 0
; MemoryBound: 0
; FloatMode: 240
; IeeeMode: 1
; LDSByteSize: 512 bytes/workgroup (compile time only)
; SGPRBlocks: 2
; VGPRBlocks: 2
; NumSGPRsForWavesPerEU: 24
; NumVGPRsForWavesPerEU: 12
; Occupancy: 10
; WaveLimiterHint : 0
; COMPUTE_PGM_RSRC2:SCRATCH_EN: 0
; COMPUTE_PGM_RSRC2:USER_SGPR: 6
; COMPUTE_PGM_RSRC2:TRAP_HANDLER: 0
; COMPUTE_PGM_RSRC2:TGID_X_EN: 1
; COMPUTE_PGM_RSRC2:TGID_Y_EN: 0
; COMPUTE_PGM_RSRC2:TGID_Z_EN: 1
; COMPUTE_PGM_RSRC2:TIDIG_COMP_CNT: 0
	.section	.text._ZL23rocblas_dot_kernel_inc1ILb0ELi512ELi2ELb1E19rocblas_complex_numIfEPKPKS1_S1_EviT4_llS6_lliPT5_PT3_,"axG",@progbits,_ZL23rocblas_dot_kernel_inc1ILb0ELi512ELi2ELb1E19rocblas_complex_numIfEPKPKS1_S1_EviT4_llS6_lliPT5_PT3_,comdat
	.globl	_ZL23rocblas_dot_kernel_inc1ILb0ELi512ELi2ELb1E19rocblas_complex_numIfEPKPKS1_S1_EviT4_llS6_lliPT5_PT3_ ; -- Begin function _ZL23rocblas_dot_kernel_inc1ILb0ELi512ELi2ELb1E19rocblas_complex_numIfEPKPKS1_S1_EviT4_llS6_lliPT5_PT3_
	.p2align	8
	.type	_ZL23rocblas_dot_kernel_inc1ILb0ELi512ELi2ELb1E19rocblas_complex_numIfEPKPKS1_S1_EviT4_llS6_lliPT5_PT3_,@function
_ZL23rocblas_dot_kernel_inc1ILb0ELi512ELi2ELb1E19rocblas_complex_numIfEPKPKS1_S1_EviT4_llS6_lliPT5_PT3_: ; @_ZL23rocblas_dot_kernel_inc1ILb0ELi512ELi2ELb1E19rocblas_complex_numIfEPKPKS1_S1_EviT4_llS6_lliPT5_PT3_
; %bb.0:
	s_mov_b32 s2, s7
	s_load_dword s7, s[4:5], 0x0
	s_load_dword s10, s[4:5], 0x50
	v_lshl_or_b32 v1, s6, 9, v0
	s_mov_b32 s3, 0
	v_mov_b32_e32 v4, 0
	s_waitcnt lgkmcnt(0)
	v_cmp_gt_i32_e32 vcc, s7, v1
	v_mov_b32_e32 v5, 0
	s_and_saveexec_b64 s[0:1], vcc
	s_cbranch_execz .LBB125_4
; %bb.1:
	s_load_dwordx4 s[12:15], s[4:5], 0x8
	s_load_dwordx4 s[16:19], s[4:5], 0x20
	s_lshl_b64 s[8:9], s[2:3], 3
	v_ashrrev_i32_e32 v2, 31, v1
	v_lshlrev_b64 v[1:2], 3, v[1:2]
	s_waitcnt lgkmcnt(0)
	s_add_u32 s12, s12, s8
	s_addc_u32 s13, s13, s9
	s_load_dwordx2 s[12:13], s[12:13], 0x0
	s_lshl_b64 s[14:15], s[14:15], 3
	s_waitcnt lgkmcnt(0)
	s_add_u32 s11, s12, s14
	s_addc_u32 s12, s13, s15
	s_add_u32 s8, s16, s8
	s_addc_u32 s9, s17, s9
	s_load_dwordx2 s[8:9], s[8:9], 0x0
	s_lshl_b64 s[14:15], s[18:19], 3
	v_mov_b32_e32 v5, s12
	s_waitcnt lgkmcnt(0)
	s_add_u32 s13, s8, s14
	s_addc_u32 s14, s9, s15
	v_mov_b32_e32 v4, s14
	v_add_co_u32_e32 v3, vcc, s13, v1
	v_addc_co_u32_e32 v4, vcc, v4, v2, vcc
	v_add_co_u32_e32 v1, vcc, s11, v1
	v_addc_co_u32_e32 v2, vcc, v5, v2, vcc
	flat_load_dwordx2 v[5:6], v[1:2]
	flat_load_dwordx2 v[7:8], v[3:4]
	s_add_i32 s8, s6, s10
	v_lshl_or_b32 v1, s8, 9, v0
	v_cmp_gt_i32_e32 vcc, s7, v1
	s_waitcnt vmcnt(0) lgkmcnt(0)
	v_mul_f32_e32 v2, v6, v8
	v_mul_f32_e32 v3, v6, v7
	v_fmac_f32_e32 v2, v5, v7
	v_fma_f32 v3, v5, v8, -v3
	v_add_f32_e32 v4, 0, v2
	v_add_f32_e32 v5, 0, v3
	s_and_saveexec_b64 s[8:9], vcc
	s_cbranch_execz .LBB125_3
; %bb.2:
	v_ashrrev_i32_e32 v2, 31, v1
	v_lshlrev_b64 v[1:2], 3, v[1:2]
	v_mov_b32_e32 v3, s12
	v_add_co_u32_e32 v6, vcc, s11, v1
	v_addc_co_u32_e32 v7, vcc, v3, v2, vcc
	v_mov_b32_e32 v3, s14
	v_add_co_u32_e32 v1, vcc, s13, v1
	v_addc_co_u32_e32 v2, vcc, v3, v2, vcc
	flat_load_dwordx2 v[6:7], v[6:7]
	s_nop 0
	flat_load_dwordx2 v[1:2], v[1:2]
	s_waitcnt vmcnt(0) lgkmcnt(0)
	v_mul_f32_e32 v3, v7, v1
	v_mul_f32_e32 v7, v7, v2
	v_fma_f32 v2, v6, v2, -v3
	v_fmac_f32_e32 v7, v6, v1
	v_add_f32_e32 v5, v5, v2
	v_add_f32_e32 v4, v4, v7
.LBB125_3:
	s_or_b64 exec, exec, s[8:9]
.LBB125_4:
	s_or_b64 exec, exec, s[0:1]
	v_and_b32_e32 v1, 63, v0
	v_cmp_gt_u32_e32 vcc, 64, v0
	v_lshlrev_b32_e32 v3, 3, v1
	s_and_saveexec_b64 s[0:1], vcc
; %bb.5:
	v_mov_b32_e32 v6, 0
	v_mov_b32_e32 v7, v6
	ds_write_b64 v3, v[6:7]
; %bb.6:
	s_or_b64 exec, exec, s[0:1]
	v_mbcnt_lo_u32_b32 v2, -1, 0
	v_mbcnt_hi_u32_b32 v6, -1, v2
	v_mov_b32_e32 v2, 0x80
	v_lshl_or_b32 v2, v6, 2, v2
	ds_bpermute_b32 v7, v2, v4
	ds_bpermute_b32 v2, v2, v5
	v_and_b32_e32 v8, 63, v6
	v_cmp_gt_u32_e64 s[0:1], 48, v8
	s_waitcnt lgkmcnt(0)
	v_add_f32_e32 v4, v4, v7
	v_add_f32_e32 v2, v5, v2
	v_cndmask_b32_e64 v5, 0, 16, s[0:1]
	v_add_lshl_u32 v5, v5, v6, 2
	ds_bpermute_b32 v7, v5, v4
	ds_bpermute_b32 v5, v5, v2
	v_cmp_gt_u32_e64 s[0:1], 56, v8
	s_waitcnt lgkmcnt(0)
	s_barrier
	v_add_f32_e32 v4, v4, v7
	v_add_f32_e32 v2, v2, v5
	v_cndmask_b32_e64 v5, 0, 8, s[0:1]
	v_add_lshl_u32 v5, v5, v6, 2
	ds_bpermute_b32 v7, v5, v4
	ds_bpermute_b32 v5, v5, v2
	v_cmp_gt_u32_e64 s[0:1], 60, v8
	s_waitcnt lgkmcnt(1)
	v_add_f32_e32 v7, v4, v7
	v_cndmask_b32_e64 v4, 0, 4, s[0:1]
	s_waitcnt lgkmcnt(0)
	v_add_f32_e32 v2, v2, v5
	v_add_lshl_u32 v4, v4, v6, 2
	ds_bpermute_b32 v9, v4, v2
	ds_bpermute_b32 v5, v4, v7
	v_cmp_gt_u32_e64 s[0:1], 62, v8
	s_waitcnt lgkmcnt(1)
	v_add_f32_e32 v9, v2, v9
	v_cndmask_b32_e64 v2, 0, 2, s[0:1]
	s_waitcnt lgkmcnt(0)
	v_add_f32_e32 v7, v7, v5
	v_add_lshl_u32 v5, v2, v6, 2
	ds_bpermute_b32 v2, v5, v7
	ds_bpermute_b32 v10, v5, v9
	v_cmp_ne_u32_e64 s[0:1], 63, v8
	v_addc_co_u32_e64 v6, s[0:1], 0, v6, s[0:1]
	s_waitcnt lgkmcnt(1)
	v_add_f32_e32 v2, v7, v2
	s_waitcnt lgkmcnt(0)
	v_add_f32_e32 v7, v9, v10
	v_lshlrev_b32_e32 v6, 2, v6
	ds_bpermute_b32 v8, v6, v2
	ds_bpermute_b32 v9, v6, v7
	v_cmp_eq_u32_e64 s[0:1], 0, v1
	s_and_saveexec_b64 s[8:9], s[0:1]
	s_cbranch_execz .LBB125_8
; %bb.7:
	s_waitcnt lgkmcnt(1)
	v_add_f32_e32 v1, v2, v8
	s_waitcnt lgkmcnt(0)
	v_add_f32_e32 v2, v7, v9
	v_lshrrev_b32_e32 v7, 3, v0
	v_and_b32_e32 v7, 56, v7
	ds_write_b64 v7, v[1:2]
.LBB125_8:
	s_or_b64 exec, exec, s[8:9]
	v_cmp_gt_u32_e64 s[0:1], 8, v0
	v_mov_b32_e32 v2, 0
	v_mov_b32_e32 v1, 0
	s_waitcnt lgkmcnt(0)
	s_barrier
	s_and_saveexec_b64 s[8:9], s[0:1]
	s_cbranch_execnz .LBB125_12
; %bb.9:
	s_or_b64 exec, exec, s[8:9]
	s_and_saveexec_b64 s[0:1], vcc
	s_cbranch_execnz .LBB125_13
.LBB125_10:
	s_or_b64 exec, exec, s[0:1]
	v_cmp_eq_u32_e32 vcc, 0, v0
	s_and_saveexec_b64 s[0:1], vcc
	s_cbranch_execnz .LBB125_14
.LBB125_11:
	s_endpgm
.LBB125_12:
	ds_read_b64 v[1:2], v3
	s_or_b64 exec, exec, s[8:9]
	s_and_saveexec_b64 s[0:1], vcc
	s_cbranch_execz .LBB125_10
.LBB125_13:
	s_waitcnt lgkmcnt(0)
	ds_bpermute_b32 v3, v4, v1
	ds_bpermute_b32 v4, v4, v2
	s_waitcnt lgkmcnt(1)
	v_add_f32_e32 v1, v1, v3
	s_waitcnt lgkmcnt(0)
	v_add_f32_e32 v2, v2, v4
	ds_bpermute_b32 v3, v5, v1
	ds_bpermute_b32 v4, v5, v2
	s_waitcnt lgkmcnt(1)
	v_add_f32_e32 v1, v1, v3
	s_waitcnt lgkmcnt(0)
	v_add_f32_e32 v2, v2, v4
	;; [unrolled: 6-line block ×3, first 2 shown]
	s_or_b64 exec, exec, s[0:1]
	v_cmp_eq_u32_e32 vcc, 0, v0
	s_and_saveexec_b64 s[0:1], vcc
	s_cbranch_execz .LBB125_11
.LBB125_14:
	s_cmp_lg_u32 s10, 1
	s_cbranch_scc0 .LBB125_16
; %bb.15:
	s_load_dwordx2 s[0:1], s[4:5], 0x40
	s_mul_hi_u32 s9, s10, s2
	s_mul_i32 s8, s10, s2
	s_lshl_b64 s[8:9], s[8:9], 3
	s_mov_b32 s7, 0
	s_waitcnt lgkmcnt(0)
	s_add_u32 s8, s0, s8
	s_addc_u32 s9, s1, s9
	s_lshl_b64 s[0:1], s[6:7], 3
	s_add_u32 s0, s8, s0
	s_addc_u32 s1, s9, s1
	v_mov_b32_e32 v0, 0
	global_store_dword v0, v1, s[0:1]
	s_cbranch_execz .LBB125_17
	s_branch .LBB125_18
.LBB125_16:
                                        ; implicit-def: $sgpr0_sgpr1
.LBB125_17:
	s_load_dwordx2 s[0:1], s[4:5], 0x48
	s_lshl_b64 s[2:3], s[2:3], 3
	v_mov_b32_e32 v0, 0
	s_waitcnt lgkmcnt(0)
	s_add_u32 s0, s0, s2
	s_addc_u32 s1, s1, s3
	global_store_dword v0, v1, s[0:1]
.LBB125_18:
	v_mov_b32_e32 v0, 0
	s_waitcnt lgkmcnt(0)
	global_store_dword v0, v2, s[0:1] offset:4
	s_endpgm
	.section	.rodata,"a",@progbits
	.p2align	6, 0x0
	.amdhsa_kernel _ZL23rocblas_dot_kernel_inc1ILb0ELi512ELi2ELb1E19rocblas_complex_numIfEPKPKS1_S1_EviT4_llS6_lliPT5_PT3_
		.amdhsa_group_segment_fixed_size 512
		.amdhsa_private_segment_fixed_size 0
		.amdhsa_kernarg_size 336
		.amdhsa_user_sgpr_count 6
		.amdhsa_user_sgpr_private_segment_buffer 1
		.amdhsa_user_sgpr_dispatch_ptr 0
		.amdhsa_user_sgpr_queue_ptr 0
		.amdhsa_user_sgpr_kernarg_segment_ptr 1
		.amdhsa_user_sgpr_dispatch_id 0
		.amdhsa_user_sgpr_flat_scratch_init 0
		.amdhsa_user_sgpr_private_segment_size 0
		.amdhsa_uses_dynamic_stack 0
		.amdhsa_system_sgpr_private_segment_wavefront_offset 0
		.amdhsa_system_sgpr_workgroup_id_x 1
		.amdhsa_system_sgpr_workgroup_id_y 0
		.amdhsa_system_sgpr_workgroup_id_z 1
		.amdhsa_system_sgpr_workgroup_info 0
		.amdhsa_system_vgpr_workitem_id 0
		.amdhsa_next_free_vgpr 11
		.amdhsa_next_free_sgpr 20
		.amdhsa_reserve_vcc 1
		.amdhsa_reserve_flat_scratch 0
		.amdhsa_float_round_mode_32 0
		.amdhsa_float_round_mode_16_64 0
		.amdhsa_float_denorm_mode_32 3
		.amdhsa_float_denorm_mode_16_64 3
		.amdhsa_dx10_clamp 1
		.amdhsa_ieee_mode 1
		.amdhsa_fp16_overflow 0
		.amdhsa_exception_fp_ieee_invalid_op 0
		.amdhsa_exception_fp_denorm_src 0
		.amdhsa_exception_fp_ieee_div_zero 0
		.amdhsa_exception_fp_ieee_overflow 0
		.amdhsa_exception_fp_ieee_underflow 0
		.amdhsa_exception_fp_ieee_inexact 0
		.amdhsa_exception_int_div_zero 0
	.end_amdhsa_kernel
	.section	.text._ZL23rocblas_dot_kernel_inc1ILb0ELi512ELi2ELb1E19rocblas_complex_numIfEPKPKS1_S1_EviT4_llS6_lliPT5_PT3_,"axG",@progbits,_ZL23rocblas_dot_kernel_inc1ILb0ELi512ELi2ELb1E19rocblas_complex_numIfEPKPKS1_S1_EviT4_llS6_lliPT5_PT3_,comdat
.Lfunc_end125:
	.size	_ZL23rocblas_dot_kernel_inc1ILb0ELi512ELi2ELb1E19rocblas_complex_numIfEPKPKS1_S1_EviT4_llS6_lliPT5_PT3_, .Lfunc_end125-_ZL23rocblas_dot_kernel_inc1ILb0ELi512ELi2ELb1E19rocblas_complex_numIfEPKPKS1_S1_EviT4_llS6_lliPT5_PT3_
                                        ; -- End function
	.set _ZL23rocblas_dot_kernel_inc1ILb0ELi512ELi2ELb1E19rocblas_complex_numIfEPKPKS1_S1_EviT4_llS6_lliPT5_PT3_.num_vgpr, 11
	.set _ZL23rocblas_dot_kernel_inc1ILb0ELi512ELi2ELb1E19rocblas_complex_numIfEPKPKS1_S1_EviT4_llS6_lliPT5_PT3_.num_agpr, 0
	.set _ZL23rocblas_dot_kernel_inc1ILb0ELi512ELi2ELb1E19rocblas_complex_numIfEPKPKS1_S1_EviT4_llS6_lliPT5_PT3_.numbered_sgpr, 20
	.set _ZL23rocblas_dot_kernel_inc1ILb0ELi512ELi2ELb1E19rocblas_complex_numIfEPKPKS1_S1_EviT4_llS6_lliPT5_PT3_.num_named_barrier, 0
	.set _ZL23rocblas_dot_kernel_inc1ILb0ELi512ELi2ELb1E19rocblas_complex_numIfEPKPKS1_S1_EviT4_llS6_lliPT5_PT3_.private_seg_size, 0
	.set _ZL23rocblas_dot_kernel_inc1ILb0ELi512ELi2ELb1E19rocblas_complex_numIfEPKPKS1_S1_EviT4_llS6_lliPT5_PT3_.uses_vcc, 1
	.set _ZL23rocblas_dot_kernel_inc1ILb0ELi512ELi2ELb1E19rocblas_complex_numIfEPKPKS1_S1_EviT4_llS6_lliPT5_PT3_.uses_flat_scratch, 0
	.set _ZL23rocblas_dot_kernel_inc1ILb0ELi512ELi2ELb1E19rocblas_complex_numIfEPKPKS1_S1_EviT4_llS6_lliPT5_PT3_.has_dyn_sized_stack, 0
	.set _ZL23rocblas_dot_kernel_inc1ILb0ELi512ELi2ELb1E19rocblas_complex_numIfEPKPKS1_S1_EviT4_llS6_lliPT5_PT3_.has_recursion, 0
	.set _ZL23rocblas_dot_kernel_inc1ILb0ELi512ELi2ELb1E19rocblas_complex_numIfEPKPKS1_S1_EviT4_llS6_lliPT5_PT3_.has_indirect_call, 0
	.section	.AMDGPU.csdata,"",@progbits
; Kernel info:
; codeLenInByte = 1092
; TotalNumSgprs: 24
; NumVgprs: 11
; ScratchSize: 0
; MemoryBound: 0
; FloatMode: 240
; IeeeMode: 1
; LDSByteSize: 512 bytes/workgroup (compile time only)
; SGPRBlocks: 2
; VGPRBlocks: 2
; NumSGPRsForWavesPerEU: 24
; NumVGPRsForWavesPerEU: 11
; Occupancy: 10
; WaveLimiterHint : 1
; COMPUTE_PGM_RSRC2:SCRATCH_EN: 0
; COMPUTE_PGM_RSRC2:USER_SGPR: 6
; COMPUTE_PGM_RSRC2:TRAP_HANDLER: 0
; COMPUTE_PGM_RSRC2:TGID_X_EN: 1
; COMPUTE_PGM_RSRC2:TGID_Y_EN: 0
; COMPUTE_PGM_RSRC2:TGID_Z_EN: 1
; COMPUTE_PGM_RSRC2:TIDIG_COMP_CNT: 0
	.section	.text._ZL18rocblas_dot_kernelIiLb0ELi512ELi2ELb1E19rocblas_complex_numIfEPKPKS1_S1_EviT5_lT_lS6_lS7_liPT6_PT4_,"axG",@progbits,_ZL18rocblas_dot_kernelIiLb0ELi512ELi2ELb1E19rocblas_complex_numIfEPKPKS1_S1_EviT5_lT_lS6_lS7_liPT6_PT4_,comdat
	.globl	_ZL18rocblas_dot_kernelIiLb0ELi512ELi2ELb1E19rocblas_complex_numIfEPKPKS1_S1_EviT5_lT_lS6_lS7_liPT6_PT4_ ; -- Begin function _ZL18rocblas_dot_kernelIiLb0ELi512ELi2ELb1E19rocblas_complex_numIfEPKPKS1_S1_EviT5_lT_lS6_lS7_liPT6_PT4_
	.p2align	8
	.type	_ZL18rocblas_dot_kernelIiLb0ELi512ELi2ELb1E19rocblas_complex_numIfEPKPKS1_S1_EviT5_lT_lS6_lS7_liPT6_PT4_,@function
_ZL18rocblas_dot_kernelIiLb0ELi512ELi2ELb1E19rocblas_complex_numIfEPKPKS1_S1_EviT5_lT_lS6_lS7_liPT6_PT4_: ; @_ZL18rocblas_dot_kernelIiLb0ELi512ELi2ELb1E19rocblas_complex_numIfEPKPKS1_S1_EviT5_lT_lS6_lS7_liPT6_PT4_
; %bb.0:
	s_mov_b32 s2, s7
	s_load_dword s7, s[4:5], 0x0
	s_load_dword s10, s[4:5], 0x60
	v_lshl_or_b32 v3, s6, 9, v0
	s_mov_b32 s3, 0
	v_mov_b32_e32 v1, 0
	s_waitcnt lgkmcnt(0)
	v_cmp_gt_i32_e32 vcc, s7, v3
	v_mov_b32_e32 v2, 0
	s_and_saveexec_b64 s[0:1], vcc
	s_cbranch_execz .LBB126_4
; %bb.1:
	s_load_dwordx4 s[16:19], s[4:5], 0x8
	s_load_dword s12, s[4:5], 0x18
	s_load_dword s11, s[4:5], 0x38
	s_lshl_b64 s[8:9], s[2:3], 3
	s_waitcnt lgkmcnt(0)
	s_add_u32 s14, s16, s8
	s_addc_u32 s15, s17, s9
	s_load_dwordx2 s[16:17], s[14:15], 0x0
	s_load_dwordx4 s[20:23], s[4:5], 0x28
	v_mad_i64_i32 v[1:2], s[14:15], v3, s11, 0
	s_lshl_b64 s[14:15], s[18:19], 3
	s_waitcnt lgkmcnt(0)
	s_add_u32 s13, s16, s14
	s_addc_u32 s14, s17, s15
	s_add_u32 s8, s20, s8
	s_addc_u32 s9, s21, s9
	s_load_dwordx2 s[8:9], s[8:9], 0x0
	v_mad_i64_i32 v[3:4], s[16:17], v3, s12, 0
	s_lshl_b64 s[16:17], s[22:23], 3
	v_lshlrev_b64 v[1:2], 3, v[1:2]
	s_waitcnt lgkmcnt(0)
	s_add_u32 s15, s8, s16
	s_addc_u32 s16, s9, s17
	v_mov_b32_e32 v5, s16
	v_add_co_u32_e32 v1, vcc, s15, v1
	v_lshlrev_b64 v[3:4], 3, v[3:4]
	v_addc_co_u32_e32 v2, vcc, v5, v2, vcc
	v_mov_b32_e32 v5, s14
	v_add_co_u32_e32 v3, vcc, s13, v3
	v_addc_co_u32_e32 v4, vcc, v5, v4, vcc
	flat_load_dwordx2 v[5:6], v[3:4]
	flat_load_dwordx2 v[7:8], v[1:2]
	s_add_i32 s8, s6, s10
	v_lshl_or_b32 v3, s8, 9, v0
	v_cmp_gt_i32_e32 vcc, s7, v3
	s_waitcnt vmcnt(0) lgkmcnt(0)
	v_mul_f32_e32 v1, v6, v8
	v_mul_f32_e32 v2, v6, v7
	v_fmac_f32_e32 v1, v5, v7
	v_fma_f32 v2, v5, v8, -v2
	v_add_f32_e32 v1, 0, v1
	v_add_f32_e32 v2, 0, v2
	s_and_saveexec_b64 s[8:9], vcc
	s_cbranch_execz .LBB126_3
; %bb.2:
	v_mad_i64_i32 v[4:5], s[18:19], v3, s12, 0
	v_mad_i64_i32 v[6:7], s[18:19], v3, s11, 0
	v_lshlrev_b64 v[4:5], 3, v[4:5]
	v_mov_b32_e32 v8, s14
	v_add_co_u32_e32 v3, vcc, s13, v4
	v_addc_co_u32_e32 v4, vcc, v8, v5, vcc
	v_lshlrev_b64 v[5:6], 3, v[6:7]
	v_mov_b32_e32 v7, s16
	v_add_co_u32_e32 v5, vcc, s15, v5
	v_addc_co_u32_e32 v6, vcc, v7, v6, vcc
	flat_load_dwordx2 v[3:4], v[3:4]
	s_nop 0
	flat_load_dwordx2 v[5:6], v[5:6]
	s_waitcnt vmcnt(0) lgkmcnt(0)
	v_mul_f32_e32 v7, v4, v5
	v_mul_f32_e32 v4, v4, v6
	v_fma_f32 v6, v3, v6, -v7
	v_fmac_f32_e32 v4, v3, v5
	v_add_f32_e32 v2, v2, v6
	v_add_f32_e32 v1, v1, v4
.LBB126_3:
	s_or_b64 exec, exec, s[8:9]
.LBB126_4:
	s_or_b64 exec, exec, s[0:1]
	v_and_b32_e32 v5, 63, v0
	v_cmp_gt_u32_e32 vcc, 64, v0
	v_lshlrev_b32_e32 v3, 3, v5
	s_and_saveexec_b64 s[0:1], vcc
; %bb.5:
	v_mov_b32_e32 v6, 0
	v_mov_b32_e32 v7, v6
	ds_write_b64 v3, v[6:7]
; %bb.6:
	s_or_b64 exec, exec, s[0:1]
	v_mbcnt_lo_u32_b32 v4, -1, 0
	v_mbcnt_hi_u32_b32 v7, -1, v4
	v_mov_b32_e32 v4, 0x80
	v_lshl_or_b32 v4, v7, 2, v4
	ds_bpermute_b32 v6, v4, v1
	ds_bpermute_b32 v4, v4, v2
	v_and_b32_e32 v8, 63, v7
	v_cmp_gt_u32_e64 s[0:1], 48, v8
	s_waitcnt lgkmcnt(0)
	v_add_f32_e32 v1, v1, v6
	v_add_f32_e32 v2, v2, v4
	v_cndmask_b32_e64 v4, 0, 16, s[0:1]
	v_add_lshl_u32 v4, v4, v7, 2
	ds_bpermute_b32 v6, v4, v1
	ds_bpermute_b32 v4, v4, v2
	v_cmp_gt_u32_e64 s[0:1], 56, v8
	s_waitcnt lgkmcnt(0)
	s_barrier
	v_add_f32_e32 v1, v1, v6
	v_add_f32_e32 v2, v2, v4
	v_cndmask_b32_e64 v4, 0, 8, s[0:1]
	v_add_lshl_u32 v4, v4, v7, 2
	ds_bpermute_b32 v6, v4, v1
	ds_bpermute_b32 v4, v4, v2
	v_cmp_gt_u32_e64 s[0:1], 60, v8
	s_waitcnt lgkmcnt(1)
	v_add_f32_e32 v1, v1, v6
	s_waitcnt lgkmcnt(0)
	v_add_f32_e32 v2, v2, v4
	v_cndmask_b32_e64 v4, 0, 4, s[0:1]
	v_add_lshl_u32 v4, v4, v7, 2
	ds_bpermute_b32 v6, v4, v1
	ds_bpermute_b32 v9, v4, v2
	v_cmp_gt_u32_e64 s[0:1], 62, v8
	s_waitcnt lgkmcnt(1)
	v_add_f32_e32 v1, v1, v6
	v_cndmask_b32_e64 v6, 0, 2, s[0:1]
	s_waitcnt lgkmcnt(0)
	v_add_f32_e32 v2, v2, v9
	v_add_lshl_u32 v6, v6, v7, 2
	ds_bpermute_b32 v9, v6, v1
	ds_bpermute_b32 v10, v6, v2
	v_cmp_ne_u32_e64 s[0:1], 63, v8
	v_addc_co_u32_e64 v7, s[0:1], 0, v7, s[0:1]
	s_waitcnt lgkmcnt(1)
	v_add_f32_e32 v1, v1, v9
	s_waitcnt lgkmcnt(0)
	v_add_f32_e32 v2, v2, v10
	v_lshlrev_b32_e32 v7, 2, v7
	ds_bpermute_b32 v8, v7, v1
	ds_bpermute_b32 v9, v7, v2
	v_cmp_eq_u32_e64 s[0:1], 0, v5
	s_and_saveexec_b64 s[8:9], s[0:1]
	s_cbranch_execz .LBB126_8
; %bb.7:
	v_lshrrev_b32_e32 v5, 3, v0
	s_waitcnt lgkmcnt(1)
	v_add_f32_e32 v1, v1, v8
	s_waitcnt lgkmcnt(0)
	v_add_f32_e32 v2, v2, v9
	v_and_b32_e32 v5, 56, v5
	ds_write_b64 v5, v[1:2]
.LBB126_8:
	s_or_b64 exec, exec, s[8:9]
	v_cmp_gt_u32_e64 s[0:1], 8, v0
	v_mov_b32_e32 v2, 0
	v_mov_b32_e32 v1, 0
	s_waitcnt lgkmcnt(0)
	s_barrier
	s_and_saveexec_b64 s[8:9], s[0:1]
	s_cbranch_execnz .LBB126_12
; %bb.9:
	s_or_b64 exec, exec, s[8:9]
	s_and_saveexec_b64 s[0:1], vcc
	s_cbranch_execnz .LBB126_13
.LBB126_10:
	s_or_b64 exec, exec, s[0:1]
	v_cmp_eq_u32_e32 vcc, 0, v0
	s_and_saveexec_b64 s[0:1], vcc
	s_cbranch_execnz .LBB126_14
.LBB126_11:
	s_endpgm
.LBB126_12:
	ds_read_b64 v[1:2], v3
	s_or_b64 exec, exec, s[8:9]
	s_and_saveexec_b64 s[0:1], vcc
	s_cbranch_execz .LBB126_10
.LBB126_13:
	s_waitcnt lgkmcnt(0)
	ds_bpermute_b32 v3, v4, v1
	ds_bpermute_b32 v4, v4, v2
	s_waitcnt lgkmcnt(1)
	v_add_f32_e32 v1, v1, v3
	s_waitcnt lgkmcnt(0)
	v_add_f32_e32 v2, v2, v4
	ds_bpermute_b32 v3, v6, v1
	ds_bpermute_b32 v4, v6, v2
	s_waitcnt lgkmcnt(1)
	v_add_f32_e32 v1, v1, v3
	s_waitcnt lgkmcnt(0)
	v_add_f32_e32 v2, v2, v4
	;; [unrolled: 6-line block ×3, first 2 shown]
	s_or_b64 exec, exec, s[0:1]
	v_cmp_eq_u32_e32 vcc, 0, v0
	s_and_saveexec_b64 s[0:1], vcc
	s_cbranch_execz .LBB126_11
.LBB126_14:
	s_cmp_lg_u32 s10, 1
	s_cbranch_scc0 .LBB126_16
; %bb.15:
	s_load_dwordx2 s[0:1], s[4:5], 0x50
	s_mul_hi_u32 s9, s10, s2
	s_mul_i32 s8, s10, s2
	s_lshl_b64 s[8:9], s[8:9], 3
	s_mov_b32 s7, 0
	s_waitcnt lgkmcnt(0)
	s_add_u32 s8, s0, s8
	s_addc_u32 s9, s1, s9
	s_lshl_b64 s[0:1], s[6:7], 3
	s_add_u32 s0, s8, s0
	s_addc_u32 s1, s9, s1
	v_mov_b32_e32 v0, 0
	global_store_dword v0, v1, s[0:1]
	s_cbranch_execz .LBB126_17
	s_branch .LBB126_18
.LBB126_16:
                                        ; implicit-def: $sgpr0_sgpr1
.LBB126_17:
	s_load_dwordx2 s[0:1], s[4:5], 0x58
	s_lshl_b64 s[2:3], s[2:3], 3
	v_mov_b32_e32 v0, 0
	s_waitcnt lgkmcnt(0)
	s_add_u32 s0, s0, s2
	s_addc_u32 s1, s1, s3
	global_store_dword v0, v1, s[0:1]
.LBB126_18:
	v_mov_b32_e32 v0, 0
	s_waitcnt lgkmcnt(0)
	global_store_dword v0, v2, s[0:1] offset:4
	s_endpgm
	.section	.rodata,"a",@progbits
	.p2align	6, 0x0
	.amdhsa_kernel _ZL18rocblas_dot_kernelIiLb0ELi512ELi2ELb1E19rocblas_complex_numIfEPKPKS1_S1_EviT5_lT_lS6_lS7_liPT6_PT4_
		.amdhsa_group_segment_fixed_size 512
		.amdhsa_private_segment_fixed_size 0
		.amdhsa_kernarg_size 352
		.amdhsa_user_sgpr_count 6
		.amdhsa_user_sgpr_private_segment_buffer 1
		.amdhsa_user_sgpr_dispatch_ptr 0
		.amdhsa_user_sgpr_queue_ptr 0
		.amdhsa_user_sgpr_kernarg_segment_ptr 1
		.amdhsa_user_sgpr_dispatch_id 0
		.amdhsa_user_sgpr_flat_scratch_init 0
		.amdhsa_user_sgpr_private_segment_size 0
		.amdhsa_uses_dynamic_stack 0
		.amdhsa_system_sgpr_private_segment_wavefront_offset 0
		.amdhsa_system_sgpr_workgroup_id_x 1
		.amdhsa_system_sgpr_workgroup_id_y 0
		.amdhsa_system_sgpr_workgroup_id_z 1
		.amdhsa_system_sgpr_workgroup_info 0
		.amdhsa_system_vgpr_workitem_id 0
		.amdhsa_next_free_vgpr 11
		.amdhsa_next_free_sgpr 24
		.amdhsa_reserve_vcc 1
		.amdhsa_reserve_flat_scratch 0
		.amdhsa_float_round_mode_32 0
		.amdhsa_float_round_mode_16_64 0
		.amdhsa_float_denorm_mode_32 3
		.amdhsa_float_denorm_mode_16_64 3
		.amdhsa_dx10_clamp 1
		.amdhsa_ieee_mode 1
		.amdhsa_fp16_overflow 0
		.amdhsa_exception_fp_ieee_invalid_op 0
		.amdhsa_exception_fp_denorm_src 0
		.amdhsa_exception_fp_ieee_div_zero 0
		.amdhsa_exception_fp_ieee_overflow 0
		.amdhsa_exception_fp_ieee_underflow 0
		.amdhsa_exception_fp_ieee_inexact 0
		.amdhsa_exception_int_div_zero 0
	.end_amdhsa_kernel
	.section	.text._ZL18rocblas_dot_kernelIiLb0ELi512ELi2ELb1E19rocblas_complex_numIfEPKPKS1_S1_EviT5_lT_lS6_lS7_liPT6_PT4_,"axG",@progbits,_ZL18rocblas_dot_kernelIiLb0ELi512ELi2ELb1E19rocblas_complex_numIfEPKPKS1_S1_EviT5_lT_lS6_lS7_liPT6_PT4_,comdat
.Lfunc_end126:
	.size	_ZL18rocblas_dot_kernelIiLb0ELi512ELi2ELb1E19rocblas_complex_numIfEPKPKS1_S1_EviT5_lT_lS6_lS7_liPT6_PT4_, .Lfunc_end126-_ZL18rocblas_dot_kernelIiLb0ELi512ELi2ELb1E19rocblas_complex_numIfEPKPKS1_S1_EviT5_lT_lS6_lS7_liPT6_PT4_
                                        ; -- End function
	.set _ZL18rocblas_dot_kernelIiLb0ELi512ELi2ELb1E19rocblas_complex_numIfEPKPKS1_S1_EviT5_lT_lS6_lS7_liPT6_PT4_.num_vgpr, 11
	.set _ZL18rocblas_dot_kernelIiLb0ELi512ELi2ELb1E19rocblas_complex_numIfEPKPKS1_S1_EviT5_lT_lS6_lS7_liPT6_PT4_.num_agpr, 0
	.set _ZL18rocblas_dot_kernelIiLb0ELi512ELi2ELb1E19rocblas_complex_numIfEPKPKS1_S1_EviT5_lT_lS6_lS7_liPT6_PT4_.numbered_sgpr, 24
	.set _ZL18rocblas_dot_kernelIiLb0ELi512ELi2ELb1E19rocblas_complex_numIfEPKPKS1_S1_EviT5_lT_lS6_lS7_liPT6_PT4_.num_named_barrier, 0
	.set _ZL18rocblas_dot_kernelIiLb0ELi512ELi2ELb1E19rocblas_complex_numIfEPKPKS1_S1_EviT5_lT_lS6_lS7_liPT6_PT4_.private_seg_size, 0
	.set _ZL18rocblas_dot_kernelIiLb0ELi512ELi2ELb1E19rocblas_complex_numIfEPKPKS1_S1_EviT5_lT_lS6_lS7_liPT6_PT4_.uses_vcc, 1
	.set _ZL18rocblas_dot_kernelIiLb0ELi512ELi2ELb1E19rocblas_complex_numIfEPKPKS1_S1_EviT5_lT_lS6_lS7_liPT6_PT4_.uses_flat_scratch, 0
	.set _ZL18rocblas_dot_kernelIiLb0ELi512ELi2ELb1E19rocblas_complex_numIfEPKPKS1_S1_EviT5_lT_lS6_lS7_liPT6_PT4_.has_dyn_sized_stack, 0
	.set _ZL18rocblas_dot_kernelIiLb0ELi512ELi2ELb1E19rocblas_complex_numIfEPKPKS1_S1_EviT5_lT_lS6_lS7_liPT6_PT4_.has_recursion, 0
	.set _ZL18rocblas_dot_kernelIiLb0ELi512ELi2ELb1E19rocblas_complex_numIfEPKPKS1_S1_EviT5_lT_lS6_lS7_liPT6_PT4_.has_indirect_call, 0
	.section	.AMDGPU.csdata,"",@progbits
; Kernel info:
; codeLenInByte = 1148
; TotalNumSgprs: 28
; NumVgprs: 11
; ScratchSize: 0
; MemoryBound: 0
; FloatMode: 240
; IeeeMode: 1
; LDSByteSize: 512 bytes/workgroup (compile time only)
; SGPRBlocks: 3
; VGPRBlocks: 2
; NumSGPRsForWavesPerEU: 28
; NumVGPRsForWavesPerEU: 11
; Occupancy: 10
; WaveLimiterHint : 1
; COMPUTE_PGM_RSRC2:SCRATCH_EN: 0
; COMPUTE_PGM_RSRC2:USER_SGPR: 6
; COMPUTE_PGM_RSRC2:TRAP_HANDLER: 0
; COMPUTE_PGM_RSRC2:TGID_X_EN: 1
; COMPUTE_PGM_RSRC2:TGID_Y_EN: 0
; COMPUTE_PGM_RSRC2:TGID_Z_EN: 1
; COMPUTE_PGM_RSRC2:TIDIG_COMP_CNT: 0
	.section	.text._ZL24rocblas_dot_kernel_magsqIiLb0ELi512ELi2ELb1E19rocblas_complex_numIfEPKPKS1_S1_EviT5_lT_liPT6_PT4_,"axG",@progbits,_ZL24rocblas_dot_kernel_magsqIiLb0ELi512ELi2ELb1E19rocblas_complex_numIfEPKPKS1_S1_EviT5_lT_liPT6_PT4_,comdat
	.globl	_ZL24rocblas_dot_kernel_magsqIiLb0ELi512ELi2ELb1E19rocblas_complex_numIfEPKPKS1_S1_EviT5_lT_liPT6_PT4_ ; -- Begin function _ZL24rocblas_dot_kernel_magsqIiLb0ELi512ELi2ELb1E19rocblas_complex_numIfEPKPKS1_S1_EviT5_lT_liPT6_PT4_
	.p2align	8
	.type	_ZL24rocblas_dot_kernel_magsqIiLb0ELi512ELi2ELb1E19rocblas_complex_numIfEPKPKS1_S1_EviT5_lT_liPT6_PT4_,@function
_ZL24rocblas_dot_kernel_magsqIiLb0ELi512ELi2ELb1E19rocblas_complex_numIfEPKPKS1_S1_EviT5_lT_liPT6_PT4_: ; @_ZL24rocblas_dot_kernel_magsqIiLb0ELi512ELi2ELb1E19rocblas_complex_numIfEPKPKS1_S1_EviT5_lT_liPT6_PT4_
; %bb.0:
	s_mov_b32 s2, s7
	s_load_dword s7, s[4:5], 0x0
	s_load_dword s10, s[4:5], 0x40
	v_lshl_or_b32 v3, s6, 9, v0
	s_mov_b32 s3, 0
	v_mov_b32_e32 v1, 0
	s_waitcnt lgkmcnt(0)
	v_cmp_gt_i32_e32 vcc, s7, v3
	v_mov_b32_e32 v2, 0
	s_and_saveexec_b64 s[0:1], vcc
	s_cbranch_execz .LBB127_4
; %bb.1:
	s_load_dwordx4 s[12:15], s[4:5], 0x8
	s_load_dword s11, s[4:5], 0x18
	s_lshl_b64 s[8:9], s[2:3], 3
	s_waitcnt lgkmcnt(0)
	s_add_u32 s8, s12, s8
	s_addc_u32 s9, s13, s9
	s_load_dwordx2 s[8:9], s[8:9], 0x0
	v_mad_i64_i32 v[1:2], s[16:17], v3, s11, 0
	s_lshl_b64 s[12:13], s[14:15], 3
	v_lshlrev_b64 v[1:2], 3, v[1:2]
	s_waitcnt lgkmcnt(0)
	s_add_u32 s12, s8, s12
	s_addc_u32 s13, s9, s13
	v_mov_b32_e32 v3, s13
	v_add_co_u32_e32 v1, vcc, s12, v1
	v_addc_co_u32_e32 v2, vcc, v3, v2, vcc
	flat_load_dwordx2 v[4:5], v[1:2]
	s_add_i32 s8, s6, s10
	v_lshl_or_b32 v3, s8, 9, v0
	v_cmp_gt_i32_e32 vcc, s7, v3
	s_waitcnt vmcnt(0) lgkmcnt(0)
	v_mul_f32_e32 v2, v4, v5
	v_mul_f32_e32 v1, v5, v5
	v_fma_f32 v2, v4, v5, -v2
	v_fmac_f32_e32 v1, v4, v4
	v_add_f32_e32 v2, 0, v2
	s_and_saveexec_b64 s[8:9], vcc
	s_cbranch_execz .LBB127_3
; %bb.2:
	v_mad_i64_i32 v[3:4], s[14:15], v3, s11, 0
	v_mov_b32_e32 v5, s13
	v_lshlrev_b64 v[3:4], 3, v[3:4]
	v_add_co_u32_e32 v3, vcc, s12, v3
	v_addc_co_u32_e32 v4, vcc, v5, v4, vcc
	flat_load_dwordx2 v[3:4], v[3:4]
	s_waitcnt vmcnt(0) lgkmcnt(0)
	v_mul_f32_e32 v5, v3, v4
	v_mul_f32_e32 v6, v4, v4
	v_fma_f32 v4, v3, v4, -v5
	v_fmac_f32_e32 v6, v3, v3
	v_add_f32_e32 v2, v2, v4
	v_add_f32_e32 v1, v1, v6
.LBB127_3:
	s_or_b64 exec, exec, s[8:9]
.LBB127_4:
	s_or_b64 exec, exec, s[0:1]
	v_and_b32_e32 v5, 63, v0
	v_cmp_gt_u32_e32 vcc, 64, v0
	v_lshlrev_b32_e32 v3, 3, v5
	s_and_saveexec_b64 s[0:1], vcc
; %bb.5:
	v_mov_b32_e32 v6, 0
	v_mov_b32_e32 v7, v6
	ds_write_b64 v3, v[6:7]
; %bb.6:
	s_or_b64 exec, exec, s[0:1]
	v_mbcnt_lo_u32_b32 v4, -1, 0
	v_mbcnt_hi_u32_b32 v7, -1, v4
	v_mov_b32_e32 v4, 0x80
	v_lshl_or_b32 v4, v7, 2, v4
	ds_bpermute_b32 v6, v4, v1
	ds_bpermute_b32 v4, v4, v2
	v_and_b32_e32 v8, 63, v7
	v_cmp_gt_u32_e64 s[0:1], 48, v8
	s_waitcnt lgkmcnt(0)
	v_add_f32_e32 v1, v1, v6
	v_add_f32_e32 v2, v2, v4
	v_cndmask_b32_e64 v4, 0, 16, s[0:1]
	v_add_lshl_u32 v4, v4, v7, 2
	ds_bpermute_b32 v6, v4, v1
	ds_bpermute_b32 v4, v4, v2
	v_cmp_gt_u32_e64 s[0:1], 56, v8
	s_waitcnt lgkmcnt(0)
	s_barrier
	v_add_f32_e32 v1, v1, v6
	v_add_f32_e32 v2, v2, v4
	v_cndmask_b32_e64 v4, 0, 8, s[0:1]
	v_add_lshl_u32 v4, v4, v7, 2
	ds_bpermute_b32 v6, v4, v1
	ds_bpermute_b32 v4, v4, v2
	v_cmp_gt_u32_e64 s[0:1], 60, v8
	s_waitcnt lgkmcnt(1)
	v_add_f32_e32 v1, v1, v6
	s_waitcnt lgkmcnt(0)
	v_add_f32_e32 v2, v2, v4
	v_cndmask_b32_e64 v4, 0, 4, s[0:1]
	v_add_lshl_u32 v4, v4, v7, 2
	ds_bpermute_b32 v6, v4, v1
	ds_bpermute_b32 v9, v4, v2
	v_cmp_gt_u32_e64 s[0:1], 62, v8
	s_waitcnt lgkmcnt(1)
	v_add_f32_e32 v1, v1, v6
	v_cndmask_b32_e64 v6, 0, 2, s[0:1]
	s_waitcnt lgkmcnt(0)
	v_add_f32_e32 v2, v2, v9
	v_add_lshl_u32 v6, v6, v7, 2
	ds_bpermute_b32 v9, v6, v1
	ds_bpermute_b32 v10, v6, v2
	v_cmp_ne_u32_e64 s[0:1], 63, v8
	v_addc_co_u32_e64 v7, s[0:1], 0, v7, s[0:1]
	s_waitcnt lgkmcnt(1)
	v_add_f32_e32 v1, v1, v9
	s_waitcnt lgkmcnt(0)
	v_add_f32_e32 v2, v2, v10
	v_lshlrev_b32_e32 v7, 2, v7
	ds_bpermute_b32 v8, v7, v1
	ds_bpermute_b32 v9, v7, v2
	v_cmp_eq_u32_e64 s[0:1], 0, v5
	s_and_saveexec_b64 s[8:9], s[0:1]
	s_cbranch_execz .LBB127_8
; %bb.7:
	v_lshrrev_b32_e32 v5, 3, v0
	s_waitcnt lgkmcnt(1)
	v_add_f32_e32 v1, v1, v8
	s_waitcnt lgkmcnt(0)
	v_add_f32_e32 v2, v2, v9
	v_and_b32_e32 v5, 56, v5
	ds_write_b64 v5, v[1:2]
.LBB127_8:
	s_or_b64 exec, exec, s[8:9]
	v_cmp_gt_u32_e64 s[0:1], 8, v0
	v_mov_b32_e32 v2, 0
	v_mov_b32_e32 v1, 0
	s_waitcnt lgkmcnt(0)
	s_barrier
	s_and_saveexec_b64 s[8:9], s[0:1]
	s_cbranch_execnz .LBB127_12
; %bb.9:
	s_or_b64 exec, exec, s[8:9]
	s_and_saveexec_b64 s[0:1], vcc
	s_cbranch_execnz .LBB127_13
.LBB127_10:
	s_or_b64 exec, exec, s[0:1]
	v_cmp_eq_u32_e32 vcc, 0, v0
	s_and_saveexec_b64 s[0:1], vcc
	s_cbranch_execnz .LBB127_14
.LBB127_11:
	s_endpgm
.LBB127_12:
	ds_read_b64 v[1:2], v3
	s_or_b64 exec, exec, s[8:9]
	s_and_saveexec_b64 s[0:1], vcc
	s_cbranch_execz .LBB127_10
.LBB127_13:
	s_waitcnt lgkmcnt(0)
	ds_bpermute_b32 v3, v4, v1
	ds_bpermute_b32 v4, v4, v2
	s_waitcnt lgkmcnt(1)
	v_add_f32_e32 v1, v1, v3
	s_waitcnt lgkmcnt(0)
	v_add_f32_e32 v2, v2, v4
	ds_bpermute_b32 v3, v6, v1
	ds_bpermute_b32 v4, v6, v2
	s_waitcnt lgkmcnt(1)
	v_add_f32_e32 v1, v1, v3
	s_waitcnt lgkmcnt(0)
	v_add_f32_e32 v2, v2, v4
	ds_bpermute_b32 v3, v7, v1
	ds_bpermute_b32 v4, v7, v2
	s_waitcnt lgkmcnt(1)
	v_add_f32_e32 v1, v1, v3
	s_waitcnt lgkmcnt(0)
	v_add_f32_e32 v2, v2, v4
	s_or_b64 exec, exec, s[0:1]
	v_cmp_eq_u32_e32 vcc, 0, v0
	s_and_saveexec_b64 s[0:1], vcc
	s_cbranch_execz .LBB127_11
.LBB127_14:
	s_cmp_lg_u32 s10, 1
	s_cbranch_scc0 .LBB127_16
; %bb.15:
	s_load_dwordx2 s[0:1], s[4:5], 0x30
	s_mul_hi_u32 s9, s10, s2
	s_mul_i32 s8, s10, s2
	s_lshl_b64 s[8:9], s[8:9], 3
	s_mov_b32 s7, 0
	s_waitcnt lgkmcnt(0)
	s_add_u32 s8, s0, s8
	s_addc_u32 s9, s1, s9
	s_lshl_b64 s[0:1], s[6:7], 3
	s_add_u32 s0, s8, s0
	s_addc_u32 s1, s9, s1
	v_mov_b32_e32 v0, 0
	global_store_dword v0, v1, s[0:1]
	s_cbranch_execz .LBB127_17
	s_branch .LBB127_18
.LBB127_16:
                                        ; implicit-def: $sgpr0_sgpr1
.LBB127_17:
	s_load_dwordx2 s[0:1], s[4:5], 0x38
	s_lshl_b64 s[2:3], s[2:3], 3
	v_mov_b32_e32 v0, 0
	s_waitcnt lgkmcnt(0)
	s_add_u32 s0, s0, s2
	s_addc_u32 s1, s1, s3
	global_store_dword v0, v1, s[0:1]
.LBB127_18:
	v_mov_b32_e32 v0, 0
	s_waitcnt lgkmcnt(0)
	global_store_dword v0, v2, s[0:1] offset:4
	s_endpgm
	.section	.rodata,"a",@progbits
	.p2align	6, 0x0
	.amdhsa_kernel _ZL24rocblas_dot_kernel_magsqIiLb0ELi512ELi2ELb1E19rocblas_complex_numIfEPKPKS1_S1_EviT5_lT_liPT6_PT4_
		.amdhsa_group_segment_fixed_size 512
		.amdhsa_private_segment_fixed_size 0
		.amdhsa_kernarg_size 320
		.amdhsa_user_sgpr_count 6
		.amdhsa_user_sgpr_private_segment_buffer 1
		.amdhsa_user_sgpr_dispatch_ptr 0
		.amdhsa_user_sgpr_queue_ptr 0
		.amdhsa_user_sgpr_kernarg_segment_ptr 1
		.amdhsa_user_sgpr_dispatch_id 0
		.amdhsa_user_sgpr_flat_scratch_init 0
		.amdhsa_user_sgpr_private_segment_size 0
		.amdhsa_uses_dynamic_stack 0
		.amdhsa_system_sgpr_private_segment_wavefront_offset 0
		.amdhsa_system_sgpr_workgroup_id_x 1
		.amdhsa_system_sgpr_workgroup_id_y 0
		.amdhsa_system_sgpr_workgroup_id_z 1
		.amdhsa_system_sgpr_workgroup_info 0
		.amdhsa_system_vgpr_workitem_id 0
		.amdhsa_next_free_vgpr 11
		.amdhsa_next_free_sgpr 18
		.amdhsa_reserve_vcc 1
		.amdhsa_reserve_flat_scratch 0
		.amdhsa_float_round_mode_32 0
		.amdhsa_float_round_mode_16_64 0
		.amdhsa_float_denorm_mode_32 3
		.amdhsa_float_denorm_mode_16_64 3
		.amdhsa_dx10_clamp 1
		.amdhsa_ieee_mode 1
		.amdhsa_fp16_overflow 0
		.amdhsa_exception_fp_ieee_invalid_op 0
		.amdhsa_exception_fp_denorm_src 0
		.amdhsa_exception_fp_ieee_div_zero 0
		.amdhsa_exception_fp_ieee_overflow 0
		.amdhsa_exception_fp_ieee_underflow 0
		.amdhsa_exception_fp_ieee_inexact 0
		.amdhsa_exception_int_div_zero 0
	.end_amdhsa_kernel
	.section	.text._ZL24rocblas_dot_kernel_magsqIiLb0ELi512ELi2ELb1E19rocblas_complex_numIfEPKPKS1_S1_EviT5_lT_liPT6_PT4_,"axG",@progbits,_ZL24rocblas_dot_kernel_magsqIiLb0ELi512ELi2ELb1E19rocblas_complex_numIfEPKPKS1_S1_EviT5_lT_liPT6_PT4_,comdat
.Lfunc_end127:
	.size	_ZL24rocblas_dot_kernel_magsqIiLb0ELi512ELi2ELb1E19rocblas_complex_numIfEPKPKS1_S1_EviT5_lT_liPT6_PT4_, .Lfunc_end127-_ZL24rocblas_dot_kernel_magsqIiLb0ELi512ELi2ELb1E19rocblas_complex_numIfEPKPKS1_S1_EviT5_lT_liPT6_PT4_
                                        ; -- End function
	.set _ZL24rocblas_dot_kernel_magsqIiLb0ELi512ELi2ELb1E19rocblas_complex_numIfEPKPKS1_S1_EviT5_lT_liPT6_PT4_.num_vgpr, 11
	.set _ZL24rocblas_dot_kernel_magsqIiLb0ELi512ELi2ELb1E19rocblas_complex_numIfEPKPKS1_S1_EviT5_lT_liPT6_PT4_.num_agpr, 0
	.set _ZL24rocblas_dot_kernel_magsqIiLb0ELi512ELi2ELb1E19rocblas_complex_numIfEPKPKS1_S1_EviT5_lT_liPT6_PT4_.numbered_sgpr, 18
	.set _ZL24rocblas_dot_kernel_magsqIiLb0ELi512ELi2ELb1E19rocblas_complex_numIfEPKPKS1_S1_EviT5_lT_liPT6_PT4_.num_named_barrier, 0
	.set _ZL24rocblas_dot_kernel_magsqIiLb0ELi512ELi2ELb1E19rocblas_complex_numIfEPKPKS1_S1_EviT5_lT_liPT6_PT4_.private_seg_size, 0
	.set _ZL24rocblas_dot_kernel_magsqIiLb0ELi512ELi2ELb1E19rocblas_complex_numIfEPKPKS1_S1_EviT5_lT_liPT6_PT4_.uses_vcc, 1
	.set _ZL24rocblas_dot_kernel_magsqIiLb0ELi512ELi2ELb1E19rocblas_complex_numIfEPKPKS1_S1_EviT5_lT_liPT6_PT4_.uses_flat_scratch, 0
	.set _ZL24rocblas_dot_kernel_magsqIiLb0ELi512ELi2ELb1E19rocblas_complex_numIfEPKPKS1_S1_EviT5_lT_liPT6_PT4_.has_dyn_sized_stack, 0
	.set _ZL24rocblas_dot_kernel_magsqIiLb0ELi512ELi2ELb1E19rocblas_complex_numIfEPKPKS1_S1_EviT5_lT_liPT6_PT4_.has_recursion, 0
	.set _ZL24rocblas_dot_kernel_magsqIiLb0ELi512ELi2ELb1E19rocblas_complex_numIfEPKPKS1_S1_EviT5_lT_liPT6_PT4_.has_indirect_call, 0
	.section	.AMDGPU.csdata,"",@progbits
; Kernel info:
; codeLenInByte = 1020
; TotalNumSgprs: 22
; NumVgprs: 11
; ScratchSize: 0
; MemoryBound: 0
; FloatMode: 240
; IeeeMode: 1
; LDSByteSize: 512 bytes/workgroup (compile time only)
; SGPRBlocks: 2
; VGPRBlocks: 2
; NumSGPRsForWavesPerEU: 22
; NumVGPRsForWavesPerEU: 11
; Occupancy: 10
; WaveLimiterHint : 1
; COMPUTE_PGM_RSRC2:SCRATCH_EN: 0
; COMPUTE_PGM_RSRC2:USER_SGPR: 6
; COMPUTE_PGM_RSRC2:TRAP_HANDLER: 0
; COMPUTE_PGM_RSRC2:TGID_X_EN: 1
; COMPUTE_PGM_RSRC2:TGID_Y_EN: 0
; COMPUTE_PGM_RSRC2:TGID_Z_EN: 1
; COMPUTE_PGM_RSRC2:TIDIG_COMP_CNT: 0
	.section	.text._ZL28rocblas_dot_batched_4_kernelIiLi32ELi4ELb1E19rocblas_complex_numIdES1_PKPKS1_EviT5_lT_lS6_lS7_liPT4_,"axG",@progbits,_ZL28rocblas_dot_batched_4_kernelIiLi32ELi4ELb1E19rocblas_complex_numIdES1_PKPKS1_EviT5_lT_lS6_lS7_liPT4_,comdat
	.globl	_ZL28rocblas_dot_batched_4_kernelIiLi32ELi4ELb1E19rocblas_complex_numIdES1_PKPKS1_EviT5_lT_lS6_lS7_liPT4_ ; -- Begin function _ZL28rocblas_dot_batched_4_kernelIiLi32ELi4ELb1E19rocblas_complex_numIdES1_PKPKS1_EviT5_lT_lS6_lS7_liPT4_
	.p2align	8
	.type	_ZL28rocblas_dot_batched_4_kernelIiLi32ELi4ELb1E19rocblas_complex_numIdES1_PKPKS1_EviT5_lT_lS6_lS7_liPT4_,@function
_ZL28rocblas_dot_batched_4_kernelIiLi32ELi4ELb1E19rocblas_complex_numIdES1_PKPKS1_EviT5_lT_lS6_lS7_liPT4_: ; @_ZL28rocblas_dot_batched_4_kernelIiLi32ELi4ELb1E19rocblas_complex_numIdES1_PKPKS1_EviT5_lT_lS6_lS7_liPT4_
; %bb.0:
	s_load_dword s0, s[4:5], 0x48
	v_lshl_add_u32 v1, s6, 2, v1
	s_waitcnt lgkmcnt(0)
	v_cmp_gt_u32_e32 vcc, s0, v1
	s_and_saveexec_b64 s[0:1], vcc
	s_cbranch_execz .LBB128_7
; %bb.1:
	s_load_dword s14, s[4:5], 0x0
	s_load_dwordx2 s[6:7], s[4:5], 0x50
	v_mov_b32_e32 v3, 0
	v_mov_b32_e32 v5, 0
	v_mov_b32_e32 v2, 0
	v_mov_b32_e32 v4, 0
	v_mov_b32_e32 v6, 0
	s_waitcnt lgkmcnt(0)
	v_cmp_gt_i32_e32 vcc, s14, v0
	s_and_saveexec_b64 s[12:13], vcc
	s_cbranch_execz .LBB128_5
; %bb.2:
	s_load_dwordx4 s[0:3], s[4:5], 0x8
	s_load_dwordx4 s[8:11], s[4:5], 0x28
	v_lshlrev_b64 v[3:4], 3, v[1:2]
	s_load_dword s16, s[4:5], 0x18
	s_load_dword s18, s[4:5], 0x38
	s_mov_b64 s[4:5], 0
	s_waitcnt lgkmcnt(0)
	v_mov_b32_e32 v9, s1
	v_mov_b32_e32 v6, s9
	v_add_co_u32_e32 v5, vcc, s8, v3
	v_addc_co_u32_e32 v6, vcc, v6, v4, vcc
	global_load_dwordx2 v[7:8], v[5:6], off
	v_add_co_u32_e32 v3, vcc, s0, v3
	v_addc_co_u32_e32 v4, vcc, v9, v4, vcc
	global_load_dwordx2 v[9:10], v[3:4], off
	v_mad_i64_i32 v[11:12], s[0:1], s18, v0, 0
	v_mad_i64_i32 v[13:14], s[8:9], s16, v0, 0
	v_lshlrev_b64 v[11:12], 4, v[11:12]
	s_lshl_b64 s[0:1], s[10:11], 4
	v_mov_b32_e32 v15, s1
	v_lshlrev_b64 v[13:14], 4, v[13:14]
	v_add_co_u32_e32 v11, vcc, s0, v11
	s_lshl_b64 s[10:11], s[2:3], 4
	v_addc_co_u32_e32 v12, vcc, v12, v15, vcc
	v_mov_b32_e32 v16, s11
	v_add_co_u32_e32 v13, vcc, s10, v13
	v_addc_co_u32_e32 v14, vcc, v14, v16, vcc
	v_mov_b32_e32 v3, 0
	v_mov_b32_e32 v5, 0
	s_ashr_i32 s17, s16, 31
	s_ashr_i32 s19, s18, 31
	v_mov_b32_e32 v4, 0
	v_mov_b32_e32 v6, 0
	s_lshl_b64 s[2:3], s[18:19], 9
	s_lshl_b64 s[8:9], s[16:17], 9
	s_waitcnt vmcnt(1)
	v_add_co_u32_e32 v7, vcc, v7, v11
	v_addc_co_u32_e32 v8, vcc, v8, v12, vcc
	v_mov_b32_e32 v11, v0
	s_waitcnt vmcnt(0)
	v_add_co_u32_e32 v9, vcc, v9, v13
	v_addc_co_u32_e32 v10, vcc, v10, v14, vcc
.LBB128_3:                              ; =>This Inner Loop Header: Depth=1
	flat_load_dwordx4 v[12:15], v[9:10]
	flat_load_dwordx4 v[16:19], v[7:8]
	v_add_co_u32_e64 v7, s[0:1], s2, v7
	v_add_u32_e32 v11, 32, v11
	v_add_co_u32_e32 v9, vcc, s8, v9
	s_waitcnt vmcnt(0) lgkmcnt(0)
	v_mul_f64 v[20:21], v[14:15], v[18:19]
	v_mul_f64 v[14:15], v[14:15], v[16:17]
	v_fma_f64 v[20:21], v[12:13], v[16:17], v[20:21]
	v_fma_f64 v[12:13], v[12:13], v[18:19], -v[14:15]
	v_mov_b32_e32 v14, s3
	v_addc_co_u32_e64 v8, s[0:1], v8, v14, s[0:1]
	v_mov_b32_e32 v15, s9
	v_cmp_le_i32_e64 s[0:1], s14, v11
	s_or_b64 s[4:5], s[0:1], s[4:5]
	v_add_f64 v[3:4], v[3:4], v[20:21]
	v_add_f64 v[5:6], v[5:6], v[12:13]
	v_addc_co_u32_e32 v10, vcc, v10, v15, vcc
	s_andn2_b64 exec, exec, s[4:5]
	s_cbranch_execnz .LBB128_3
; %bb.4:
	s_or_b64 exec, exec, s[4:5]
.LBB128_5:
	s_or_b64 exec, exec, s[12:13]
	v_mbcnt_lo_u32_b32 v7, -1, 0
	v_mbcnt_hi_u32_b32 v11, -1, v7
	v_and_b32_e32 v12, 63, v11
	v_cmp_gt_u32_e32 vcc, 48, v12
	v_cndmask_b32_e64 v7, 0, 16, vcc
	v_add_lshl_u32 v10, v7, v11, 2
	ds_bpermute_b32 v7, v10, v3
	ds_bpermute_b32 v8, v10, v4
	;; [unrolled: 1-line block ×4, first 2 shown]
	v_cmp_gt_u32_e32 vcc, 56, v12
	s_waitcnt lgkmcnt(0)
	v_add_f64 v[3:4], v[3:4], v[7:8]
	v_cndmask_b32_e64 v7, 0, 8, vcc
	v_add_f64 v[5:6], v[5:6], v[9:10]
	v_add_lshl_u32 v10, v7, v11, 2
	v_cmp_gt_u32_e32 vcc, 60, v12
	s_barrier
	ds_bpermute_b32 v7, v10, v3
	ds_bpermute_b32 v8, v10, v4
	;; [unrolled: 1-line block ×4, first 2 shown]
	s_waitcnt lgkmcnt(2)
	v_add_f64 v[3:4], v[3:4], v[7:8]
	v_cndmask_b32_e64 v7, 0, 4, vcc
	s_waitcnt lgkmcnt(0)
	v_add_f64 v[5:6], v[5:6], v[9:10]
	v_add_lshl_u32 v10, v7, v11, 2
	v_cmp_gt_u32_e32 vcc, 62, v12
	ds_bpermute_b32 v7, v10, v3
	ds_bpermute_b32 v8, v10, v4
	;; [unrolled: 1-line block ×4, first 2 shown]
	s_waitcnt lgkmcnt(2)
	v_add_f64 v[3:4], v[3:4], v[7:8]
	v_cndmask_b32_e64 v7, 0, 2, vcc
	s_waitcnt lgkmcnt(0)
	v_add_f64 v[5:6], v[5:6], v[9:10]
	v_add_lshl_u32 v10, v7, v11, 2
	v_cmp_ne_u32_e32 vcc, 63, v12
	ds_bpermute_b32 v7, v10, v3
	ds_bpermute_b32 v8, v10, v4
	;; [unrolled: 1-line block ×4, first 2 shown]
	s_waitcnt lgkmcnt(2)
	v_add_f64 v[3:4], v[3:4], v[7:8]
	v_addc_co_u32_e32 v7, vcc, 0, v11, vcc
	s_waitcnt lgkmcnt(0)
	v_add_f64 v[5:6], v[5:6], v[9:10]
	v_lshlrev_b32_e32 v10, 2, v7
	v_cmp_eq_u32_e32 vcc, 0, v0
	ds_bpermute_b32 v7, v10, v3
	ds_bpermute_b32 v8, v10, v4
	ds_bpermute_b32 v9, v10, v5
	ds_bpermute_b32 v10, v10, v6
	s_and_b64 exec, exec, vcc
	s_cbranch_execz .LBB128_7
; %bb.6:
	s_waitcnt lgkmcnt(0)
	v_add_f64 v[5:6], v[5:6], v[9:10]
	v_add_f64 v[3:4], v[3:4], v[7:8]
	v_lshlrev_b64 v[0:1], 4, v[1:2]
	v_mov_b32_e32 v2, s7
	v_add_co_u32_e32 v0, vcc, s6, v0
	v_addc_co_u32_e32 v1, vcc, v2, v1, vcc
	global_store_dwordx4 v[0:1], v[3:6], off
.LBB128_7:
	s_endpgm
	.section	.rodata,"a",@progbits
	.p2align	6, 0x0
	.amdhsa_kernel _ZL28rocblas_dot_batched_4_kernelIiLi32ELi4ELb1E19rocblas_complex_numIdES1_PKPKS1_EviT5_lT_lS6_lS7_liPT4_
		.amdhsa_group_segment_fixed_size 0
		.amdhsa_private_segment_fixed_size 0
		.amdhsa_kernarg_size 88
		.amdhsa_user_sgpr_count 6
		.amdhsa_user_sgpr_private_segment_buffer 1
		.amdhsa_user_sgpr_dispatch_ptr 0
		.amdhsa_user_sgpr_queue_ptr 0
		.amdhsa_user_sgpr_kernarg_segment_ptr 1
		.amdhsa_user_sgpr_dispatch_id 0
		.amdhsa_user_sgpr_flat_scratch_init 0
		.amdhsa_user_sgpr_private_segment_size 0
		.amdhsa_uses_dynamic_stack 0
		.amdhsa_system_sgpr_private_segment_wavefront_offset 0
		.amdhsa_system_sgpr_workgroup_id_x 1
		.amdhsa_system_sgpr_workgroup_id_y 0
		.amdhsa_system_sgpr_workgroup_id_z 0
		.amdhsa_system_sgpr_workgroup_info 0
		.amdhsa_system_vgpr_workitem_id 1
		.amdhsa_next_free_vgpr 22
		.amdhsa_next_free_sgpr 20
		.amdhsa_reserve_vcc 1
		.amdhsa_reserve_flat_scratch 0
		.amdhsa_float_round_mode_32 0
		.amdhsa_float_round_mode_16_64 0
		.amdhsa_float_denorm_mode_32 3
		.amdhsa_float_denorm_mode_16_64 3
		.amdhsa_dx10_clamp 1
		.amdhsa_ieee_mode 1
		.amdhsa_fp16_overflow 0
		.amdhsa_exception_fp_ieee_invalid_op 0
		.amdhsa_exception_fp_denorm_src 0
		.amdhsa_exception_fp_ieee_div_zero 0
		.amdhsa_exception_fp_ieee_overflow 0
		.amdhsa_exception_fp_ieee_underflow 0
		.amdhsa_exception_fp_ieee_inexact 0
		.amdhsa_exception_int_div_zero 0
	.end_amdhsa_kernel
	.section	.text._ZL28rocblas_dot_batched_4_kernelIiLi32ELi4ELb1E19rocblas_complex_numIdES1_PKPKS1_EviT5_lT_lS6_lS7_liPT4_,"axG",@progbits,_ZL28rocblas_dot_batched_4_kernelIiLi32ELi4ELb1E19rocblas_complex_numIdES1_PKPKS1_EviT5_lT_lS6_lS7_liPT4_,comdat
.Lfunc_end128:
	.size	_ZL28rocblas_dot_batched_4_kernelIiLi32ELi4ELb1E19rocblas_complex_numIdES1_PKPKS1_EviT5_lT_lS6_lS7_liPT4_, .Lfunc_end128-_ZL28rocblas_dot_batched_4_kernelIiLi32ELi4ELb1E19rocblas_complex_numIdES1_PKPKS1_EviT5_lT_lS6_lS7_liPT4_
                                        ; -- End function
	.set _ZL28rocblas_dot_batched_4_kernelIiLi32ELi4ELb1E19rocblas_complex_numIdES1_PKPKS1_EviT5_lT_lS6_lS7_liPT4_.num_vgpr, 22
	.set _ZL28rocblas_dot_batched_4_kernelIiLi32ELi4ELb1E19rocblas_complex_numIdES1_PKPKS1_EviT5_lT_lS6_lS7_liPT4_.num_agpr, 0
	.set _ZL28rocblas_dot_batched_4_kernelIiLi32ELi4ELb1E19rocblas_complex_numIdES1_PKPKS1_EviT5_lT_lS6_lS7_liPT4_.numbered_sgpr, 20
	.set _ZL28rocblas_dot_batched_4_kernelIiLi32ELi4ELb1E19rocblas_complex_numIdES1_PKPKS1_EviT5_lT_lS6_lS7_liPT4_.num_named_barrier, 0
	.set _ZL28rocblas_dot_batched_4_kernelIiLi32ELi4ELb1E19rocblas_complex_numIdES1_PKPKS1_EviT5_lT_lS6_lS7_liPT4_.private_seg_size, 0
	.set _ZL28rocblas_dot_batched_4_kernelIiLi32ELi4ELb1E19rocblas_complex_numIdES1_PKPKS1_EviT5_lT_lS6_lS7_liPT4_.uses_vcc, 1
	.set _ZL28rocblas_dot_batched_4_kernelIiLi32ELi4ELb1E19rocblas_complex_numIdES1_PKPKS1_EviT5_lT_lS6_lS7_liPT4_.uses_flat_scratch, 0
	.set _ZL28rocblas_dot_batched_4_kernelIiLi32ELi4ELb1E19rocblas_complex_numIdES1_PKPKS1_EviT5_lT_lS6_lS7_liPT4_.has_dyn_sized_stack, 0
	.set _ZL28rocblas_dot_batched_4_kernelIiLi32ELi4ELb1E19rocblas_complex_numIdES1_PKPKS1_EviT5_lT_lS6_lS7_liPT4_.has_recursion, 0
	.set _ZL28rocblas_dot_batched_4_kernelIiLi32ELi4ELb1E19rocblas_complex_numIdES1_PKPKS1_EviT5_lT_lS6_lS7_liPT4_.has_indirect_call, 0
	.section	.AMDGPU.csdata,"",@progbits
; Kernel info:
; codeLenInByte = 860
; TotalNumSgprs: 24
; NumVgprs: 22
; ScratchSize: 0
; MemoryBound: 0
; FloatMode: 240
; IeeeMode: 1
; LDSByteSize: 0 bytes/workgroup (compile time only)
; SGPRBlocks: 2
; VGPRBlocks: 5
; NumSGPRsForWavesPerEU: 24
; NumVGPRsForWavesPerEU: 22
; Occupancy: 10
; WaveLimiterHint : 0
; COMPUTE_PGM_RSRC2:SCRATCH_EN: 0
; COMPUTE_PGM_RSRC2:USER_SGPR: 6
; COMPUTE_PGM_RSRC2:TRAP_HANDLER: 0
; COMPUTE_PGM_RSRC2:TGID_X_EN: 1
; COMPUTE_PGM_RSRC2:TGID_Y_EN: 0
; COMPUTE_PGM_RSRC2:TGID_Z_EN: 0
; COMPUTE_PGM_RSRC2:TIDIG_COMP_CNT: 1
	.section	.text._ZL28rocblas_dot_batched_4_kernelIiLi64ELi4ELb1E19rocblas_complex_numIdES1_PKPKS1_EviT5_lT_lS6_lS7_liPT4_,"axG",@progbits,_ZL28rocblas_dot_batched_4_kernelIiLi64ELi4ELb1E19rocblas_complex_numIdES1_PKPKS1_EviT5_lT_lS6_lS7_liPT4_,comdat
	.globl	_ZL28rocblas_dot_batched_4_kernelIiLi64ELi4ELb1E19rocblas_complex_numIdES1_PKPKS1_EviT5_lT_lS6_lS7_liPT4_ ; -- Begin function _ZL28rocblas_dot_batched_4_kernelIiLi64ELi4ELb1E19rocblas_complex_numIdES1_PKPKS1_EviT5_lT_lS6_lS7_liPT4_
	.p2align	8
	.type	_ZL28rocblas_dot_batched_4_kernelIiLi64ELi4ELb1E19rocblas_complex_numIdES1_PKPKS1_EviT5_lT_lS6_lS7_liPT4_,@function
_ZL28rocblas_dot_batched_4_kernelIiLi64ELi4ELb1E19rocblas_complex_numIdES1_PKPKS1_EviT5_lT_lS6_lS7_liPT4_: ; @_ZL28rocblas_dot_batched_4_kernelIiLi64ELi4ELb1E19rocblas_complex_numIdES1_PKPKS1_EviT5_lT_lS6_lS7_liPT4_
; %bb.0:
	s_load_dword s0, s[4:5], 0x48
	v_lshl_add_u32 v1, s6, 2, v1
	s_waitcnt lgkmcnt(0)
	v_cmp_gt_u32_e32 vcc, s0, v1
	s_and_saveexec_b64 s[0:1], vcc
	s_cbranch_execz .LBB129_7
; %bb.1:
	s_load_dword s14, s[4:5], 0x0
	s_load_dwordx2 s[6:7], s[4:5], 0x50
	v_mov_b32_e32 v3, 0
	v_mov_b32_e32 v5, 0
	;; [unrolled: 1-line block ×5, first 2 shown]
	s_waitcnt lgkmcnt(0)
	v_cmp_gt_i32_e32 vcc, s14, v0
	s_and_saveexec_b64 s[12:13], vcc
	s_cbranch_execz .LBB129_5
; %bb.2:
	s_load_dwordx4 s[0:3], s[4:5], 0x8
	s_load_dwordx4 s[8:11], s[4:5], 0x28
	v_lshlrev_b64 v[3:4], 3, v[1:2]
	s_load_dword s16, s[4:5], 0x18
	s_load_dword s18, s[4:5], 0x38
	s_mov_b64 s[4:5], 0
	s_waitcnt lgkmcnt(0)
	v_mov_b32_e32 v9, s1
	v_mov_b32_e32 v6, s9
	v_add_co_u32_e32 v5, vcc, s8, v3
	v_addc_co_u32_e32 v6, vcc, v6, v4, vcc
	global_load_dwordx2 v[7:8], v[5:6], off
	v_add_co_u32_e32 v3, vcc, s0, v3
	v_addc_co_u32_e32 v4, vcc, v9, v4, vcc
	global_load_dwordx2 v[9:10], v[3:4], off
	v_mad_i64_i32 v[11:12], s[0:1], s18, v0, 0
	v_mad_i64_i32 v[13:14], s[8:9], s16, v0, 0
	v_lshlrev_b64 v[11:12], 4, v[11:12]
	s_lshl_b64 s[0:1], s[10:11], 4
	v_mov_b32_e32 v15, s1
	v_lshlrev_b64 v[13:14], 4, v[13:14]
	v_add_co_u32_e32 v11, vcc, s0, v11
	s_lshl_b64 s[10:11], s[2:3], 4
	v_addc_co_u32_e32 v12, vcc, v12, v15, vcc
	v_mov_b32_e32 v16, s11
	v_add_co_u32_e32 v13, vcc, s10, v13
	v_addc_co_u32_e32 v14, vcc, v14, v16, vcc
	v_mov_b32_e32 v3, 0
	v_mov_b32_e32 v5, 0
	s_ashr_i32 s17, s16, 31
	s_ashr_i32 s19, s18, 31
	v_mov_b32_e32 v4, 0
	v_mov_b32_e32 v6, 0
	s_lshl_b64 s[2:3], s[18:19], 10
	s_lshl_b64 s[8:9], s[16:17], 10
	s_waitcnt vmcnt(1)
	v_add_co_u32_e32 v7, vcc, v7, v11
	v_addc_co_u32_e32 v8, vcc, v8, v12, vcc
	v_mov_b32_e32 v11, v0
	s_waitcnt vmcnt(0)
	v_add_co_u32_e32 v9, vcc, v9, v13
	v_addc_co_u32_e32 v10, vcc, v10, v14, vcc
.LBB129_3:                              ; =>This Inner Loop Header: Depth=1
	flat_load_dwordx4 v[12:15], v[9:10]
	flat_load_dwordx4 v[16:19], v[7:8]
	v_add_co_u32_e64 v7, s[0:1], s2, v7
	v_add_u32_e32 v11, 64, v11
	v_add_co_u32_e32 v9, vcc, s8, v9
	s_waitcnt vmcnt(0) lgkmcnt(0)
	v_mul_f64 v[20:21], v[14:15], v[18:19]
	v_mul_f64 v[14:15], v[14:15], v[16:17]
	v_fma_f64 v[20:21], v[12:13], v[16:17], v[20:21]
	v_fma_f64 v[12:13], v[12:13], v[18:19], -v[14:15]
	v_mov_b32_e32 v14, s3
	v_addc_co_u32_e64 v8, s[0:1], v8, v14, s[0:1]
	v_mov_b32_e32 v15, s9
	v_cmp_le_i32_e64 s[0:1], s14, v11
	s_or_b64 s[4:5], s[0:1], s[4:5]
	v_add_f64 v[3:4], v[3:4], v[20:21]
	v_add_f64 v[5:6], v[5:6], v[12:13]
	v_addc_co_u32_e32 v10, vcc, v10, v15, vcc
	s_andn2_b64 exec, exec, s[4:5]
	s_cbranch_execnz .LBB129_3
; %bb.4:
	s_or_b64 exec, exec, s[4:5]
.LBB129_5:
	s_or_b64 exec, exec, s[12:13]
	v_mbcnt_lo_u32_b32 v7, -1, 0
	v_mbcnt_hi_u32_b32 v11, -1, v7
	v_mov_b32_e32 v7, 0x80
	v_lshl_or_b32 v10, v11, 2, v7
	ds_bpermute_b32 v7, v10, v3
	ds_bpermute_b32 v8, v10, v4
	;; [unrolled: 1-line block ×4, first 2 shown]
	v_and_b32_e32 v12, 63, v11
	v_cmp_gt_u32_e32 vcc, 48, v12
	s_waitcnt lgkmcnt(2)
	v_add_f64 v[3:4], v[3:4], v[7:8]
	v_cndmask_b32_e64 v7, 0, 16, vcc
	s_waitcnt lgkmcnt(0)
	v_add_f64 v[5:6], v[5:6], v[9:10]
	v_add_lshl_u32 v10, v7, v11, 2
	v_cmp_gt_u32_e32 vcc, 56, v12
	s_barrier
	ds_bpermute_b32 v7, v10, v3
	ds_bpermute_b32 v8, v10, v4
	;; [unrolled: 1-line block ×4, first 2 shown]
	s_waitcnt lgkmcnt(2)
	v_add_f64 v[3:4], v[3:4], v[7:8]
	v_cndmask_b32_e64 v7, 0, 8, vcc
	s_waitcnt lgkmcnt(0)
	v_add_f64 v[5:6], v[5:6], v[9:10]
	v_add_lshl_u32 v10, v7, v11, 2
	v_cmp_gt_u32_e32 vcc, 60, v12
	ds_bpermute_b32 v7, v10, v3
	ds_bpermute_b32 v8, v10, v4
	;; [unrolled: 1-line block ×4, first 2 shown]
	s_waitcnt lgkmcnt(2)
	v_add_f64 v[3:4], v[3:4], v[7:8]
	v_cndmask_b32_e64 v7, 0, 4, vcc
	s_waitcnt lgkmcnt(0)
	v_add_f64 v[5:6], v[5:6], v[9:10]
	v_add_lshl_u32 v10, v7, v11, 2
	v_cmp_gt_u32_e32 vcc, 62, v12
	ds_bpermute_b32 v7, v10, v3
	ds_bpermute_b32 v8, v10, v4
	;; [unrolled: 1-line block ×4, first 2 shown]
	s_waitcnt lgkmcnt(2)
	v_add_f64 v[3:4], v[3:4], v[7:8]
	v_cndmask_b32_e64 v7, 0, 2, vcc
	s_waitcnt lgkmcnt(0)
	v_add_f64 v[5:6], v[5:6], v[9:10]
	v_add_lshl_u32 v10, v7, v11, 2
	v_cmp_ne_u32_e32 vcc, 63, v12
	ds_bpermute_b32 v7, v10, v3
	ds_bpermute_b32 v8, v10, v4
	ds_bpermute_b32 v9, v10, v5
	ds_bpermute_b32 v10, v10, v6
	s_waitcnt lgkmcnt(2)
	v_add_f64 v[3:4], v[3:4], v[7:8]
	v_addc_co_u32_e32 v7, vcc, 0, v11, vcc
	s_waitcnt lgkmcnt(0)
	v_add_f64 v[5:6], v[5:6], v[9:10]
	v_lshlrev_b32_e32 v10, 2, v7
	v_cmp_eq_u32_e32 vcc, 0, v0
	ds_bpermute_b32 v7, v10, v3
	ds_bpermute_b32 v8, v10, v4
	;; [unrolled: 1-line block ×4, first 2 shown]
	s_and_b64 exec, exec, vcc
	s_cbranch_execz .LBB129_7
; %bb.6:
	s_waitcnt lgkmcnt(0)
	v_add_f64 v[5:6], v[5:6], v[9:10]
	v_add_f64 v[3:4], v[3:4], v[7:8]
	v_lshlrev_b64 v[0:1], 4, v[1:2]
	v_mov_b32_e32 v2, s7
	v_add_co_u32_e32 v0, vcc, s6, v0
	v_addc_co_u32_e32 v1, vcc, v2, v1, vcc
	global_store_dwordx4 v[0:1], v[3:6], off
.LBB129_7:
	s_endpgm
	.section	.rodata,"a",@progbits
	.p2align	6, 0x0
	.amdhsa_kernel _ZL28rocblas_dot_batched_4_kernelIiLi64ELi4ELb1E19rocblas_complex_numIdES1_PKPKS1_EviT5_lT_lS6_lS7_liPT4_
		.amdhsa_group_segment_fixed_size 0
		.amdhsa_private_segment_fixed_size 0
		.amdhsa_kernarg_size 88
		.amdhsa_user_sgpr_count 6
		.amdhsa_user_sgpr_private_segment_buffer 1
		.amdhsa_user_sgpr_dispatch_ptr 0
		.amdhsa_user_sgpr_queue_ptr 0
		.amdhsa_user_sgpr_kernarg_segment_ptr 1
		.amdhsa_user_sgpr_dispatch_id 0
		.amdhsa_user_sgpr_flat_scratch_init 0
		.amdhsa_user_sgpr_private_segment_size 0
		.amdhsa_uses_dynamic_stack 0
		.amdhsa_system_sgpr_private_segment_wavefront_offset 0
		.amdhsa_system_sgpr_workgroup_id_x 1
		.amdhsa_system_sgpr_workgroup_id_y 0
		.amdhsa_system_sgpr_workgroup_id_z 0
		.amdhsa_system_sgpr_workgroup_info 0
		.amdhsa_system_vgpr_workitem_id 1
		.amdhsa_next_free_vgpr 22
		.amdhsa_next_free_sgpr 20
		.amdhsa_reserve_vcc 1
		.amdhsa_reserve_flat_scratch 0
		.amdhsa_float_round_mode_32 0
		.amdhsa_float_round_mode_16_64 0
		.amdhsa_float_denorm_mode_32 3
		.amdhsa_float_denorm_mode_16_64 3
		.amdhsa_dx10_clamp 1
		.amdhsa_ieee_mode 1
		.amdhsa_fp16_overflow 0
		.amdhsa_exception_fp_ieee_invalid_op 0
		.amdhsa_exception_fp_denorm_src 0
		.amdhsa_exception_fp_ieee_div_zero 0
		.amdhsa_exception_fp_ieee_overflow 0
		.amdhsa_exception_fp_ieee_underflow 0
		.amdhsa_exception_fp_ieee_inexact 0
		.amdhsa_exception_int_div_zero 0
	.end_amdhsa_kernel
	.section	.text._ZL28rocblas_dot_batched_4_kernelIiLi64ELi4ELb1E19rocblas_complex_numIdES1_PKPKS1_EviT5_lT_lS6_lS7_liPT4_,"axG",@progbits,_ZL28rocblas_dot_batched_4_kernelIiLi64ELi4ELb1E19rocblas_complex_numIdES1_PKPKS1_EviT5_lT_lS6_lS7_liPT4_,comdat
.Lfunc_end129:
	.size	_ZL28rocblas_dot_batched_4_kernelIiLi64ELi4ELb1E19rocblas_complex_numIdES1_PKPKS1_EviT5_lT_lS6_lS7_liPT4_, .Lfunc_end129-_ZL28rocblas_dot_batched_4_kernelIiLi64ELi4ELb1E19rocblas_complex_numIdES1_PKPKS1_EviT5_lT_lS6_lS7_liPT4_
                                        ; -- End function
	.set _ZL28rocblas_dot_batched_4_kernelIiLi64ELi4ELb1E19rocblas_complex_numIdES1_PKPKS1_EviT5_lT_lS6_lS7_liPT4_.num_vgpr, 22
	.set _ZL28rocblas_dot_batched_4_kernelIiLi64ELi4ELb1E19rocblas_complex_numIdES1_PKPKS1_EviT5_lT_lS6_lS7_liPT4_.num_agpr, 0
	.set _ZL28rocblas_dot_batched_4_kernelIiLi64ELi4ELb1E19rocblas_complex_numIdES1_PKPKS1_EviT5_lT_lS6_lS7_liPT4_.numbered_sgpr, 20
	.set _ZL28rocblas_dot_batched_4_kernelIiLi64ELi4ELb1E19rocblas_complex_numIdES1_PKPKS1_EviT5_lT_lS6_lS7_liPT4_.num_named_barrier, 0
	.set _ZL28rocblas_dot_batched_4_kernelIiLi64ELi4ELb1E19rocblas_complex_numIdES1_PKPKS1_EviT5_lT_lS6_lS7_liPT4_.private_seg_size, 0
	.set _ZL28rocblas_dot_batched_4_kernelIiLi64ELi4ELb1E19rocblas_complex_numIdES1_PKPKS1_EviT5_lT_lS6_lS7_liPT4_.uses_vcc, 1
	.set _ZL28rocblas_dot_batched_4_kernelIiLi64ELi4ELb1E19rocblas_complex_numIdES1_PKPKS1_EviT5_lT_lS6_lS7_liPT4_.uses_flat_scratch, 0
	.set _ZL28rocblas_dot_batched_4_kernelIiLi64ELi4ELb1E19rocblas_complex_numIdES1_PKPKS1_EviT5_lT_lS6_lS7_liPT4_.has_dyn_sized_stack, 0
	.set _ZL28rocblas_dot_batched_4_kernelIiLi64ELi4ELb1E19rocblas_complex_numIdES1_PKPKS1_EviT5_lT_lS6_lS7_liPT4_.has_recursion, 0
	.set _ZL28rocblas_dot_batched_4_kernelIiLi64ELi4ELb1E19rocblas_complex_numIdES1_PKPKS1_EviT5_lT_lS6_lS7_liPT4_.has_indirect_call, 0
	.section	.AMDGPU.csdata,"",@progbits
; Kernel info:
; codeLenInByte = 936
; TotalNumSgprs: 24
; NumVgprs: 22
; ScratchSize: 0
; MemoryBound: 0
; FloatMode: 240
; IeeeMode: 1
; LDSByteSize: 0 bytes/workgroup (compile time only)
; SGPRBlocks: 2
; VGPRBlocks: 5
; NumSGPRsForWavesPerEU: 24
; NumVGPRsForWavesPerEU: 22
; Occupancy: 10
; WaveLimiterHint : 0
; COMPUTE_PGM_RSRC2:SCRATCH_EN: 0
; COMPUTE_PGM_RSRC2:USER_SGPR: 6
; COMPUTE_PGM_RSRC2:TRAP_HANDLER: 0
; COMPUTE_PGM_RSRC2:TGID_X_EN: 1
; COMPUTE_PGM_RSRC2:TGID_Y_EN: 0
; COMPUTE_PGM_RSRC2:TGID_Z_EN: 0
; COMPUTE_PGM_RSRC2:TIDIG_COMP_CNT: 1
	.section	.text._ZL26rocblas_dot_kernel_inc1by2ILb1ELi1024ELi32ELb1E19rocblas_complex_numIdEPKPKS1_S1_EviT4_llS6_lliPT5_PT3_,"axG",@progbits,_ZL26rocblas_dot_kernel_inc1by2ILb1ELi1024ELi32ELb1E19rocblas_complex_numIdEPKPKS1_S1_EviT4_llS6_lliPT5_PT3_,comdat
	.globl	_ZL26rocblas_dot_kernel_inc1by2ILb1ELi1024ELi32ELb1E19rocblas_complex_numIdEPKPKS1_S1_EviT4_llS6_lliPT5_PT3_ ; -- Begin function _ZL26rocblas_dot_kernel_inc1by2ILb1ELi1024ELi32ELb1E19rocblas_complex_numIdEPKPKS1_S1_EviT4_llS6_lliPT5_PT3_
	.p2align	8
	.type	_ZL26rocblas_dot_kernel_inc1by2ILb1ELi1024ELi32ELb1E19rocblas_complex_numIdEPKPKS1_S1_EviT4_llS6_lliPT5_PT3_,@function
_ZL26rocblas_dot_kernel_inc1by2ILb1ELi1024ELi32ELb1E19rocblas_complex_numIdEPKPKS1_S1_EviT4_llS6_lliPT5_PT3_: ; @_ZL26rocblas_dot_kernel_inc1by2ILb1ELi1024ELi32ELb1E19rocblas_complex_numIdEPKPKS1_S1_EviT4_llS6_lliPT5_PT3_
; %bb.0:
	s_mov_b32 s2, s7
	s_load_dword s10, s[4:5], 0x0
	s_load_dwordx2 s[6:7], s[4:5], 0x48
	v_mov_b32_e32 v1, 0
	v_mov_b32_e32 v3, 0
	s_mov_b32 s3, 0
	v_mov_b32_e32 v2, 0
	v_mov_b32_e32 v4, 0
	s_waitcnt lgkmcnt(0)
	v_cmp_gt_i32_e32 vcc, s10, v0
	s_and_saveexec_b64 s[8:9], vcc
	s_cbranch_execz .LBB130_4
; %bb.1:
	s_load_dwordx4 s[12:15], s[4:5], 0x8
	s_load_dwordx4 s[16:19], s[4:5], 0x20
	s_lshl_b64 s[0:1], s[2:3], 3
	v_lshlrev_b32_e32 v1, 4, v0
	v_mov_b32_e32 v3, 0
	s_waitcnt lgkmcnt(0)
	s_add_u32 s4, s12, s0
	s_addc_u32 s5, s13, s1
	s_add_u32 s0, s16, s0
	s_addc_u32 s1, s17, s1
	s_load_dwordx2 s[0:1], s[0:1], 0x0
	s_lshl_b64 s[12:13], s[18:19], 4
	s_load_dwordx2 s[4:5], s[4:5], 0x0
	v_or_b32_e32 v9, 0x400, v0
	v_mov_b32_e32 v4, 0
	s_waitcnt lgkmcnt(0)
	s_add_u32 s0, s0, s12
	s_addc_u32 s1, s1, s13
	v_mov_b32_e32 v2, s1
	v_add_co_u32_e32 v5, vcc, s0, v1
	s_lshl_b64 s[0:1], s[14:15], 4
	s_add_u32 s0, s4, s0
	v_addc_co_u32_e32 v6, vcc, 0, v2, vcc
	s_addc_u32 s1, s5, s1
	v_mov_b32_e32 v2, s1
	v_add_co_u32_e32 v7, vcc, s0, v1
	v_addc_co_u32_e32 v8, vcc, 0, v2, vcc
	v_mov_b32_e32 v1, 0
	v_mov_b32_e32 v2, 0
	s_mov_b64 s[4:5], 0
	s_mov_b32 s11, s3
.LBB130_2:                              ; =>This Inner Loop Header: Depth=1
	flat_load_dwordx4 v[10:13], v[5:6]
	flat_load_dwordx4 v[14:17], v[7:8]
	s_add_i32 s12, s11, 1
	s_cmp_gt_u32 s11, 30
	v_cmp_le_i32_e64 s[0:1], s10, v9
	v_add_co_u32_e32 v5, vcc, 0x4000, v5
	s_mov_b32 s11, s12
	s_cselect_b64 s[12:13], -1, 0
	v_addc_co_u32_e32 v6, vcc, 0, v6, vcc
	s_or_b64 s[0:1], s[12:13], s[0:1]
	v_add_co_u32_e32 v7, vcc, 0x4000, v7
	s_and_b64 s[0:1], exec, s[0:1]
	v_add_u32_e32 v9, 0x400, v9
	s_or_b64 s[4:5], s[0:1], s[4:5]
	v_addc_co_u32_e32 v8, vcc, 0, v8, vcc
	s_waitcnt vmcnt(0) lgkmcnt(0)
	v_mul_f64 v[18:19], v[12:13], v[16:17]
	v_fma_f64 v[18:19], v[10:11], v[14:15], v[18:19]
	v_mul_f64 v[10:11], v[10:11], v[16:17]
	v_add_f64 v[3:4], v[3:4], v[18:19]
	v_fma_f64 v[10:11], v[12:13], v[14:15], -v[10:11]
	v_add_f64 v[1:2], v[1:2], v[10:11]
	s_andn2_b64 exec, exec, s[4:5]
	s_cbranch_execnz .LBB130_2
; %bb.3:
	s_or_b64 exec, exec, s[4:5]
.LBB130_4:
	s_or_b64 exec, exec, s[8:9]
	v_and_b32_e32 v14, 63, v0
	v_cmp_gt_u32_e32 vcc, 64, v0
	v_lshlrev_b32_e32 v9, 4, v14
	s_and_saveexec_b64 s[0:1], vcc
; %bb.5:
	v_mov_b32_e32 v5, 0
	v_mov_b32_e32 v6, v5
	;; [unrolled: 1-line block ×4, first 2 shown]
	ds_write_b128 v9, v[5:8]
; %bb.6:
	s_or_b64 exec, exec, s[0:1]
	v_mbcnt_lo_u32_b32 v5, -1, 0
	v_mbcnt_hi_u32_b32 v13, -1, v5
	v_mov_b32_e32 v5, 0x80
	v_lshl_or_b32 v8, v13, 2, v5
	ds_bpermute_b32 v5, v8, v3
	ds_bpermute_b32 v6, v8, v4
	;; [unrolled: 1-line block ×4, first 2 shown]
	v_and_b32_e32 v15, 63, v13
	v_cmp_gt_u32_e64 s[0:1], 48, v15
	s_waitcnt lgkmcnt(2)
	v_add_f64 v[3:4], v[3:4], v[5:6]
	v_cndmask_b32_e64 v5, 0, 16, s[0:1]
	s_waitcnt lgkmcnt(0)
	v_add_f64 v[1:2], v[1:2], v[7:8]
	v_add_lshl_u32 v8, v5, v13, 2
	v_cmp_gt_u32_e64 s[0:1], 56, v15
	s_barrier
	ds_bpermute_b32 v5, v8, v3
	ds_bpermute_b32 v6, v8, v4
	;; [unrolled: 1-line block ×4, first 2 shown]
	s_waitcnt lgkmcnt(2)
	v_add_f64 v[3:4], v[3:4], v[5:6]
	v_cndmask_b32_e64 v5, 0, 8, s[0:1]
	s_waitcnt lgkmcnt(0)
	v_add_f64 v[1:2], v[1:2], v[7:8]
	v_add_lshl_u32 v10, v5, v13, 2
	v_cmp_gt_u32_e64 s[0:1], 60, v15
	ds_bpermute_b32 v5, v10, v3
	ds_bpermute_b32 v6, v10, v4
	;; [unrolled: 1-line block ×4, first 2 shown]
	s_waitcnt lgkmcnt(2)
	v_add_f64 v[3:4], v[3:4], v[5:6]
	v_cndmask_b32_e64 v5, 0, 4, s[0:1]
	s_waitcnt lgkmcnt(0)
	v_add_f64 v[1:2], v[1:2], v[7:8]
	v_add_lshl_u32 v11, v5, v13, 2
	v_cmp_gt_u32_e64 s[0:1], 62, v15
	ds_bpermute_b32 v5, v11, v3
	ds_bpermute_b32 v6, v11, v4
	;; [unrolled: 1-line block ×4, first 2 shown]
	s_waitcnt lgkmcnt(2)
	v_add_f64 v[3:4], v[3:4], v[5:6]
	s_waitcnt lgkmcnt(0)
	v_add_f64 v[5:6], v[1:2], v[7:8]
	v_cndmask_b32_e64 v1, 0, 2, s[0:1]
	v_add_lshl_u32 v12, v1, v13, 2
	v_cmp_ne_u32_e64 s[0:1], 63, v15
	ds_bpermute_b32 v1, v12, v3
	ds_bpermute_b32 v2, v12, v4
	;; [unrolled: 1-line block ×4, first 2 shown]
	s_waitcnt lgkmcnt(2)
	v_add_f64 v[1:2], v[3:4], v[1:2]
	s_waitcnt lgkmcnt(0)
	v_add_f64 v[3:4], v[5:6], v[7:8]
	v_addc_co_u32_e64 v5, s[0:1], 0, v13, s[0:1]
	v_lshlrev_b32_e32 v13, 2, v5
	v_cmp_eq_u32_e64 s[0:1], 0, v14
	ds_bpermute_b32 v5, v13, v1
	ds_bpermute_b32 v6, v13, v2
	;; [unrolled: 1-line block ×4, first 2 shown]
	s_and_saveexec_b64 s[4:5], s[0:1]
	s_cbranch_execz .LBB130_8
; %bb.7:
	s_waitcnt lgkmcnt(0)
	v_add_f64 v[3:4], v[3:4], v[7:8]
	v_add_f64 v[1:2], v[1:2], v[5:6]
	v_lshrrev_b32_e32 v5, 2, v0
	v_and_b32_e32 v5, 0xf0, v5
	ds_write_b128 v5, v[1:4]
.LBB130_8:
	s_or_b64 exec, exec, s[4:5]
	v_mov_b32_e32 v3, 0
	v_mov_b32_e32 v1, 0
	;; [unrolled: 1-line block ×4, first 2 shown]
	v_cmp_gt_u32_e64 s[0:1], 16, v0
	s_waitcnt lgkmcnt(0)
	s_barrier
	s_and_saveexec_b64 s[4:5], s[0:1]
	s_cbranch_execnz .LBB130_12
; %bb.9:
	s_or_b64 exec, exec, s[4:5]
	s_and_saveexec_b64 s[0:1], vcc
	s_cbranch_execnz .LBB130_13
.LBB130_10:
	s_or_b64 exec, exec, s[0:1]
	v_cmp_eq_u32_e32 vcc, 0, v0
	s_and_saveexec_b64 s[0:1], vcc
	s_cbranch_execnz .LBB130_14
.LBB130_11:
	s_endpgm
.LBB130_12:
	ds_read_b128 v[1:4], v9
	s_or_b64 exec, exec, s[4:5]
	s_and_saveexec_b64 s[0:1], vcc
	s_cbranch_execz .LBB130_10
.LBB130_13:
	s_waitcnt lgkmcnt(0)
	ds_bpermute_b32 v5, v10, v1
	ds_bpermute_b32 v6, v10, v2
	ds_bpermute_b32 v7, v10, v3
	ds_bpermute_b32 v8, v10, v4
	s_waitcnt lgkmcnt(2)
	v_add_f64 v[1:2], v[1:2], v[5:6]
	s_waitcnt lgkmcnt(0)
	v_add_f64 v[3:4], v[3:4], v[7:8]
	ds_bpermute_b32 v5, v11, v1
	ds_bpermute_b32 v6, v11, v2
	ds_bpermute_b32 v7, v11, v3
	ds_bpermute_b32 v8, v11, v4
	s_waitcnt lgkmcnt(2)
	v_add_f64 v[1:2], v[1:2], v[5:6]
	s_waitcnt lgkmcnt(0)
	v_add_f64 v[3:4], v[3:4], v[7:8]
	;; [unrolled: 8-line block ×4, first 2 shown]
	s_or_b64 exec, exec, s[0:1]
	v_cmp_eq_u32_e32 vcc, 0, v0
	s_and_saveexec_b64 s[0:1], vcc
	s_cbranch_execz .LBB130_11
.LBB130_14:
	s_lshl_b64 s[0:1], s[2:3], 4
	s_add_u32 s0, s6, s0
	s_addc_u32 s1, s7, s1
	v_mov_b32_e32 v0, 0
	s_waitcnt lgkmcnt(0)
	global_store_dwordx4 v0, v[1:4], s[0:1]
	s_endpgm
	.section	.rodata,"a",@progbits
	.p2align	6, 0x0
	.amdhsa_kernel _ZL26rocblas_dot_kernel_inc1by2ILb1ELi1024ELi32ELb1E19rocblas_complex_numIdEPKPKS1_S1_EviT4_llS6_lliPT5_PT3_
		.amdhsa_group_segment_fixed_size 1024
		.amdhsa_private_segment_fixed_size 0
		.amdhsa_kernarg_size 80
		.amdhsa_user_sgpr_count 6
		.amdhsa_user_sgpr_private_segment_buffer 1
		.amdhsa_user_sgpr_dispatch_ptr 0
		.amdhsa_user_sgpr_queue_ptr 0
		.amdhsa_user_sgpr_kernarg_segment_ptr 1
		.amdhsa_user_sgpr_dispatch_id 0
		.amdhsa_user_sgpr_flat_scratch_init 0
		.amdhsa_user_sgpr_private_segment_size 0
		.amdhsa_uses_dynamic_stack 0
		.amdhsa_system_sgpr_private_segment_wavefront_offset 0
		.amdhsa_system_sgpr_workgroup_id_x 1
		.amdhsa_system_sgpr_workgroup_id_y 0
		.amdhsa_system_sgpr_workgroup_id_z 1
		.amdhsa_system_sgpr_workgroup_info 0
		.amdhsa_system_vgpr_workitem_id 0
		.amdhsa_next_free_vgpr 20
		.amdhsa_next_free_sgpr 20
		.amdhsa_reserve_vcc 1
		.amdhsa_reserve_flat_scratch 0
		.amdhsa_float_round_mode_32 0
		.amdhsa_float_round_mode_16_64 0
		.amdhsa_float_denorm_mode_32 3
		.amdhsa_float_denorm_mode_16_64 3
		.amdhsa_dx10_clamp 1
		.amdhsa_ieee_mode 1
		.amdhsa_fp16_overflow 0
		.amdhsa_exception_fp_ieee_invalid_op 0
		.amdhsa_exception_fp_denorm_src 0
		.amdhsa_exception_fp_ieee_div_zero 0
		.amdhsa_exception_fp_ieee_overflow 0
		.amdhsa_exception_fp_ieee_underflow 0
		.amdhsa_exception_fp_ieee_inexact 0
		.amdhsa_exception_int_div_zero 0
	.end_amdhsa_kernel
	.section	.text._ZL26rocblas_dot_kernel_inc1by2ILb1ELi1024ELi32ELb1E19rocblas_complex_numIdEPKPKS1_S1_EviT4_llS6_lliPT5_PT3_,"axG",@progbits,_ZL26rocblas_dot_kernel_inc1by2ILb1ELi1024ELi32ELb1E19rocblas_complex_numIdEPKPKS1_S1_EviT4_llS6_lliPT5_PT3_,comdat
.Lfunc_end130:
	.size	_ZL26rocblas_dot_kernel_inc1by2ILb1ELi1024ELi32ELb1E19rocblas_complex_numIdEPKPKS1_S1_EviT4_llS6_lliPT5_PT3_, .Lfunc_end130-_ZL26rocblas_dot_kernel_inc1by2ILb1ELi1024ELi32ELb1E19rocblas_complex_numIdEPKPKS1_S1_EviT4_llS6_lliPT5_PT3_
                                        ; -- End function
	.set _ZL26rocblas_dot_kernel_inc1by2ILb1ELi1024ELi32ELb1E19rocblas_complex_numIdEPKPKS1_S1_EviT4_llS6_lliPT5_PT3_.num_vgpr, 20
	.set _ZL26rocblas_dot_kernel_inc1by2ILb1ELi1024ELi32ELb1E19rocblas_complex_numIdEPKPKS1_S1_EviT4_llS6_lliPT5_PT3_.num_agpr, 0
	.set _ZL26rocblas_dot_kernel_inc1by2ILb1ELi1024ELi32ELb1E19rocblas_complex_numIdEPKPKS1_S1_EviT4_llS6_lliPT5_PT3_.numbered_sgpr, 20
	.set _ZL26rocblas_dot_kernel_inc1by2ILb1ELi1024ELi32ELb1E19rocblas_complex_numIdEPKPKS1_S1_EviT4_llS6_lliPT5_PT3_.num_named_barrier, 0
	.set _ZL26rocblas_dot_kernel_inc1by2ILb1ELi1024ELi32ELb1E19rocblas_complex_numIdEPKPKS1_S1_EviT4_llS6_lliPT5_PT3_.private_seg_size, 0
	.set _ZL26rocblas_dot_kernel_inc1by2ILb1ELi1024ELi32ELb1E19rocblas_complex_numIdEPKPKS1_S1_EviT4_llS6_lliPT5_PT3_.uses_vcc, 1
	.set _ZL26rocblas_dot_kernel_inc1by2ILb1ELi1024ELi32ELb1E19rocblas_complex_numIdEPKPKS1_S1_EviT4_llS6_lliPT5_PT3_.uses_flat_scratch, 0
	.set _ZL26rocblas_dot_kernel_inc1by2ILb1ELi1024ELi32ELb1E19rocblas_complex_numIdEPKPKS1_S1_EviT4_llS6_lliPT5_PT3_.has_dyn_sized_stack, 0
	.set _ZL26rocblas_dot_kernel_inc1by2ILb1ELi1024ELi32ELb1E19rocblas_complex_numIdEPKPKS1_S1_EviT4_llS6_lliPT5_PT3_.has_recursion, 0
	.set _ZL26rocblas_dot_kernel_inc1by2ILb1ELi1024ELi32ELb1E19rocblas_complex_numIdEPKPKS1_S1_EviT4_llS6_lliPT5_PT3_.has_indirect_call, 0
	.section	.AMDGPU.csdata,"",@progbits
; Kernel info:
; codeLenInByte = 1292
; TotalNumSgprs: 24
; NumVgprs: 20
; ScratchSize: 0
; MemoryBound: 0
; FloatMode: 240
; IeeeMode: 1
; LDSByteSize: 1024 bytes/workgroup (compile time only)
; SGPRBlocks: 2
; VGPRBlocks: 4
; NumSGPRsForWavesPerEU: 24
; NumVGPRsForWavesPerEU: 20
; Occupancy: 10
; WaveLimiterHint : 0
; COMPUTE_PGM_RSRC2:SCRATCH_EN: 0
; COMPUTE_PGM_RSRC2:USER_SGPR: 6
; COMPUTE_PGM_RSRC2:TRAP_HANDLER: 0
; COMPUTE_PGM_RSRC2:TGID_X_EN: 1
; COMPUTE_PGM_RSRC2:TGID_Y_EN: 0
; COMPUTE_PGM_RSRC2:TGID_Z_EN: 1
; COMPUTE_PGM_RSRC2:TIDIG_COMP_CNT: 0
	.section	.text._ZL18rocblas_dot_kernelIiLb1ELi1024ELi32ELb1E19rocblas_complex_numIdEPKPKS1_S1_EviT5_lT_lS6_lS7_liPT6_PT4_,"axG",@progbits,_ZL18rocblas_dot_kernelIiLb1ELi1024ELi32ELb1E19rocblas_complex_numIdEPKPKS1_S1_EviT5_lT_lS6_lS7_liPT6_PT4_,comdat
	.globl	_ZL18rocblas_dot_kernelIiLb1ELi1024ELi32ELb1E19rocblas_complex_numIdEPKPKS1_S1_EviT5_lT_lS6_lS7_liPT6_PT4_ ; -- Begin function _ZL18rocblas_dot_kernelIiLb1ELi1024ELi32ELb1E19rocblas_complex_numIdEPKPKS1_S1_EviT5_lT_lS6_lS7_liPT6_PT4_
	.p2align	8
	.type	_ZL18rocblas_dot_kernelIiLb1ELi1024ELi32ELb1E19rocblas_complex_numIdEPKPKS1_S1_EviT5_lT_lS6_lS7_liPT6_PT4_,@function
_ZL18rocblas_dot_kernelIiLb1ELi1024ELi32ELb1E19rocblas_complex_numIdEPKPKS1_S1_EviT5_lT_lS6_lS7_liPT6_PT4_: ; @_ZL18rocblas_dot_kernelIiLb1ELi1024ELi32ELb1E19rocblas_complex_numIdEPKPKS1_S1_EviT5_lT_lS6_lS7_liPT6_PT4_
; %bb.0:
	s_load_dword s14, s[4:5], 0x0
	s_load_dwordx2 s[8:9], s[4:5], 0x58
	v_mov_b32_e32 v1, 0
	v_mov_b32_e32 v3, 0
	s_mov_b32 s6, s7
	s_mov_b32 s7, 0
	v_mov_b32_e32 v2, 0
	v_mov_b32_e32 v4, 0
	s_waitcnt lgkmcnt(0)
	v_cmp_gt_i32_e32 vcc, s14, v0
	s_and_saveexec_b64 s[10:11], vcc
	s_cbranch_execz .LBB131_4
; %bb.1:
	s_load_dwordx4 s[16:19], s[4:5], 0x8
	s_load_dwordx4 s[0:3], s[4:5], 0x28
	s_load_dword s22, s[4:5], 0x18
	s_lshl_b64 s[12:13], s[6:7], 3
	s_waitcnt lgkmcnt(0)
	s_add_u32 s16, s16, s12
	s_addc_u32 s17, s17, s13
	s_load_dwordx2 s[20:21], s[16:17], 0x0
	s_load_dword s23, s[4:5], 0x38
	s_load_dword s15, s[4:5], 0x60
	v_mad_i64_i32 v[1:2], s[4:5], s22, v0, 0
	s_add_u32 s0, s0, s12
	s_addc_u32 s1, s1, s13
	s_waitcnt lgkmcnt(0)
	s_lshl_b32 s15, s15, 10
	s_lshl_b64 s[4:5], s[18:19], 4
	v_lshlrev_b64 v[1:2], 4, v[1:2]
	s_add_u32 s4, s20, s4
	s_addc_u32 s5, s21, s5
	s_load_dwordx2 s[0:1], s[0:1], 0x0
	v_mov_b32_e32 v3, s5
	v_add_co_u32_e32 v5, vcc, s4, v1
	v_addc_co_u32_e32 v6, vcc, v3, v2, vcc
	v_mad_i64_i32 v[1:2], s[4:5], s23, v0, 0
	s_mul_hi_i32 s5, s22, s15
	s_mul_i32 s4, s22, s15
	s_lshl_b64 s[4:5], s[4:5], 4
	s_lshl_b64 s[2:3], s[2:3], 4
	v_lshlrev_b64 v[1:2], 4, v[1:2]
	s_waitcnt lgkmcnt(0)
	s_add_u32 s0, s0, s2
	s_addc_u32 s1, s1, s3
	v_mov_b32_e32 v3, s1
	v_add_co_u32_e32 v7, vcc, s0, v1
	s_mul_hi_i32 s1, s23, s15
	s_mul_i32 s0, s23, s15
	v_addc_co_u32_e32 v8, vcc, v3, v2, vcc
	s_lshl_b64 s[2:3], s[0:1], 4
	v_mov_b32_e32 v1, 0
	v_mov_b32_e32 v3, 0
	v_or_b32_e32 v9, s15, v0
	v_mov_b32_e32 v2, 0
	s_mov_b64 s[12:13], 0
	v_mov_b32_e32 v10, s5
	v_mov_b32_e32 v11, s3
	;; [unrolled: 1-line block ×3, first 2 shown]
	s_mov_b32 s3, s7
.LBB131_2:                              ; =>This Inner Loop Header: Depth=1
	flat_load_dwordx4 v[12:15], v[7:8]
	flat_load_dwordx4 v[16:19], v[5:6]
	v_add_co_u32_e64 v5, s[0:1], s4, v5
	v_addc_co_u32_e64 v6, s[0:1], v6, v10, s[0:1]
	s_add_i32 s5, s3, 1
	v_add_co_u32_e64 v7, s[0:1], s2, v7
	v_addc_co_u32_e64 v8, s[0:1], v8, v11, s[0:1]
	s_cmp_gt_u32 s3, 30
	v_cmp_le_i32_e32 vcc, s14, v9
	s_cselect_b64 s[0:1], -1, 0
	s_or_b64 s[0:1], s[0:1], vcc
	s_and_b64 s[0:1], exec, s[0:1]
	v_add_u32_e32 v9, s15, v9
	s_or_b64 s[12:13], s[0:1], s[12:13]
	s_mov_b32 s3, s5
	s_waitcnt vmcnt(0) lgkmcnt(0)
	v_mul_f64 v[20:21], v[14:15], v[18:19]
	v_fma_f64 v[20:21], v[12:13], v[16:17], v[20:21]
	v_mul_f64 v[12:13], v[12:13], v[18:19]
	v_add_f64 v[3:4], v[3:4], v[20:21]
	v_fma_f64 v[12:13], v[14:15], v[16:17], -v[12:13]
	v_add_f64 v[1:2], v[1:2], v[12:13]
	s_andn2_b64 exec, exec, s[12:13]
	s_cbranch_execnz .LBB131_2
; %bb.3:
	s_or_b64 exec, exec, s[12:13]
.LBB131_4:
	s_or_b64 exec, exec, s[10:11]
	v_and_b32_e32 v14, 63, v0
	v_cmp_gt_u32_e32 vcc, 64, v0
	v_lshlrev_b32_e32 v9, 4, v14
	s_and_saveexec_b64 s[0:1], vcc
; %bb.5:
	v_mov_b32_e32 v5, 0
	v_mov_b32_e32 v6, v5
	;; [unrolled: 1-line block ×4, first 2 shown]
	ds_write_b128 v9, v[5:8]
; %bb.6:
	s_or_b64 exec, exec, s[0:1]
	v_mbcnt_lo_u32_b32 v5, -1, 0
	v_mbcnt_hi_u32_b32 v13, -1, v5
	v_mov_b32_e32 v5, 0x80
	v_lshl_or_b32 v8, v13, 2, v5
	ds_bpermute_b32 v5, v8, v3
	ds_bpermute_b32 v6, v8, v4
	;; [unrolled: 1-line block ×4, first 2 shown]
	v_and_b32_e32 v15, 63, v13
	v_cmp_gt_u32_e64 s[0:1], 48, v15
	s_waitcnt lgkmcnt(2)
	v_add_f64 v[3:4], v[3:4], v[5:6]
	v_cndmask_b32_e64 v5, 0, 16, s[0:1]
	s_waitcnt lgkmcnt(0)
	v_add_f64 v[1:2], v[1:2], v[7:8]
	v_add_lshl_u32 v8, v5, v13, 2
	v_cmp_gt_u32_e64 s[0:1], 56, v15
	s_barrier
	ds_bpermute_b32 v5, v8, v3
	ds_bpermute_b32 v6, v8, v4
	;; [unrolled: 1-line block ×4, first 2 shown]
	s_waitcnt lgkmcnt(2)
	v_add_f64 v[3:4], v[3:4], v[5:6]
	v_cndmask_b32_e64 v5, 0, 8, s[0:1]
	s_waitcnt lgkmcnt(0)
	v_add_f64 v[1:2], v[1:2], v[7:8]
	v_add_lshl_u32 v10, v5, v13, 2
	v_cmp_gt_u32_e64 s[0:1], 60, v15
	ds_bpermute_b32 v5, v10, v3
	ds_bpermute_b32 v6, v10, v4
	ds_bpermute_b32 v7, v10, v1
	ds_bpermute_b32 v8, v10, v2
	s_waitcnt lgkmcnt(2)
	v_add_f64 v[3:4], v[3:4], v[5:6]
	v_cndmask_b32_e64 v5, 0, 4, s[0:1]
	s_waitcnt lgkmcnt(0)
	v_add_f64 v[1:2], v[1:2], v[7:8]
	v_add_lshl_u32 v11, v5, v13, 2
	v_cmp_gt_u32_e64 s[0:1], 62, v15
	ds_bpermute_b32 v5, v11, v3
	ds_bpermute_b32 v6, v11, v4
	;; [unrolled: 1-line block ×4, first 2 shown]
	s_waitcnt lgkmcnt(2)
	v_add_f64 v[3:4], v[3:4], v[5:6]
	s_waitcnt lgkmcnt(0)
	v_add_f64 v[5:6], v[1:2], v[7:8]
	v_cndmask_b32_e64 v1, 0, 2, s[0:1]
	v_add_lshl_u32 v12, v1, v13, 2
	v_cmp_ne_u32_e64 s[0:1], 63, v15
	ds_bpermute_b32 v1, v12, v3
	ds_bpermute_b32 v2, v12, v4
	ds_bpermute_b32 v7, v12, v5
	ds_bpermute_b32 v8, v12, v6
	s_waitcnt lgkmcnt(2)
	v_add_f64 v[1:2], v[3:4], v[1:2]
	s_waitcnt lgkmcnt(0)
	v_add_f64 v[3:4], v[5:6], v[7:8]
	v_addc_co_u32_e64 v5, s[0:1], 0, v13, s[0:1]
	v_lshlrev_b32_e32 v13, 2, v5
	v_cmp_eq_u32_e64 s[0:1], 0, v14
	ds_bpermute_b32 v5, v13, v1
	ds_bpermute_b32 v6, v13, v2
	ds_bpermute_b32 v7, v13, v3
	ds_bpermute_b32 v8, v13, v4
	s_and_saveexec_b64 s[2:3], s[0:1]
	s_cbranch_execz .LBB131_8
; %bb.7:
	s_waitcnt lgkmcnt(0)
	v_add_f64 v[3:4], v[3:4], v[7:8]
	v_add_f64 v[1:2], v[1:2], v[5:6]
	v_lshrrev_b32_e32 v5, 2, v0
	v_and_b32_e32 v5, 0xf0, v5
	ds_write_b128 v5, v[1:4]
.LBB131_8:
	s_or_b64 exec, exec, s[2:3]
	v_mov_b32_e32 v3, 0
	v_mov_b32_e32 v1, 0
	v_mov_b32_e32 v4, 0
	v_mov_b32_e32 v2, 0
	v_cmp_gt_u32_e64 s[0:1], 16, v0
	s_waitcnt lgkmcnt(0)
	s_barrier
	s_and_saveexec_b64 s[2:3], s[0:1]
	s_cbranch_execnz .LBB131_12
; %bb.9:
	s_or_b64 exec, exec, s[2:3]
	s_and_saveexec_b64 s[0:1], vcc
	s_cbranch_execnz .LBB131_13
.LBB131_10:
	s_or_b64 exec, exec, s[0:1]
	v_cmp_eq_u32_e32 vcc, 0, v0
	s_and_saveexec_b64 s[0:1], vcc
	s_cbranch_execnz .LBB131_14
.LBB131_11:
	s_endpgm
.LBB131_12:
	ds_read_b128 v[1:4], v9
	s_or_b64 exec, exec, s[2:3]
	s_and_saveexec_b64 s[0:1], vcc
	s_cbranch_execz .LBB131_10
.LBB131_13:
	s_waitcnt lgkmcnt(0)
	ds_bpermute_b32 v5, v10, v1
	ds_bpermute_b32 v6, v10, v2
	ds_bpermute_b32 v7, v10, v3
	ds_bpermute_b32 v8, v10, v4
	s_waitcnt lgkmcnt(2)
	v_add_f64 v[1:2], v[1:2], v[5:6]
	s_waitcnt lgkmcnt(0)
	v_add_f64 v[3:4], v[3:4], v[7:8]
	ds_bpermute_b32 v5, v11, v1
	ds_bpermute_b32 v6, v11, v2
	ds_bpermute_b32 v7, v11, v3
	ds_bpermute_b32 v8, v11, v4
	s_waitcnt lgkmcnt(2)
	v_add_f64 v[1:2], v[1:2], v[5:6]
	s_waitcnt lgkmcnt(0)
	v_add_f64 v[3:4], v[3:4], v[7:8]
	;; [unrolled: 8-line block ×4, first 2 shown]
	s_or_b64 exec, exec, s[0:1]
	v_cmp_eq_u32_e32 vcc, 0, v0
	s_and_saveexec_b64 s[0:1], vcc
	s_cbranch_execz .LBB131_11
.LBB131_14:
	s_lshl_b64 s[0:1], s[6:7], 4
	s_add_u32 s0, s8, s0
	s_addc_u32 s1, s9, s1
	v_mov_b32_e32 v0, 0
	s_waitcnt lgkmcnt(0)
	global_store_dwordx4 v0, v[1:4], s[0:1]
	s_endpgm
	.section	.rodata,"a",@progbits
	.p2align	6, 0x0
	.amdhsa_kernel _ZL18rocblas_dot_kernelIiLb1ELi1024ELi32ELb1E19rocblas_complex_numIdEPKPKS1_S1_EviT5_lT_lS6_lS7_liPT6_PT4_
		.amdhsa_group_segment_fixed_size 1024
		.amdhsa_private_segment_fixed_size 0
		.amdhsa_kernarg_size 352
		.amdhsa_user_sgpr_count 6
		.amdhsa_user_sgpr_private_segment_buffer 1
		.amdhsa_user_sgpr_dispatch_ptr 0
		.amdhsa_user_sgpr_queue_ptr 0
		.amdhsa_user_sgpr_kernarg_segment_ptr 1
		.amdhsa_user_sgpr_dispatch_id 0
		.amdhsa_user_sgpr_flat_scratch_init 0
		.amdhsa_user_sgpr_private_segment_size 0
		.amdhsa_uses_dynamic_stack 0
		.amdhsa_system_sgpr_private_segment_wavefront_offset 0
		.amdhsa_system_sgpr_workgroup_id_x 1
		.amdhsa_system_sgpr_workgroup_id_y 0
		.amdhsa_system_sgpr_workgroup_id_z 1
		.amdhsa_system_sgpr_workgroup_info 0
		.amdhsa_system_vgpr_workitem_id 0
		.amdhsa_next_free_vgpr 22
		.amdhsa_next_free_sgpr 24
		.amdhsa_reserve_vcc 1
		.amdhsa_reserve_flat_scratch 0
		.amdhsa_float_round_mode_32 0
		.amdhsa_float_round_mode_16_64 0
		.amdhsa_float_denorm_mode_32 3
		.amdhsa_float_denorm_mode_16_64 3
		.amdhsa_dx10_clamp 1
		.amdhsa_ieee_mode 1
		.amdhsa_fp16_overflow 0
		.amdhsa_exception_fp_ieee_invalid_op 0
		.amdhsa_exception_fp_denorm_src 0
		.amdhsa_exception_fp_ieee_div_zero 0
		.amdhsa_exception_fp_ieee_overflow 0
		.amdhsa_exception_fp_ieee_underflow 0
		.amdhsa_exception_fp_ieee_inexact 0
		.amdhsa_exception_int_div_zero 0
	.end_amdhsa_kernel
	.section	.text._ZL18rocblas_dot_kernelIiLb1ELi1024ELi32ELb1E19rocblas_complex_numIdEPKPKS1_S1_EviT5_lT_lS6_lS7_liPT6_PT4_,"axG",@progbits,_ZL18rocblas_dot_kernelIiLb1ELi1024ELi32ELb1E19rocblas_complex_numIdEPKPKS1_S1_EviT5_lT_lS6_lS7_liPT6_PT4_,comdat
.Lfunc_end131:
	.size	_ZL18rocblas_dot_kernelIiLb1ELi1024ELi32ELb1E19rocblas_complex_numIdEPKPKS1_S1_EviT5_lT_lS6_lS7_liPT6_PT4_, .Lfunc_end131-_ZL18rocblas_dot_kernelIiLb1ELi1024ELi32ELb1E19rocblas_complex_numIdEPKPKS1_S1_EviT5_lT_lS6_lS7_liPT6_PT4_
                                        ; -- End function
	.set _ZL18rocblas_dot_kernelIiLb1ELi1024ELi32ELb1E19rocblas_complex_numIdEPKPKS1_S1_EviT5_lT_lS6_lS7_liPT6_PT4_.num_vgpr, 22
	.set _ZL18rocblas_dot_kernelIiLb1ELi1024ELi32ELb1E19rocblas_complex_numIdEPKPKS1_S1_EviT5_lT_lS6_lS7_liPT6_PT4_.num_agpr, 0
	.set _ZL18rocblas_dot_kernelIiLb1ELi1024ELi32ELb1E19rocblas_complex_numIdEPKPKS1_S1_EviT5_lT_lS6_lS7_liPT6_PT4_.numbered_sgpr, 24
	.set _ZL18rocblas_dot_kernelIiLb1ELi1024ELi32ELb1E19rocblas_complex_numIdEPKPKS1_S1_EviT5_lT_lS6_lS7_liPT6_PT4_.num_named_barrier, 0
	.set _ZL18rocblas_dot_kernelIiLb1ELi1024ELi32ELb1E19rocblas_complex_numIdEPKPKS1_S1_EviT5_lT_lS6_lS7_liPT6_PT4_.private_seg_size, 0
	.set _ZL18rocblas_dot_kernelIiLb1ELi1024ELi32ELb1E19rocblas_complex_numIdEPKPKS1_S1_EviT5_lT_lS6_lS7_liPT6_PT4_.uses_vcc, 1
	.set _ZL18rocblas_dot_kernelIiLb1ELi1024ELi32ELb1E19rocblas_complex_numIdEPKPKS1_S1_EviT5_lT_lS6_lS7_liPT6_PT4_.uses_flat_scratch, 0
	.set _ZL18rocblas_dot_kernelIiLb1ELi1024ELi32ELb1E19rocblas_complex_numIdEPKPKS1_S1_EviT5_lT_lS6_lS7_liPT6_PT4_.has_dyn_sized_stack, 0
	.set _ZL18rocblas_dot_kernelIiLb1ELi1024ELi32ELb1E19rocblas_complex_numIdEPKPKS1_S1_EviT5_lT_lS6_lS7_liPT6_PT4_.has_recursion, 0
	.set _ZL18rocblas_dot_kernelIiLb1ELi1024ELi32ELb1E19rocblas_complex_numIdEPKPKS1_S1_EviT5_lT_lS6_lS7_liPT6_PT4_.has_indirect_call, 0
	.section	.AMDGPU.csdata,"",@progbits
; Kernel info:
; codeLenInByte = 1380
; TotalNumSgprs: 28
; NumVgprs: 22
; ScratchSize: 0
; MemoryBound: 0
; FloatMode: 240
; IeeeMode: 1
; LDSByteSize: 1024 bytes/workgroup (compile time only)
; SGPRBlocks: 3
; VGPRBlocks: 5
; NumSGPRsForWavesPerEU: 28
; NumVGPRsForWavesPerEU: 22
; Occupancy: 10
; WaveLimiterHint : 0
; COMPUTE_PGM_RSRC2:SCRATCH_EN: 0
; COMPUTE_PGM_RSRC2:USER_SGPR: 6
; COMPUTE_PGM_RSRC2:TRAP_HANDLER: 0
; COMPUTE_PGM_RSRC2:TGID_X_EN: 1
; COMPUTE_PGM_RSRC2:TGID_Y_EN: 0
; COMPUTE_PGM_RSRC2:TGID_Z_EN: 1
; COMPUTE_PGM_RSRC2:TIDIG_COMP_CNT: 0
	.section	.text._ZL24rocblas_dot_kernel_magsqIiLb1ELi1024ELi32ELb1E19rocblas_complex_numIdEPKPKS1_S1_EviT5_lT_liPT6_PT4_,"axG",@progbits,_ZL24rocblas_dot_kernel_magsqIiLb1ELi1024ELi32ELb1E19rocblas_complex_numIdEPKPKS1_S1_EviT5_lT_liPT6_PT4_,comdat
	.globl	_ZL24rocblas_dot_kernel_magsqIiLb1ELi1024ELi32ELb1E19rocblas_complex_numIdEPKPKS1_S1_EviT5_lT_liPT6_PT4_ ; -- Begin function _ZL24rocblas_dot_kernel_magsqIiLb1ELi1024ELi32ELb1E19rocblas_complex_numIdEPKPKS1_S1_EviT5_lT_liPT6_PT4_
	.p2align	8
	.type	_ZL24rocblas_dot_kernel_magsqIiLb1ELi1024ELi32ELb1E19rocblas_complex_numIdEPKPKS1_S1_EviT5_lT_liPT6_PT4_,@function
_ZL24rocblas_dot_kernel_magsqIiLb1ELi1024ELi32ELb1E19rocblas_complex_numIdEPKPKS1_S1_EviT5_lT_liPT6_PT4_: ; @_ZL24rocblas_dot_kernel_magsqIiLb1ELi1024ELi32ELb1E19rocblas_complex_numIdEPKPKS1_S1_EviT5_lT_liPT6_PT4_
; %bb.0:
	s_mov_b32 s2, s7
	s_load_dword s12, s[4:5], 0x0
	s_load_dwordx2 s[6:7], s[4:5], 0x38
	v_mov_b32_e32 v1, 0
	v_mov_b32_e32 v3, 0
	s_mov_b32 s3, 0
	v_mov_b32_e32 v2, 0
	v_mov_b32_e32 v4, 0
	s_waitcnt lgkmcnt(0)
	v_cmp_gt_i32_e32 vcc, s12, v0
	s_and_saveexec_b64 s[8:9], vcc
	s_cbranch_execz .LBB132_4
; %bb.1:
	s_load_dwordx4 s[16:19], s[4:5], 0x8
	s_lshl_b64 s[0:1], s[2:3], 3
	s_load_dword s10, s[4:5], 0x18
	s_load_dword s11, s[4:5], 0x40
	s_waitcnt lgkmcnt(0)
	s_add_u32 s0, s16, s0
	s_addc_u32 s1, s17, s1
	s_load_dwordx2 s[0:1], s[0:1], 0x0
	v_mad_i64_i32 v[1:2], s[4:5], s10, v0, 0
	s_lshl_b32 s13, s11, 10
	s_lshl_b64 s[4:5], s[18:19], 4
	v_lshlrev_b64 v[1:2], 4, v[1:2]
	s_waitcnt lgkmcnt(0)
	s_add_u32 s0, s0, s4
	s_addc_u32 s1, s1, s5
	v_mov_b32_e32 v3, s1
	v_add_co_u32_e32 v5, vcc, s0, v1
	s_mul_hi_i32 s1, s10, s13
	s_mul_i32 s0, s10, s13
	v_addc_co_u32_e32 v6, vcc, v3, v2, vcc
	s_lshl_b64 s[4:5], s[0:1], 4
	v_mov_b32_e32 v1, 0
	v_mov_b32_e32 v3, 0
	v_or_b32_e32 v7, s13, v0
	v_mov_b32_e32 v2, 0
	s_mov_b64 s[10:11], 0
	v_mov_b32_e32 v8, s5
	v_mov_b32_e32 v4, 0
	s_mov_b32 s5, s3
.LBB132_2:                              ; =>This Inner Loop Header: Depth=1
	flat_load_dwordx4 v[9:12], v[5:6]
	s_add_i32 s14, s5, 1
	v_add_co_u32_e64 v5, s[0:1], s4, v5
	v_addc_co_u32_e64 v6, s[0:1], v6, v8, s[0:1]
	s_cmp_gt_u32 s5, 30
	v_cmp_le_i32_e32 vcc, s12, v7
	s_cselect_b64 s[0:1], -1, 0
	s_or_b64 s[0:1], s[0:1], vcc
	s_and_b64 s[0:1], exec, s[0:1]
	v_add_u32_e32 v7, s13, v7
	s_or_b64 s[10:11], s[0:1], s[10:11]
	s_mov_b32 s5, s14
	s_waitcnt vmcnt(0) lgkmcnt(0)
	v_mul_f64 v[13:14], v[11:12], v[11:12]
	v_mul_f64 v[15:16], v[9:10], v[11:12]
	v_fma_f64 v[13:14], v[9:10], v[9:10], v[13:14]
	v_fma_f64 v[9:10], v[9:10], v[11:12], -v[15:16]
	v_add_f64 v[3:4], v[3:4], v[13:14]
	v_add_f64 v[1:2], v[1:2], v[9:10]
	s_andn2_b64 exec, exec, s[10:11]
	s_cbranch_execnz .LBB132_2
; %bb.3:
	s_or_b64 exec, exec, s[10:11]
.LBB132_4:
	s_or_b64 exec, exec, s[8:9]
	v_and_b32_e32 v14, 63, v0
	v_cmp_gt_u32_e32 vcc, 64, v0
	v_lshlrev_b32_e32 v9, 4, v14
	s_and_saveexec_b64 s[0:1], vcc
; %bb.5:
	v_mov_b32_e32 v5, 0
	v_mov_b32_e32 v6, v5
	;; [unrolled: 1-line block ×4, first 2 shown]
	ds_write_b128 v9, v[5:8]
; %bb.6:
	s_or_b64 exec, exec, s[0:1]
	v_mbcnt_lo_u32_b32 v5, -1, 0
	v_mbcnt_hi_u32_b32 v13, -1, v5
	v_mov_b32_e32 v5, 0x80
	v_lshl_or_b32 v8, v13, 2, v5
	ds_bpermute_b32 v5, v8, v3
	ds_bpermute_b32 v6, v8, v4
	;; [unrolled: 1-line block ×4, first 2 shown]
	v_and_b32_e32 v15, 63, v13
	v_cmp_gt_u32_e64 s[0:1], 48, v15
	s_waitcnt lgkmcnt(2)
	v_add_f64 v[3:4], v[3:4], v[5:6]
	v_cndmask_b32_e64 v5, 0, 16, s[0:1]
	s_waitcnt lgkmcnt(0)
	v_add_f64 v[1:2], v[1:2], v[7:8]
	v_add_lshl_u32 v8, v5, v13, 2
	v_cmp_gt_u32_e64 s[0:1], 56, v15
	s_barrier
	ds_bpermute_b32 v5, v8, v3
	ds_bpermute_b32 v6, v8, v4
	;; [unrolled: 1-line block ×4, first 2 shown]
	s_waitcnt lgkmcnt(2)
	v_add_f64 v[3:4], v[3:4], v[5:6]
	v_cndmask_b32_e64 v5, 0, 8, s[0:1]
	s_waitcnt lgkmcnt(0)
	v_add_f64 v[1:2], v[1:2], v[7:8]
	v_add_lshl_u32 v10, v5, v13, 2
	v_cmp_gt_u32_e64 s[0:1], 60, v15
	ds_bpermute_b32 v5, v10, v3
	ds_bpermute_b32 v6, v10, v4
	;; [unrolled: 1-line block ×4, first 2 shown]
	s_waitcnt lgkmcnt(2)
	v_add_f64 v[3:4], v[3:4], v[5:6]
	v_cndmask_b32_e64 v5, 0, 4, s[0:1]
	s_waitcnt lgkmcnt(0)
	v_add_f64 v[1:2], v[1:2], v[7:8]
	v_add_lshl_u32 v11, v5, v13, 2
	v_cmp_gt_u32_e64 s[0:1], 62, v15
	ds_bpermute_b32 v5, v11, v3
	ds_bpermute_b32 v6, v11, v4
	;; [unrolled: 1-line block ×4, first 2 shown]
	s_waitcnt lgkmcnt(2)
	v_add_f64 v[3:4], v[3:4], v[5:6]
	s_waitcnt lgkmcnt(0)
	v_add_f64 v[5:6], v[1:2], v[7:8]
	v_cndmask_b32_e64 v1, 0, 2, s[0:1]
	v_add_lshl_u32 v12, v1, v13, 2
	v_cmp_ne_u32_e64 s[0:1], 63, v15
	ds_bpermute_b32 v1, v12, v3
	ds_bpermute_b32 v2, v12, v4
	;; [unrolled: 1-line block ×4, first 2 shown]
	s_waitcnt lgkmcnt(2)
	v_add_f64 v[1:2], v[3:4], v[1:2]
	s_waitcnt lgkmcnt(0)
	v_add_f64 v[3:4], v[5:6], v[7:8]
	v_addc_co_u32_e64 v5, s[0:1], 0, v13, s[0:1]
	v_lshlrev_b32_e32 v13, 2, v5
	v_cmp_eq_u32_e64 s[0:1], 0, v14
	ds_bpermute_b32 v5, v13, v1
	ds_bpermute_b32 v6, v13, v2
	;; [unrolled: 1-line block ×4, first 2 shown]
	s_and_saveexec_b64 s[4:5], s[0:1]
	s_cbranch_execz .LBB132_8
; %bb.7:
	s_waitcnt lgkmcnt(0)
	v_add_f64 v[3:4], v[3:4], v[7:8]
	v_add_f64 v[1:2], v[1:2], v[5:6]
	v_lshrrev_b32_e32 v5, 2, v0
	v_and_b32_e32 v5, 0xf0, v5
	ds_write_b128 v5, v[1:4]
.LBB132_8:
	s_or_b64 exec, exec, s[4:5]
	v_mov_b32_e32 v3, 0
	v_mov_b32_e32 v1, 0
	;; [unrolled: 1-line block ×4, first 2 shown]
	v_cmp_gt_u32_e64 s[0:1], 16, v0
	s_waitcnt lgkmcnt(0)
	s_barrier
	s_and_saveexec_b64 s[4:5], s[0:1]
	s_cbranch_execnz .LBB132_12
; %bb.9:
	s_or_b64 exec, exec, s[4:5]
	s_and_saveexec_b64 s[0:1], vcc
	s_cbranch_execnz .LBB132_13
.LBB132_10:
	s_or_b64 exec, exec, s[0:1]
	v_cmp_eq_u32_e32 vcc, 0, v0
	s_and_saveexec_b64 s[0:1], vcc
	s_cbranch_execnz .LBB132_14
.LBB132_11:
	s_endpgm
.LBB132_12:
	ds_read_b128 v[1:4], v9
	s_or_b64 exec, exec, s[4:5]
	s_and_saveexec_b64 s[0:1], vcc
	s_cbranch_execz .LBB132_10
.LBB132_13:
	s_waitcnt lgkmcnt(0)
	ds_bpermute_b32 v5, v10, v1
	ds_bpermute_b32 v6, v10, v2
	ds_bpermute_b32 v7, v10, v3
	ds_bpermute_b32 v8, v10, v4
	s_waitcnt lgkmcnt(2)
	v_add_f64 v[1:2], v[1:2], v[5:6]
	s_waitcnt lgkmcnt(0)
	v_add_f64 v[3:4], v[3:4], v[7:8]
	ds_bpermute_b32 v5, v11, v1
	ds_bpermute_b32 v6, v11, v2
	ds_bpermute_b32 v7, v11, v3
	ds_bpermute_b32 v8, v11, v4
	s_waitcnt lgkmcnt(2)
	v_add_f64 v[1:2], v[1:2], v[5:6]
	s_waitcnt lgkmcnt(0)
	v_add_f64 v[3:4], v[3:4], v[7:8]
	;; [unrolled: 8-line block ×4, first 2 shown]
	s_or_b64 exec, exec, s[0:1]
	v_cmp_eq_u32_e32 vcc, 0, v0
	s_and_saveexec_b64 s[0:1], vcc
	s_cbranch_execz .LBB132_11
.LBB132_14:
	s_lshl_b64 s[0:1], s[2:3], 4
	s_add_u32 s0, s6, s0
	s_addc_u32 s1, s7, s1
	v_mov_b32_e32 v0, 0
	s_waitcnt lgkmcnt(0)
	global_store_dwordx4 v0, v[1:4], s[0:1]
	s_endpgm
	.section	.rodata,"a",@progbits
	.p2align	6, 0x0
	.amdhsa_kernel _ZL24rocblas_dot_kernel_magsqIiLb1ELi1024ELi32ELb1E19rocblas_complex_numIdEPKPKS1_S1_EviT5_lT_liPT6_PT4_
		.amdhsa_group_segment_fixed_size 1024
		.amdhsa_private_segment_fixed_size 0
		.amdhsa_kernarg_size 320
		.amdhsa_user_sgpr_count 6
		.amdhsa_user_sgpr_private_segment_buffer 1
		.amdhsa_user_sgpr_dispatch_ptr 0
		.amdhsa_user_sgpr_queue_ptr 0
		.amdhsa_user_sgpr_kernarg_segment_ptr 1
		.amdhsa_user_sgpr_dispatch_id 0
		.amdhsa_user_sgpr_flat_scratch_init 0
		.amdhsa_user_sgpr_private_segment_size 0
		.amdhsa_uses_dynamic_stack 0
		.amdhsa_system_sgpr_private_segment_wavefront_offset 0
		.amdhsa_system_sgpr_workgroup_id_x 1
		.amdhsa_system_sgpr_workgroup_id_y 0
		.amdhsa_system_sgpr_workgroup_id_z 1
		.amdhsa_system_sgpr_workgroup_info 0
		.amdhsa_system_vgpr_workitem_id 0
		.amdhsa_next_free_vgpr 17
		.amdhsa_next_free_sgpr 20
		.amdhsa_reserve_vcc 1
		.amdhsa_reserve_flat_scratch 0
		.amdhsa_float_round_mode_32 0
		.amdhsa_float_round_mode_16_64 0
		.amdhsa_float_denorm_mode_32 3
		.amdhsa_float_denorm_mode_16_64 3
		.amdhsa_dx10_clamp 1
		.amdhsa_ieee_mode 1
		.amdhsa_fp16_overflow 0
		.amdhsa_exception_fp_ieee_invalid_op 0
		.amdhsa_exception_fp_denorm_src 0
		.amdhsa_exception_fp_ieee_div_zero 0
		.amdhsa_exception_fp_ieee_overflow 0
		.amdhsa_exception_fp_ieee_underflow 0
		.amdhsa_exception_fp_ieee_inexact 0
		.amdhsa_exception_int_div_zero 0
	.end_amdhsa_kernel
	.section	.text._ZL24rocblas_dot_kernel_magsqIiLb1ELi1024ELi32ELb1E19rocblas_complex_numIdEPKPKS1_S1_EviT5_lT_liPT6_PT4_,"axG",@progbits,_ZL24rocblas_dot_kernel_magsqIiLb1ELi1024ELi32ELb1E19rocblas_complex_numIdEPKPKS1_S1_EviT5_lT_liPT6_PT4_,comdat
.Lfunc_end132:
	.size	_ZL24rocblas_dot_kernel_magsqIiLb1ELi1024ELi32ELb1E19rocblas_complex_numIdEPKPKS1_S1_EviT5_lT_liPT6_PT4_, .Lfunc_end132-_ZL24rocblas_dot_kernel_magsqIiLb1ELi1024ELi32ELb1E19rocblas_complex_numIdEPKPKS1_S1_EviT5_lT_liPT6_PT4_
                                        ; -- End function
	.set _ZL24rocblas_dot_kernel_magsqIiLb1ELi1024ELi32ELb1E19rocblas_complex_numIdEPKPKS1_S1_EviT5_lT_liPT6_PT4_.num_vgpr, 17
	.set _ZL24rocblas_dot_kernel_magsqIiLb1ELi1024ELi32ELb1E19rocblas_complex_numIdEPKPKS1_S1_EviT5_lT_liPT6_PT4_.num_agpr, 0
	.set _ZL24rocblas_dot_kernel_magsqIiLb1ELi1024ELi32ELb1E19rocblas_complex_numIdEPKPKS1_S1_EviT5_lT_liPT6_PT4_.numbered_sgpr, 20
	.set _ZL24rocblas_dot_kernel_magsqIiLb1ELi1024ELi32ELb1E19rocblas_complex_numIdEPKPKS1_S1_EviT5_lT_liPT6_PT4_.num_named_barrier, 0
	.set _ZL24rocblas_dot_kernel_magsqIiLb1ELi1024ELi32ELb1E19rocblas_complex_numIdEPKPKS1_S1_EviT5_lT_liPT6_PT4_.private_seg_size, 0
	.set _ZL24rocblas_dot_kernel_magsqIiLb1ELi1024ELi32ELb1E19rocblas_complex_numIdEPKPKS1_S1_EviT5_lT_liPT6_PT4_.uses_vcc, 1
	.set _ZL24rocblas_dot_kernel_magsqIiLb1ELi1024ELi32ELb1E19rocblas_complex_numIdEPKPKS1_S1_EviT5_lT_liPT6_PT4_.uses_flat_scratch, 0
	.set _ZL24rocblas_dot_kernel_magsqIiLb1ELi1024ELi32ELb1E19rocblas_complex_numIdEPKPKS1_S1_EviT5_lT_liPT6_PT4_.has_dyn_sized_stack, 0
	.set _ZL24rocblas_dot_kernel_magsqIiLb1ELi1024ELi32ELb1E19rocblas_complex_numIdEPKPKS1_S1_EviT5_lT_liPT6_PT4_.has_recursion, 0
	.set _ZL24rocblas_dot_kernel_magsqIiLb1ELi1024ELi32ELb1E19rocblas_complex_numIdEPKPKS1_S1_EviT5_lT_liPT6_PT4_.has_indirect_call, 0
	.section	.AMDGPU.csdata,"",@progbits
; Kernel info:
; codeLenInByte = 1264
; TotalNumSgprs: 24
; NumVgprs: 17
; ScratchSize: 0
; MemoryBound: 0
; FloatMode: 240
; IeeeMode: 1
; LDSByteSize: 1024 bytes/workgroup (compile time only)
; SGPRBlocks: 2
; VGPRBlocks: 4
; NumSGPRsForWavesPerEU: 24
; NumVGPRsForWavesPerEU: 17
; Occupancy: 10
; WaveLimiterHint : 0
; COMPUTE_PGM_RSRC2:SCRATCH_EN: 0
; COMPUTE_PGM_RSRC2:USER_SGPR: 6
; COMPUTE_PGM_RSRC2:TRAP_HANDLER: 0
; COMPUTE_PGM_RSRC2:TGID_X_EN: 1
; COMPUTE_PGM_RSRC2:TGID_Y_EN: 0
; COMPUTE_PGM_RSRC2:TGID_Z_EN: 1
; COMPUTE_PGM_RSRC2:TIDIG_COMP_CNT: 0
	.section	.text._ZL23rocblas_dot_kernel_inc1ILb0ELi512ELi2ELb1E19rocblas_complex_numIdEPKPKS1_S1_EviT4_llS6_lliPT5_PT3_,"axG",@progbits,_ZL23rocblas_dot_kernel_inc1ILb0ELi512ELi2ELb1E19rocblas_complex_numIdEPKPKS1_S1_EviT4_llS6_lliPT5_PT3_,comdat
	.globl	_ZL23rocblas_dot_kernel_inc1ILb0ELi512ELi2ELb1E19rocblas_complex_numIdEPKPKS1_S1_EviT4_llS6_lliPT5_PT3_ ; -- Begin function _ZL23rocblas_dot_kernel_inc1ILb0ELi512ELi2ELb1E19rocblas_complex_numIdEPKPKS1_S1_EviT4_llS6_lliPT5_PT3_
	.p2align	8
	.type	_ZL23rocblas_dot_kernel_inc1ILb0ELi512ELi2ELb1E19rocblas_complex_numIdEPKPKS1_S1_EviT4_llS6_lliPT5_PT3_,@function
_ZL23rocblas_dot_kernel_inc1ILb0ELi512ELi2ELb1E19rocblas_complex_numIdEPKPKS1_S1_EviT4_llS6_lliPT5_PT3_: ; @_ZL23rocblas_dot_kernel_inc1ILb0ELi512ELi2ELb1E19rocblas_complex_numIdEPKPKS1_S1_EviT4_llS6_lliPT5_PT3_
; %bb.0:
	s_mov_b32 s2, s7
	s_load_dword s7, s[4:5], 0x0
	s_load_dword s10, s[4:5], 0x50
	v_lshl_or_b32 v5, s6, 9, v0
	v_mov_b32_e32 v1, 0
	v_mov_b32_e32 v3, 0
	s_mov_b32 s3, 0
	v_mov_b32_e32 v2, 0
	v_mov_b32_e32 v4, 0
	s_waitcnt lgkmcnt(0)
	v_cmp_gt_i32_e32 vcc, s7, v5
	s_and_saveexec_b64 s[0:1], vcc
	s_cbranch_execz .LBB133_4
; %bb.1:
	s_load_dwordx4 s[12:15], s[4:5], 0x8
	s_load_dwordx4 s[16:19], s[4:5], 0x20
	s_lshl_b64 s[8:9], s[2:3], 3
	v_ashrrev_i32_e32 v6, 31, v5
	v_lshlrev_b64 v[1:2], 4, v[5:6]
	s_waitcnt lgkmcnt(0)
	s_add_u32 s12, s12, s8
	s_addc_u32 s13, s13, s9
	s_load_dwordx2 s[12:13], s[12:13], 0x0
	s_lshl_b64 s[14:15], s[14:15], 4
	s_waitcnt lgkmcnt(0)
	s_add_u32 s11, s12, s14
	s_addc_u32 s12, s13, s15
	s_add_u32 s8, s16, s8
	s_addc_u32 s9, s17, s9
	s_load_dwordx2 s[8:9], s[8:9], 0x0
	s_lshl_b64 s[14:15], s[18:19], 4
	v_mov_b32_e32 v3, s12
	s_waitcnt lgkmcnt(0)
	s_add_u32 s13, s8, s14
	s_addc_u32 s14, s9, s15
	v_mov_b32_e32 v4, s14
	v_add_co_u32_e32 v9, vcc, s13, v1
	v_addc_co_u32_e32 v10, vcc, v4, v2, vcc
	v_add_co_u32_e32 v11, vcc, s11, v1
	v_addc_co_u32_e32 v12, vcc, v3, v2, vcc
	flat_load_dwordx4 v[1:4], v[11:12]
	flat_load_dwordx4 v[5:8], v[9:10]
	s_add_i32 s8, s6, s10
	s_waitcnt vmcnt(0) lgkmcnt(0)
	v_mul_f64 v[9:10], v[7:8], v[3:4]
	v_mul_f64 v[3:4], v[5:6], v[3:4]
	v_fma_f64 v[5:6], v[5:6], v[1:2], v[9:10]
	v_fma_f64 v[3:4], v[7:8], v[1:2], -v[3:4]
	v_add_f64 v[1:2], v[5:6], 0
	v_add_f64 v[3:4], v[3:4], 0
	v_lshl_or_b32 v5, s8, 9, v0
	v_cmp_gt_i32_e32 vcc, s7, v5
	s_and_saveexec_b64 s[8:9], vcc
	s_cbranch_execz .LBB133_3
; %bb.2:
	v_ashrrev_i32_e32 v6, 31, v5
	v_lshlrev_b64 v[9:10], 4, v[5:6]
	v_mov_b32_e32 v6, s14
	v_add_co_u32_e32 v5, vcc, s13, v9
	v_addc_co_u32_e32 v6, vcc, v6, v10, vcc
	v_mov_b32_e32 v11, s12
	v_add_co_u32_e32 v9, vcc, s11, v9
	v_addc_co_u32_e32 v10, vcc, v11, v10, vcc
	flat_load_dwordx4 v[5:8], v[5:6]
	s_nop 0
	flat_load_dwordx4 v[9:12], v[9:10]
	s_waitcnt vmcnt(0) lgkmcnt(0)
	v_mul_f64 v[13:14], v[5:6], v[11:12]
	v_mul_f64 v[11:12], v[7:8], v[11:12]
	v_fma_f64 v[7:8], v[7:8], v[9:10], -v[13:14]
	v_fma_f64 v[5:6], v[5:6], v[9:10], v[11:12]
	v_add_f64 v[3:4], v[3:4], v[7:8]
	v_add_f64 v[1:2], v[1:2], v[5:6]
.LBB133_3:
	s_or_b64 exec, exec, s[8:9]
.LBB133_4:
	s_or_b64 exec, exec, s[0:1]
	v_and_b32_e32 v10, 63, v0
	v_cmp_gt_u32_e32 vcc, 64, v0
	v_lshlrev_b32_e32 v9, 4, v10
	s_and_saveexec_b64 s[0:1], vcc
; %bb.5:
	v_mov_b32_e32 v5, 0
	v_mov_b32_e32 v6, v5
	;; [unrolled: 1-line block ×4, first 2 shown]
	ds_write_b128 v9, v[5:8]
; %bb.6:
	s_or_b64 exec, exec, s[0:1]
	v_mbcnt_lo_u32_b32 v5, -1, 0
	v_mbcnt_hi_u32_b32 v13, -1, v5
	v_mov_b32_e32 v5, 0x80
	v_lshl_or_b32 v8, v13, 2, v5
	ds_bpermute_b32 v5, v8, v1
	ds_bpermute_b32 v6, v8, v2
	;; [unrolled: 1-line block ×4, first 2 shown]
	v_and_b32_e32 v14, 63, v13
	v_cmp_gt_u32_e64 s[0:1], 48, v14
	s_waitcnt lgkmcnt(2)
	v_add_f64 v[1:2], v[1:2], v[5:6]
	v_cndmask_b32_e64 v5, 0, 16, s[0:1]
	s_waitcnt lgkmcnt(0)
	v_add_f64 v[3:4], v[3:4], v[7:8]
	v_add_lshl_u32 v8, v5, v13, 2
	v_cmp_gt_u32_e64 s[0:1], 56, v14
	s_barrier
	ds_bpermute_b32 v5, v8, v1
	ds_bpermute_b32 v6, v8, v2
	;; [unrolled: 1-line block ×4, first 2 shown]
	s_waitcnt lgkmcnt(2)
	v_add_f64 v[1:2], v[1:2], v[5:6]
	v_cndmask_b32_e64 v5, 0, 8, s[0:1]
	s_waitcnt lgkmcnt(0)
	v_add_f64 v[3:4], v[3:4], v[7:8]
	v_add_lshl_u32 v8, v5, v13, 2
	v_cmp_gt_u32_e64 s[0:1], 60, v14
	ds_bpermute_b32 v5, v8, v1
	ds_bpermute_b32 v6, v8, v2
	;; [unrolled: 1-line block ×4, first 2 shown]
	s_waitcnt lgkmcnt(2)
	v_add_f64 v[1:2], v[1:2], v[5:6]
	v_cndmask_b32_e64 v5, 0, 4, s[0:1]
	s_waitcnt lgkmcnt(0)
	v_add_f64 v[3:4], v[3:4], v[7:8]
	v_add_lshl_u32 v11, v5, v13, 2
	v_cmp_gt_u32_e64 s[0:1], 62, v14
	ds_bpermute_b32 v5, v11, v1
	ds_bpermute_b32 v6, v11, v2
	;; [unrolled: 1-line block ×4, first 2 shown]
	s_waitcnt lgkmcnt(2)
	v_add_f64 v[1:2], v[1:2], v[5:6]
	v_cndmask_b32_e64 v5, 0, 2, s[0:1]
	s_waitcnt lgkmcnt(0)
	v_add_f64 v[3:4], v[3:4], v[7:8]
	v_add_lshl_u32 v12, v5, v13, 2
	v_cmp_ne_u32_e64 s[0:1], 63, v14
	ds_bpermute_b32 v5, v12, v1
	ds_bpermute_b32 v6, v12, v2
	ds_bpermute_b32 v7, v12, v3
	ds_bpermute_b32 v8, v12, v4
	s_waitcnt lgkmcnt(2)
	v_add_f64 v[1:2], v[1:2], v[5:6]
	v_addc_co_u32_e64 v5, s[0:1], 0, v13, s[0:1]
	s_waitcnt lgkmcnt(0)
	v_add_f64 v[3:4], v[3:4], v[7:8]
	v_lshlrev_b32_e32 v13, 2, v5
	v_cmp_eq_u32_e64 s[0:1], 0, v10
	ds_bpermute_b32 v5, v13, v1
	ds_bpermute_b32 v6, v13, v2
	;; [unrolled: 1-line block ×4, first 2 shown]
	s_and_saveexec_b64 s[8:9], s[0:1]
	s_cbranch_execz .LBB133_8
; %bb.7:
	s_waitcnt lgkmcnt(0)
	v_add_f64 v[3:4], v[3:4], v[7:8]
	v_add_f64 v[1:2], v[1:2], v[5:6]
	v_lshrrev_b32_e32 v5, 2, v0
	v_and_b32_e32 v5, 0x70, v5
	ds_write_b128 v5, v[1:4]
.LBB133_8:
	s_or_b64 exec, exec, s[8:9]
	v_mov_b32_e32 v3, 0
	v_mov_b32_e32 v1, 0
	;; [unrolled: 1-line block ×4, first 2 shown]
	v_cmp_gt_u32_e64 s[0:1], 8, v0
	s_waitcnt lgkmcnt(0)
	s_barrier
	s_and_saveexec_b64 s[8:9], s[0:1]
	s_cbranch_execnz .LBB133_12
; %bb.9:
	s_or_b64 exec, exec, s[8:9]
	s_and_saveexec_b64 s[0:1], vcc
	s_cbranch_execnz .LBB133_13
.LBB133_10:
	s_or_b64 exec, exec, s[0:1]
	v_cmp_eq_u32_e32 vcc, 0, v0
	s_and_saveexec_b64 s[0:1], vcc
	s_cbranch_execnz .LBB133_14
.LBB133_11:
	s_endpgm
.LBB133_12:
	ds_read_b128 v[1:4], v9
	s_or_b64 exec, exec, s[8:9]
	s_and_saveexec_b64 s[0:1], vcc
	s_cbranch_execz .LBB133_10
.LBB133_13:
	s_waitcnt lgkmcnt(0)
	ds_bpermute_b32 v5, v11, v1
	ds_bpermute_b32 v6, v11, v2
	ds_bpermute_b32 v7, v11, v3
	ds_bpermute_b32 v8, v11, v4
	s_waitcnt lgkmcnt(2)
	v_add_f64 v[1:2], v[1:2], v[5:6]
	s_waitcnt lgkmcnt(0)
	v_add_f64 v[3:4], v[3:4], v[7:8]
	ds_bpermute_b32 v5, v12, v1
	ds_bpermute_b32 v6, v12, v2
	ds_bpermute_b32 v7, v12, v3
	ds_bpermute_b32 v8, v12, v4
	s_waitcnt lgkmcnt(2)
	v_add_f64 v[1:2], v[1:2], v[5:6]
	s_waitcnt lgkmcnt(0)
	v_add_f64 v[3:4], v[3:4], v[7:8]
	;; [unrolled: 8-line block ×3, first 2 shown]
	s_or_b64 exec, exec, s[0:1]
	v_cmp_eq_u32_e32 vcc, 0, v0
	s_and_saveexec_b64 s[0:1], vcc
	s_cbranch_execz .LBB133_11
.LBB133_14:
	s_cmp_lg_u32 s10, 1
	s_cbranch_scc0 .LBB133_16
; %bb.15:
	s_load_dwordx2 s[0:1], s[4:5], 0x40
	s_mul_hi_u32 s9, s10, s2
	s_mul_i32 s8, s10, s2
	s_lshl_b64 s[8:9], s[8:9], 4
	s_mov_b32 s7, 0
	s_waitcnt lgkmcnt(0)
	s_add_u32 s8, s0, s8
	s_addc_u32 s9, s1, s9
	s_lshl_b64 s[0:1], s[6:7], 4
	s_add_u32 s0, s8, s0
	s_addc_u32 s1, s9, s1
	v_mov_b32_e32 v0, 0
	global_store_dwordx2 v0, v[1:2], s[0:1]
	s_cbranch_execz .LBB133_17
	s_branch .LBB133_18
.LBB133_16:
                                        ; implicit-def: $sgpr0_sgpr1
.LBB133_17:
	s_load_dwordx2 s[0:1], s[4:5], 0x48
	s_lshl_b64 s[2:3], s[2:3], 4
	v_mov_b32_e32 v0, 0
	s_waitcnt lgkmcnt(0)
	s_add_u32 s0, s0, s2
	s_addc_u32 s1, s1, s3
	global_store_dwordx2 v0, v[1:2], s[0:1]
.LBB133_18:
	v_mov_b32_e32 v0, 0
	s_waitcnt lgkmcnt(0)
	global_store_dwordx2 v0, v[3:4], s[0:1] offset:8
	s_endpgm
	.section	.rodata,"a",@progbits
	.p2align	6, 0x0
	.amdhsa_kernel _ZL23rocblas_dot_kernel_inc1ILb0ELi512ELi2ELb1E19rocblas_complex_numIdEPKPKS1_S1_EviT4_llS6_lliPT5_PT3_
		.amdhsa_group_segment_fixed_size 1024
		.amdhsa_private_segment_fixed_size 0
		.amdhsa_kernarg_size 336
		.amdhsa_user_sgpr_count 6
		.amdhsa_user_sgpr_private_segment_buffer 1
		.amdhsa_user_sgpr_dispatch_ptr 0
		.amdhsa_user_sgpr_queue_ptr 0
		.amdhsa_user_sgpr_kernarg_segment_ptr 1
		.amdhsa_user_sgpr_dispatch_id 0
		.amdhsa_user_sgpr_flat_scratch_init 0
		.amdhsa_user_sgpr_private_segment_size 0
		.amdhsa_uses_dynamic_stack 0
		.amdhsa_system_sgpr_private_segment_wavefront_offset 0
		.amdhsa_system_sgpr_workgroup_id_x 1
		.amdhsa_system_sgpr_workgroup_id_y 0
		.amdhsa_system_sgpr_workgroup_id_z 1
		.amdhsa_system_sgpr_workgroup_info 0
		.amdhsa_system_vgpr_workitem_id 0
		.amdhsa_next_free_vgpr 15
		.amdhsa_next_free_sgpr 20
		.amdhsa_reserve_vcc 1
		.amdhsa_reserve_flat_scratch 0
		.amdhsa_float_round_mode_32 0
		.amdhsa_float_round_mode_16_64 0
		.amdhsa_float_denorm_mode_32 3
		.amdhsa_float_denorm_mode_16_64 3
		.amdhsa_dx10_clamp 1
		.amdhsa_ieee_mode 1
		.amdhsa_fp16_overflow 0
		.amdhsa_exception_fp_ieee_invalid_op 0
		.amdhsa_exception_fp_denorm_src 0
		.amdhsa_exception_fp_ieee_div_zero 0
		.amdhsa_exception_fp_ieee_overflow 0
		.amdhsa_exception_fp_ieee_underflow 0
		.amdhsa_exception_fp_ieee_inexact 0
		.amdhsa_exception_int_div_zero 0
	.end_amdhsa_kernel
	.section	.text._ZL23rocblas_dot_kernel_inc1ILb0ELi512ELi2ELb1E19rocblas_complex_numIdEPKPKS1_S1_EviT4_llS6_lliPT5_PT3_,"axG",@progbits,_ZL23rocblas_dot_kernel_inc1ILb0ELi512ELi2ELb1E19rocblas_complex_numIdEPKPKS1_S1_EviT4_llS6_lliPT5_PT3_,comdat
.Lfunc_end133:
	.size	_ZL23rocblas_dot_kernel_inc1ILb0ELi512ELi2ELb1E19rocblas_complex_numIdEPKPKS1_S1_EviT4_llS6_lliPT5_PT3_, .Lfunc_end133-_ZL23rocblas_dot_kernel_inc1ILb0ELi512ELi2ELb1E19rocblas_complex_numIdEPKPKS1_S1_EviT4_llS6_lliPT5_PT3_
                                        ; -- End function
	.set _ZL23rocblas_dot_kernel_inc1ILb0ELi512ELi2ELb1E19rocblas_complex_numIdEPKPKS1_S1_EviT4_llS6_lliPT5_PT3_.num_vgpr, 15
	.set _ZL23rocblas_dot_kernel_inc1ILb0ELi512ELi2ELb1E19rocblas_complex_numIdEPKPKS1_S1_EviT4_llS6_lliPT5_PT3_.num_agpr, 0
	.set _ZL23rocblas_dot_kernel_inc1ILb0ELi512ELi2ELb1E19rocblas_complex_numIdEPKPKS1_S1_EviT4_llS6_lliPT5_PT3_.numbered_sgpr, 20
	.set _ZL23rocblas_dot_kernel_inc1ILb0ELi512ELi2ELb1E19rocblas_complex_numIdEPKPKS1_S1_EviT4_llS6_lliPT5_PT3_.num_named_barrier, 0
	.set _ZL23rocblas_dot_kernel_inc1ILb0ELi512ELi2ELb1E19rocblas_complex_numIdEPKPKS1_S1_EviT4_llS6_lliPT5_PT3_.private_seg_size, 0
	.set _ZL23rocblas_dot_kernel_inc1ILb0ELi512ELi2ELb1E19rocblas_complex_numIdEPKPKS1_S1_EviT4_llS6_lliPT5_PT3_.uses_vcc, 1
	.set _ZL23rocblas_dot_kernel_inc1ILb0ELi512ELi2ELb1E19rocblas_complex_numIdEPKPKS1_S1_EviT4_llS6_lliPT5_PT3_.uses_flat_scratch, 0
	.set _ZL23rocblas_dot_kernel_inc1ILb0ELi512ELi2ELb1E19rocblas_complex_numIdEPKPKS1_S1_EviT4_llS6_lliPT5_PT3_.has_dyn_sized_stack, 0
	.set _ZL23rocblas_dot_kernel_inc1ILb0ELi512ELi2ELb1E19rocblas_complex_numIdEPKPKS1_S1_EviT4_llS6_lliPT5_PT3_.has_recursion, 0
	.set _ZL23rocblas_dot_kernel_inc1ILb0ELi512ELi2ELb1E19rocblas_complex_numIdEPKPKS1_S1_EviT4_llS6_lliPT5_PT3_.has_indirect_call, 0
	.section	.AMDGPU.csdata,"",@progbits
; Kernel info:
; codeLenInByte = 1380
; TotalNumSgprs: 24
; NumVgprs: 15
; ScratchSize: 0
; MemoryBound: 0
; FloatMode: 240
; IeeeMode: 1
; LDSByteSize: 1024 bytes/workgroup (compile time only)
; SGPRBlocks: 2
; VGPRBlocks: 3
; NumSGPRsForWavesPerEU: 24
; NumVGPRsForWavesPerEU: 15
; Occupancy: 10
; WaveLimiterHint : 1
; COMPUTE_PGM_RSRC2:SCRATCH_EN: 0
; COMPUTE_PGM_RSRC2:USER_SGPR: 6
; COMPUTE_PGM_RSRC2:TRAP_HANDLER: 0
; COMPUTE_PGM_RSRC2:TGID_X_EN: 1
; COMPUTE_PGM_RSRC2:TGID_Y_EN: 0
; COMPUTE_PGM_RSRC2:TGID_Z_EN: 1
; COMPUTE_PGM_RSRC2:TIDIG_COMP_CNT: 0
	.section	.text._ZL18rocblas_dot_kernelIiLb0ELi512ELi2ELb1E19rocblas_complex_numIdEPKPKS1_S1_EviT5_lT_lS6_lS7_liPT6_PT4_,"axG",@progbits,_ZL18rocblas_dot_kernelIiLb0ELi512ELi2ELb1E19rocblas_complex_numIdEPKPKS1_S1_EviT5_lT_lS6_lS7_liPT6_PT4_,comdat
	.globl	_ZL18rocblas_dot_kernelIiLb0ELi512ELi2ELb1E19rocblas_complex_numIdEPKPKS1_S1_EviT5_lT_lS6_lS7_liPT6_PT4_ ; -- Begin function _ZL18rocblas_dot_kernelIiLb0ELi512ELi2ELb1E19rocblas_complex_numIdEPKPKS1_S1_EviT5_lT_lS6_lS7_liPT6_PT4_
	.p2align	8
	.type	_ZL18rocblas_dot_kernelIiLb0ELi512ELi2ELb1E19rocblas_complex_numIdEPKPKS1_S1_EviT5_lT_lS6_lS7_liPT6_PT4_,@function
_ZL18rocblas_dot_kernelIiLb0ELi512ELi2ELb1E19rocblas_complex_numIdEPKPKS1_S1_EviT5_lT_lS6_lS7_liPT6_PT4_: ; @_ZL18rocblas_dot_kernelIiLb0ELi512ELi2ELb1E19rocblas_complex_numIdEPKPKS1_S1_EviT5_lT_lS6_lS7_liPT6_PT4_
; %bb.0:
	s_load_dword s8, s[4:5], 0x0
	s_load_dword s10, s[4:5], 0x60
	v_lshl_or_b32 v5, s6, 9, v0
	v_mov_b32_e32 v1, 0
	v_mov_b32_e32 v3, 0
	s_mov_b32 s2, s7
	s_mov_b32 s3, 0
	v_mov_b32_e32 v2, 0
	v_mov_b32_e32 v4, 0
	s_waitcnt lgkmcnt(0)
	v_cmp_gt_i32_e32 vcc, s8, v5
	s_and_saveexec_b64 s[0:1], vcc
	s_cbranch_execz .LBB134_4
; %bb.1:
	s_load_dwordx4 s[16:19], s[4:5], 0x8
	s_load_dword s7, s[4:5], 0x18
	s_load_dword s13, s[4:5], 0x38
	s_lshl_b64 s[14:15], s[2:3], 3
	s_waitcnt lgkmcnt(0)
	s_add_u32 s16, s16, s14
	s_addc_u32 s17, s17, s15
	s_load_dwordx2 s[24:25], s[16:17], 0x0
	s_load_dwordx4 s[20:23], s[4:5], 0x28
	v_mad_i64_i32 v[1:2], s[16:17], v5, s13, 0
	s_lshl_b64 s[16:17], s[18:19], 4
	s_waitcnt lgkmcnt(0)
	s_add_u32 s11, s24, s16
	s_addc_u32 s12, s25, s17
	s_add_u32 s14, s20, s14
	s_addc_u32 s15, s21, s15
	s_load_dwordx2 s[14:15], s[14:15], 0x0
	v_mad_i64_i32 v[3:4], s[16:17], v5, s7, 0
	s_lshl_b64 s[16:17], s[22:23], 4
	v_lshlrev_b64 v[1:2], 4, v[1:2]
	s_waitcnt lgkmcnt(0)
	s_add_u32 s14, s14, s16
	s_addc_u32 s15, s15, s17
	v_mov_b32_e32 v5, s15
	v_add_co_u32_e32 v9, vcc, s14, v1
	v_addc_co_u32_e32 v10, vcc, v5, v2, vcc
	v_lshlrev_b64 v[1:2], 4, v[3:4]
	v_mov_b32_e32 v3, s12
	v_add_co_u32_e32 v11, vcc, s11, v1
	v_addc_co_u32_e32 v12, vcc, v3, v2, vcc
	flat_load_dwordx4 v[1:4], v[11:12]
	flat_load_dwordx4 v[5:8], v[9:10]
	s_add_i32 s9, s6, s10
	s_waitcnt vmcnt(0) lgkmcnt(0)
	v_mul_f64 v[9:10], v[7:8], v[3:4]
	v_mul_f64 v[3:4], v[5:6], v[3:4]
	v_fma_f64 v[5:6], v[5:6], v[1:2], v[9:10]
	v_fma_f64 v[3:4], v[7:8], v[1:2], -v[3:4]
	v_add_f64 v[1:2], v[5:6], 0
	v_add_f64 v[3:4], v[3:4], 0
	v_lshl_or_b32 v5, s9, 9, v0
	v_cmp_gt_i32_e32 vcc, s8, v5
	s_and_saveexec_b64 s[8:9], vcc
	s_cbranch_execz .LBB134_3
; %bb.2:
	v_mad_i64_i32 v[6:7], s[16:17], v5, s13, 0
	v_mad_i64_i32 v[9:10], s[16:17], v5, s7, 0
	v_lshlrev_b64 v[6:7], 4, v[6:7]
	v_mov_b32_e32 v8, s15
	v_add_co_u32_e32 v5, vcc, s14, v6
	v_lshlrev_b64 v[9:10], 4, v[9:10]
	v_addc_co_u32_e32 v6, vcc, v8, v7, vcc
	v_mov_b32_e32 v11, s12
	v_add_co_u32_e32 v9, vcc, s11, v9
	v_addc_co_u32_e32 v10, vcc, v11, v10, vcc
	flat_load_dwordx4 v[5:8], v[5:6]
	s_nop 0
	flat_load_dwordx4 v[9:12], v[9:10]
	s_waitcnt vmcnt(0) lgkmcnt(0)
	v_mul_f64 v[13:14], v[5:6], v[11:12]
	v_mul_f64 v[11:12], v[7:8], v[11:12]
	v_fma_f64 v[7:8], v[7:8], v[9:10], -v[13:14]
	v_fma_f64 v[5:6], v[5:6], v[9:10], v[11:12]
	v_add_f64 v[3:4], v[3:4], v[7:8]
	v_add_f64 v[1:2], v[1:2], v[5:6]
.LBB134_3:
	s_or_b64 exec, exec, s[8:9]
.LBB134_4:
	s_or_b64 exec, exec, s[0:1]
	v_and_b32_e32 v10, 63, v0
	v_cmp_gt_u32_e32 vcc, 64, v0
	v_lshlrev_b32_e32 v9, 4, v10
	s_and_saveexec_b64 s[0:1], vcc
; %bb.5:
	v_mov_b32_e32 v5, 0
	v_mov_b32_e32 v6, v5
	;; [unrolled: 1-line block ×4, first 2 shown]
	ds_write_b128 v9, v[5:8]
; %bb.6:
	s_or_b64 exec, exec, s[0:1]
	v_mbcnt_lo_u32_b32 v5, -1, 0
	v_mbcnt_hi_u32_b32 v13, -1, v5
	v_mov_b32_e32 v5, 0x80
	v_lshl_or_b32 v8, v13, 2, v5
	ds_bpermute_b32 v5, v8, v1
	ds_bpermute_b32 v6, v8, v2
	;; [unrolled: 1-line block ×4, first 2 shown]
	v_and_b32_e32 v14, 63, v13
	v_cmp_gt_u32_e64 s[0:1], 48, v14
	s_waitcnt lgkmcnt(2)
	v_add_f64 v[1:2], v[1:2], v[5:6]
	v_cndmask_b32_e64 v5, 0, 16, s[0:1]
	s_waitcnt lgkmcnt(0)
	v_add_f64 v[3:4], v[3:4], v[7:8]
	v_add_lshl_u32 v8, v5, v13, 2
	v_cmp_gt_u32_e64 s[0:1], 56, v14
	s_barrier
	ds_bpermute_b32 v5, v8, v1
	ds_bpermute_b32 v6, v8, v2
	;; [unrolled: 1-line block ×4, first 2 shown]
	s_waitcnt lgkmcnt(2)
	v_add_f64 v[1:2], v[1:2], v[5:6]
	v_cndmask_b32_e64 v5, 0, 8, s[0:1]
	s_waitcnt lgkmcnt(0)
	v_add_f64 v[3:4], v[3:4], v[7:8]
	v_add_lshl_u32 v8, v5, v13, 2
	v_cmp_gt_u32_e64 s[0:1], 60, v14
	ds_bpermute_b32 v5, v8, v1
	ds_bpermute_b32 v6, v8, v2
	;; [unrolled: 1-line block ×4, first 2 shown]
	s_waitcnt lgkmcnt(2)
	v_add_f64 v[1:2], v[1:2], v[5:6]
	v_cndmask_b32_e64 v5, 0, 4, s[0:1]
	s_waitcnt lgkmcnt(0)
	v_add_f64 v[3:4], v[3:4], v[7:8]
	v_add_lshl_u32 v11, v5, v13, 2
	v_cmp_gt_u32_e64 s[0:1], 62, v14
	ds_bpermute_b32 v5, v11, v1
	ds_bpermute_b32 v6, v11, v2
	;; [unrolled: 1-line block ×4, first 2 shown]
	s_waitcnt lgkmcnt(2)
	v_add_f64 v[1:2], v[1:2], v[5:6]
	v_cndmask_b32_e64 v5, 0, 2, s[0:1]
	s_waitcnt lgkmcnt(0)
	v_add_f64 v[3:4], v[3:4], v[7:8]
	v_add_lshl_u32 v12, v5, v13, 2
	v_cmp_ne_u32_e64 s[0:1], 63, v14
	ds_bpermute_b32 v5, v12, v1
	ds_bpermute_b32 v6, v12, v2
	;; [unrolled: 1-line block ×4, first 2 shown]
	s_waitcnt lgkmcnt(2)
	v_add_f64 v[1:2], v[1:2], v[5:6]
	v_addc_co_u32_e64 v5, s[0:1], 0, v13, s[0:1]
	s_waitcnt lgkmcnt(0)
	v_add_f64 v[3:4], v[3:4], v[7:8]
	v_lshlrev_b32_e32 v13, 2, v5
	v_cmp_eq_u32_e64 s[0:1], 0, v10
	ds_bpermute_b32 v5, v13, v1
	ds_bpermute_b32 v6, v13, v2
	;; [unrolled: 1-line block ×4, first 2 shown]
	s_and_saveexec_b64 s[8:9], s[0:1]
	s_cbranch_execz .LBB134_8
; %bb.7:
	s_waitcnt lgkmcnt(0)
	v_add_f64 v[3:4], v[3:4], v[7:8]
	v_add_f64 v[1:2], v[1:2], v[5:6]
	v_lshrrev_b32_e32 v5, 2, v0
	v_and_b32_e32 v5, 0x70, v5
	ds_write_b128 v5, v[1:4]
.LBB134_8:
	s_or_b64 exec, exec, s[8:9]
	v_mov_b32_e32 v3, 0
	v_mov_b32_e32 v1, 0
	;; [unrolled: 1-line block ×4, first 2 shown]
	v_cmp_gt_u32_e64 s[0:1], 8, v0
	s_waitcnt lgkmcnt(0)
	s_barrier
	s_and_saveexec_b64 s[8:9], s[0:1]
	s_cbranch_execnz .LBB134_12
; %bb.9:
	s_or_b64 exec, exec, s[8:9]
	s_and_saveexec_b64 s[0:1], vcc
	s_cbranch_execnz .LBB134_13
.LBB134_10:
	s_or_b64 exec, exec, s[0:1]
	v_cmp_eq_u32_e32 vcc, 0, v0
	s_and_saveexec_b64 s[0:1], vcc
	s_cbranch_execnz .LBB134_14
.LBB134_11:
	s_endpgm
.LBB134_12:
	ds_read_b128 v[1:4], v9
	s_or_b64 exec, exec, s[8:9]
	s_and_saveexec_b64 s[0:1], vcc
	s_cbranch_execz .LBB134_10
.LBB134_13:
	s_waitcnt lgkmcnt(0)
	ds_bpermute_b32 v5, v11, v1
	ds_bpermute_b32 v6, v11, v2
	ds_bpermute_b32 v7, v11, v3
	ds_bpermute_b32 v8, v11, v4
	s_waitcnt lgkmcnt(2)
	v_add_f64 v[1:2], v[1:2], v[5:6]
	s_waitcnt lgkmcnt(0)
	v_add_f64 v[3:4], v[3:4], v[7:8]
	ds_bpermute_b32 v5, v12, v1
	ds_bpermute_b32 v6, v12, v2
	ds_bpermute_b32 v7, v12, v3
	ds_bpermute_b32 v8, v12, v4
	s_waitcnt lgkmcnt(2)
	v_add_f64 v[1:2], v[1:2], v[5:6]
	s_waitcnt lgkmcnt(0)
	v_add_f64 v[3:4], v[3:4], v[7:8]
	;; [unrolled: 8-line block ×3, first 2 shown]
	s_or_b64 exec, exec, s[0:1]
	v_cmp_eq_u32_e32 vcc, 0, v0
	s_and_saveexec_b64 s[0:1], vcc
	s_cbranch_execz .LBB134_11
.LBB134_14:
	s_cmp_lg_u32 s10, 1
	s_cbranch_scc0 .LBB134_16
; %bb.15:
	s_load_dwordx2 s[0:1], s[4:5], 0x50
	s_mul_hi_u32 s9, s10, s2
	s_mul_i32 s8, s10, s2
	s_lshl_b64 s[8:9], s[8:9], 4
	s_mov_b32 s7, 0
	s_waitcnt lgkmcnt(0)
	s_add_u32 s8, s0, s8
	s_addc_u32 s9, s1, s9
	s_lshl_b64 s[0:1], s[6:7], 4
	s_add_u32 s0, s8, s0
	s_addc_u32 s1, s9, s1
	v_mov_b32_e32 v0, 0
	global_store_dwordx2 v0, v[1:2], s[0:1]
	s_cbranch_execz .LBB134_17
	s_branch .LBB134_18
.LBB134_16:
                                        ; implicit-def: $sgpr0_sgpr1
.LBB134_17:
	s_load_dwordx2 s[0:1], s[4:5], 0x58
	s_lshl_b64 s[2:3], s[2:3], 4
	v_mov_b32_e32 v0, 0
	s_waitcnt lgkmcnt(0)
	s_add_u32 s0, s0, s2
	s_addc_u32 s1, s1, s3
	global_store_dwordx2 v0, v[1:2], s[0:1]
.LBB134_18:
	v_mov_b32_e32 v0, 0
	s_waitcnt lgkmcnt(0)
	global_store_dwordx2 v0, v[3:4], s[0:1] offset:8
	s_endpgm
	.section	.rodata,"a",@progbits
	.p2align	6, 0x0
	.amdhsa_kernel _ZL18rocblas_dot_kernelIiLb0ELi512ELi2ELb1E19rocblas_complex_numIdEPKPKS1_S1_EviT5_lT_lS6_lS7_liPT6_PT4_
		.amdhsa_group_segment_fixed_size 1024
		.amdhsa_private_segment_fixed_size 0
		.amdhsa_kernarg_size 352
		.amdhsa_user_sgpr_count 6
		.amdhsa_user_sgpr_private_segment_buffer 1
		.amdhsa_user_sgpr_dispatch_ptr 0
		.amdhsa_user_sgpr_queue_ptr 0
		.amdhsa_user_sgpr_kernarg_segment_ptr 1
		.amdhsa_user_sgpr_dispatch_id 0
		.amdhsa_user_sgpr_flat_scratch_init 0
		.amdhsa_user_sgpr_private_segment_size 0
		.amdhsa_uses_dynamic_stack 0
		.amdhsa_system_sgpr_private_segment_wavefront_offset 0
		.amdhsa_system_sgpr_workgroup_id_x 1
		.amdhsa_system_sgpr_workgroup_id_y 0
		.amdhsa_system_sgpr_workgroup_id_z 1
		.amdhsa_system_sgpr_workgroup_info 0
		.amdhsa_system_vgpr_workitem_id 0
		.amdhsa_next_free_vgpr 15
		.amdhsa_next_free_sgpr 26
		.amdhsa_reserve_vcc 1
		.amdhsa_reserve_flat_scratch 0
		.amdhsa_float_round_mode_32 0
		.amdhsa_float_round_mode_16_64 0
		.amdhsa_float_denorm_mode_32 3
		.amdhsa_float_denorm_mode_16_64 3
		.amdhsa_dx10_clamp 1
		.amdhsa_ieee_mode 1
		.amdhsa_fp16_overflow 0
		.amdhsa_exception_fp_ieee_invalid_op 0
		.amdhsa_exception_fp_denorm_src 0
		.amdhsa_exception_fp_ieee_div_zero 0
		.amdhsa_exception_fp_ieee_overflow 0
		.amdhsa_exception_fp_ieee_underflow 0
		.amdhsa_exception_fp_ieee_inexact 0
		.amdhsa_exception_int_div_zero 0
	.end_amdhsa_kernel
	.section	.text._ZL18rocblas_dot_kernelIiLb0ELi512ELi2ELb1E19rocblas_complex_numIdEPKPKS1_S1_EviT5_lT_lS6_lS7_liPT6_PT4_,"axG",@progbits,_ZL18rocblas_dot_kernelIiLb0ELi512ELi2ELb1E19rocblas_complex_numIdEPKPKS1_S1_EviT5_lT_lS6_lS7_liPT6_PT4_,comdat
.Lfunc_end134:
	.size	_ZL18rocblas_dot_kernelIiLb0ELi512ELi2ELb1E19rocblas_complex_numIdEPKPKS1_S1_EviT5_lT_lS6_lS7_liPT6_PT4_, .Lfunc_end134-_ZL18rocblas_dot_kernelIiLb0ELi512ELi2ELb1E19rocblas_complex_numIdEPKPKS1_S1_EviT5_lT_lS6_lS7_liPT6_PT4_
                                        ; -- End function
	.set _ZL18rocblas_dot_kernelIiLb0ELi512ELi2ELb1E19rocblas_complex_numIdEPKPKS1_S1_EviT5_lT_lS6_lS7_liPT6_PT4_.num_vgpr, 15
	.set _ZL18rocblas_dot_kernelIiLb0ELi512ELi2ELb1E19rocblas_complex_numIdEPKPKS1_S1_EviT5_lT_lS6_lS7_liPT6_PT4_.num_agpr, 0
	.set _ZL18rocblas_dot_kernelIiLb0ELi512ELi2ELb1E19rocblas_complex_numIdEPKPKS1_S1_EviT5_lT_lS6_lS7_liPT6_PT4_.numbered_sgpr, 26
	.set _ZL18rocblas_dot_kernelIiLb0ELi512ELi2ELb1E19rocblas_complex_numIdEPKPKS1_S1_EviT5_lT_lS6_lS7_liPT6_PT4_.num_named_barrier, 0
	.set _ZL18rocblas_dot_kernelIiLb0ELi512ELi2ELb1E19rocblas_complex_numIdEPKPKS1_S1_EviT5_lT_lS6_lS7_liPT6_PT4_.private_seg_size, 0
	.set _ZL18rocblas_dot_kernelIiLb0ELi512ELi2ELb1E19rocblas_complex_numIdEPKPKS1_S1_EviT5_lT_lS6_lS7_liPT6_PT4_.uses_vcc, 1
	.set _ZL18rocblas_dot_kernelIiLb0ELi512ELi2ELb1E19rocblas_complex_numIdEPKPKS1_S1_EviT5_lT_lS6_lS7_liPT6_PT4_.uses_flat_scratch, 0
	.set _ZL18rocblas_dot_kernelIiLb0ELi512ELi2ELb1E19rocblas_complex_numIdEPKPKS1_S1_EviT5_lT_lS6_lS7_liPT6_PT4_.has_dyn_sized_stack, 0
	.set _ZL18rocblas_dot_kernelIiLb0ELi512ELi2ELb1E19rocblas_complex_numIdEPKPKS1_S1_EviT5_lT_lS6_lS7_liPT6_PT4_.has_recursion, 0
	.set _ZL18rocblas_dot_kernelIiLb0ELi512ELi2ELb1E19rocblas_complex_numIdEPKPKS1_S1_EviT5_lT_lS6_lS7_liPT6_PT4_.has_indirect_call, 0
	.section	.AMDGPU.csdata,"",@progbits
; Kernel info:
; codeLenInByte = 1436
; TotalNumSgprs: 30
; NumVgprs: 15
; ScratchSize: 0
; MemoryBound: 0
; FloatMode: 240
; IeeeMode: 1
; LDSByteSize: 1024 bytes/workgroup (compile time only)
; SGPRBlocks: 3
; VGPRBlocks: 3
; NumSGPRsForWavesPerEU: 30
; NumVGPRsForWavesPerEU: 15
; Occupancy: 10
; WaveLimiterHint : 1
; COMPUTE_PGM_RSRC2:SCRATCH_EN: 0
; COMPUTE_PGM_RSRC2:USER_SGPR: 6
; COMPUTE_PGM_RSRC2:TRAP_HANDLER: 0
; COMPUTE_PGM_RSRC2:TGID_X_EN: 1
; COMPUTE_PGM_RSRC2:TGID_Y_EN: 0
; COMPUTE_PGM_RSRC2:TGID_Z_EN: 1
; COMPUTE_PGM_RSRC2:TIDIG_COMP_CNT: 0
	.section	.text._ZL24rocblas_dot_kernel_magsqIiLb0ELi512ELi2ELb1E19rocblas_complex_numIdEPKPKS1_S1_EviT5_lT_liPT6_PT4_,"axG",@progbits,_ZL24rocblas_dot_kernel_magsqIiLb0ELi512ELi2ELb1E19rocblas_complex_numIdEPKPKS1_S1_EviT5_lT_liPT6_PT4_,comdat
	.globl	_ZL24rocblas_dot_kernel_magsqIiLb0ELi512ELi2ELb1E19rocblas_complex_numIdEPKPKS1_S1_EviT5_lT_liPT6_PT4_ ; -- Begin function _ZL24rocblas_dot_kernel_magsqIiLb0ELi512ELi2ELb1E19rocblas_complex_numIdEPKPKS1_S1_EviT5_lT_liPT6_PT4_
	.p2align	8
	.type	_ZL24rocblas_dot_kernel_magsqIiLb0ELi512ELi2ELb1E19rocblas_complex_numIdEPKPKS1_S1_EviT5_lT_liPT6_PT4_,@function
_ZL24rocblas_dot_kernel_magsqIiLb0ELi512ELi2ELb1E19rocblas_complex_numIdEPKPKS1_S1_EviT5_lT_liPT6_PT4_: ; @_ZL24rocblas_dot_kernel_magsqIiLb0ELi512ELi2ELb1E19rocblas_complex_numIdEPKPKS1_S1_EviT5_lT_liPT6_PT4_
; %bb.0:
	s_mov_b32 s2, s7
	s_load_dword s7, s[4:5], 0x0
	s_load_dword s10, s[4:5], 0x40
	v_lshl_or_b32 v5, s6, 9, v0
	v_mov_b32_e32 v1, 0
	v_mov_b32_e32 v3, 0
	s_mov_b32 s3, 0
	v_mov_b32_e32 v2, 0
	v_mov_b32_e32 v4, 0
	s_waitcnt lgkmcnt(0)
	v_cmp_gt_i32_e32 vcc, s7, v5
	s_and_saveexec_b64 s[0:1], vcc
	s_cbranch_execz .LBB135_4
; %bb.1:
	s_load_dwordx4 s[12:15], s[4:5], 0x8
	s_load_dword s11, s[4:5], 0x18
	s_lshl_b64 s[8:9], s[2:3], 3
	s_waitcnt lgkmcnt(0)
	s_add_u32 s8, s12, s8
	s_addc_u32 s9, s13, s9
	s_load_dwordx2 s[8:9], s[8:9], 0x0
	v_mad_i64_i32 v[1:2], s[16:17], v5, s11, 0
	s_lshl_b64 s[12:13], s[14:15], 4
	v_lshlrev_b64 v[1:2], 4, v[1:2]
	s_waitcnt lgkmcnt(0)
	s_add_u32 s12, s8, s12
	s_addc_u32 s13, s9, s13
	v_mov_b32_e32 v3, s13
	v_add_co_u32_e32 v1, vcc, s12, v1
	v_addc_co_u32_e32 v2, vcc, v3, v2, vcc
	flat_load_dwordx4 v[1:4], v[1:2]
	s_add_i32 s8, s6, s10
	s_waitcnt vmcnt(0) lgkmcnt(0)
	v_mul_f64 v[5:6], v[1:2], v[3:4]
	v_mul_f64 v[7:8], v[3:4], v[3:4]
	v_fma_f64 v[3:4], v[1:2], v[3:4], -v[5:6]
	v_fma_f64 v[1:2], v[1:2], v[1:2], v[7:8]
	v_lshl_or_b32 v5, s8, 9, v0
	v_cmp_gt_i32_e32 vcc, s7, v5
	v_add_f64 v[3:4], v[3:4], 0
	s_and_saveexec_b64 s[8:9], vcc
	s_cbranch_execz .LBB135_3
; %bb.2:
	v_mad_i64_i32 v[5:6], s[14:15], v5, s11, 0
	v_mov_b32_e32 v7, s13
	v_lshlrev_b64 v[5:6], 4, v[5:6]
	v_add_co_u32_e32 v5, vcc, s12, v5
	v_addc_co_u32_e32 v6, vcc, v7, v6, vcc
	flat_load_dwordx4 v[5:8], v[5:6]
	s_waitcnt vmcnt(0) lgkmcnt(0)
	v_mul_f64 v[9:10], v[5:6], v[7:8]
	v_mul_f64 v[11:12], v[7:8], v[7:8]
	v_fma_f64 v[7:8], v[5:6], v[7:8], -v[9:10]
	v_fma_f64 v[5:6], v[5:6], v[5:6], v[11:12]
	v_add_f64 v[3:4], v[3:4], v[7:8]
	v_add_f64 v[1:2], v[1:2], v[5:6]
.LBB135_3:
	s_or_b64 exec, exec, s[8:9]
.LBB135_4:
	s_or_b64 exec, exec, s[0:1]
	v_and_b32_e32 v10, 63, v0
	v_cmp_gt_u32_e32 vcc, 64, v0
	v_lshlrev_b32_e32 v9, 4, v10
	s_and_saveexec_b64 s[0:1], vcc
; %bb.5:
	v_mov_b32_e32 v5, 0
	v_mov_b32_e32 v6, v5
	v_mov_b32_e32 v7, v5
	v_mov_b32_e32 v8, v5
	ds_write_b128 v9, v[5:8]
; %bb.6:
	s_or_b64 exec, exec, s[0:1]
	v_mbcnt_lo_u32_b32 v5, -1, 0
	v_mbcnt_hi_u32_b32 v13, -1, v5
	v_mov_b32_e32 v5, 0x80
	v_lshl_or_b32 v8, v13, 2, v5
	ds_bpermute_b32 v5, v8, v1
	ds_bpermute_b32 v6, v8, v2
	;; [unrolled: 1-line block ×4, first 2 shown]
	v_and_b32_e32 v14, 63, v13
	v_cmp_gt_u32_e64 s[0:1], 48, v14
	s_waitcnt lgkmcnt(2)
	v_add_f64 v[1:2], v[1:2], v[5:6]
	v_cndmask_b32_e64 v5, 0, 16, s[0:1]
	s_waitcnt lgkmcnt(0)
	v_add_f64 v[3:4], v[3:4], v[7:8]
	v_add_lshl_u32 v8, v5, v13, 2
	v_cmp_gt_u32_e64 s[0:1], 56, v14
	s_barrier
	ds_bpermute_b32 v5, v8, v1
	ds_bpermute_b32 v6, v8, v2
	;; [unrolled: 1-line block ×4, first 2 shown]
	s_waitcnt lgkmcnt(2)
	v_add_f64 v[1:2], v[1:2], v[5:6]
	v_cndmask_b32_e64 v5, 0, 8, s[0:1]
	s_waitcnt lgkmcnt(0)
	v_add_f64 v[3:4], v[3:4], v[7:8]
	v_add_lshl_u32 v8, v5, v13, 2
	v_cmp_gt_u32_e64 s[0:1], 60, v14
	ds_bpermute_b32 v5, v8, v1
	ds_bpermute_b32 v6, v8, v2
	;; [unrolled: 1-line block ×4, first 2 shown]
	s_waitcnt lgkmcnt(2)
	v_add_f64 v[1:2], v[1:2], v[5:6]
	v_cndmask_b32_e64 v5, 0, 4, s[0:1]
	s_waitcnt lgkmcnt(0)
	v_add_f64 v[3:4], v[3:4], v[7:8]
	v_add_lshl_u32 v11, v5, v13, 2
	v_cmp_gt_u32_e64 s[0:1], 62, v14
	ds_bpermute_b32 v5, v11, v1
	ds_bpermute_b32 v6, v11, v2
	;; [unrolled: 1-line block ×4, first 2 shown]
	s_waitcnt lgkmcnt(2)
	v_add_f64 v[1:2], v[1:2], v[5:6]
	v_cndmask_b32_e64 v5, 0, 2, s[0:1]
	s_waitcnt lgkmcnt(0)
	v_add_f64 v[3:4], v[3:4], v[7:8]
	v_add_lshl_u32 v12, v5, v13, 2
	v_cmp_ne_u32_e64 s[0:1], 63, v14
	ds_bpermute_b32 v5, v12, v1
	ds_bpermute_b32 v6, v12, v2
	;; [unrolled: 1-line block ×4, first 2 shown]
	s_waitcnt lgkmcnt(2)
	v_add_f64 v[1:2], v[1:2], v[5:6]
	v_addc_co_u32_e64 v5, s[0:1], 0, v13, s[0:1]
	s_waitcnt lgkmcnt(0)
	v_add_f64 v[3:4], v[3:4], v[7:8]
	v_lshlrev_b32_e32 v13, 2, v5
	v_cmp_eq_u32_e64 s[0:1], 0, v10
	ds_bpermute_b32 v5, v13, v1
	ds_bpermute_b32 v6, v13, v2
	;; [unrolled: 1-line block ×4, first 2 shown]
	s_and_saveexec_b64 s[8:9], s[0:1]
	s_cbranch_execz .LBB135_8
; %bb.7:
	s_waitcnt lgkmcnt(0)
	v_add_f64 v[3:4], v[3:4], v[7:8]
	v_add_f64 v[1:2], v[1:2], v[5:6]
	v_lshrrev_b32_e32 v5, 2, v0
	v_and_b32_e32 v5, 0x70, v5
	ds_write_b128 v5, v[1:4]
.LBB135_8:
	s_or_b64 exec, exec, s[8:9]
	v_mov_b32_e32 v3, 0
	v_mov_b32_e32 v1, 0
	;; [unrolled: 1-line block ×4, first 2 shown]
	v_cmp_gt_u32_e64 s[0:1], 8, v0
	s_waitcnt lgkmcnt(0)
	s_barrier
	s_and_saveexec_b64 s[8:9], s[0:1]
	s_cbranch_execnz .LBB135_12
; %bb.9:
	s_or_b64 exec, exec, s[8:9]
	s_and_saveexec_b64 s[0:1], vcc
	s_cbranch_execnz .LBB135_13
.LBB135_10:
	s_or_b64 exec, exec, s[0:1]
	v_cmp_eq_u32_e32 vcc, 0, v0
	s_and_saveexec_b64 s[0:1], vcc
	s_cbranch_execnz .LBB135_14
.LBB135_11:
	s_endpgm
.LBB135_12:
	ds_read_b128 v[1:4], v9
	s_or_b64 exec, exec, s[8:9]
	s_and_saveexec_b64 s[0:1], vcc
	s_cbranch_execz .LBB135_10
.LBB135_13:
	s_waitcnt lgkmcnt(0)
	ds_bpermute_b32 v5, v11, v1
	ds_bpermute_b32 v6, v11, v2
	ds_bpermute_b32 v7, v11, v3
	ds_bpermute_b32 v8, v11, v4
	s_waitcnt lgkmcnt(2)
	v_add_f64 v[1:2], v[1:2], v[5:6]
	s_waitcnt lgkmcnt(0)
	v_add_f64 v[3:4], v[3:4], v[7:8]
	ds_bpermute_b32 v5, v12, v1
	ds_bpermute_b32 v6, v12, v2
	ds_bpermute_b32 v7, v12, v3
	ds_bpermute_b32 v8, v12, v4
	s_waitcnt lgkmcnt(2)
	v_add_f64 v[1:2], v[1:2], v[5:6]
	s_waitcnt lgkmcnt(0)
	v_add_f64 v[3:4], v[3:4], v[7:8]
	;; [unrolled: 8-line block ×3, first 2 shown]
	s_or_b64 exec, exec, s[0:1]
	v_cmp_eq_u32_e32 vcc, 0, v0
	s_and_saveexec_b64 s[0:1], vcc
	s_cbranch_execz .LBB135_11
.LBB135_14:
	s_cmp_lg_u32 s10, 1
	s_cbranch_scc0 .LBB135_16
; %bb.15:
	s_load_dwordx2 s[0:1], s[4:5], 0x30
	s_mul_hi_u32 s9, s10, s2
	s_mul_i32 s8, s10, s2
	s_lshl_b64 s[8:9], s[8:9], 4
	s_mov_b32 s7, 0
	s_waitcnt lgkmcnt(0)
	s_add_u32 s8, s0, s8
	s_addc_u32 s9, s1, s9
	s_lshl_b64 s[0:1], s[6:7], 4
	s_add_u32 s0, s8, s0
	s_addc_u32 s1, s9, s1
	v_mov_b32_e32 v0, 0
	global_store_dwordx2 v0, v[1:2], s[0:1]
	s_cbranch_execz .LBB135_17
	s_branch .LBB135_18
.LBB135_16:
                                        ; implicit-def: $sgpr0_sgpr1
.LBB135_17:
	s_load_dwordx2 s[0:1], s[4:5], 0x38
	s_lshl_b64 s[2:3], s[2:3], 4
	v_mov_b32_e32 v0, 0
	s_waitcnt lgkmcnt(0)
	s_add_u32 s0, s0, s2
	s_addc_u32 s1, s1, s3
	global_store_dwordx2 v0, v[1:2], s[0:1]
.LBB135_18:
	v_mov_b32_e32 v0, 0
	s_waitcnt lgkmcnt(0)
	global_store_dwordx2 v0, v[3:4], s[0:1] offset:8
	s_endpgm
	.section	.rodata,"a",@progbits
	.p2align	6, 0x0
	.amdhsa_kernel _ZL24rocblas_dot_kernel_magsqIiLb0ELi512ELi2ELb1E19rocblas_complex_numIdEPKPKS1_S1_EviT5_lT_liPT6_PT4_
		.amdhsa_group_segment_fixed_size 1024
		.amdhsa_private_segment_fixed_size 0
		.amdhsa_kernarg_size 320
		.amdhsa_user_sgpr_count 6
		.amdhsa_user_sgpr_private_segment_buffer 1
		.amdhsa_user_sgpr_dispatch_ptr 0
		.amdhsa_user_sgpr_queue_ptr 0
		.amdhsa_user_sgpr_kernarg_segment_ptr 1
		.amdhsa_user_sgpr_dispatch_id 0
		.amdhsa_user_sgpr_flat_scratch_init 0
		.amdhsa_user_sgpr_private_segment_size 0
		.amdhsa_uses_dynamic_stack 0
		.amdhsa_system_sgpr_private_segment_wavefront_offset 0
		.amdhsa_system_sgpr_workgroup_id_x 1
		.amdhsa_system_sgpr_workgroup_id_y 0
		.amdhsa_system_sgpr_workgroup_id_z 1
		.amdhsa_system_sgpr_workgroup_info 0
		.amdhsa_system_vgpr_workitem_id 0
		.amdhsa_next_free_vgpr 15
		.amdhsa_next_free_sgpr 18
		.amdhsa_reserve_vcc 1
		.amdhsa_reserve_flat_scratch 0
		.amdhsa_float_round_mode_32 0
		.amdhsa_float_round_mode_16_64 0
		.amdhsa_float_denorm_mode_32 3
		.amdhsa_float_denorm_mode_16_64 3
		.amdhsa_dx10_clamp 1
		.amdhsa_ieee_mode 1
		.amdhsa_fp16_overflow 0
		.amdhsa_exception_fp_ieee_invalid_op 0
		.amdhsa_exception_fp_denorm_src 0
		.amdhsa_exception_fp_ieee_div_zero 0
		.amdhsa_exception_fp_ieee_overflow 0
		.amdhsa_exception_fp_ieee_underflow 0
		.amdhsa_exception_fp_ieee_inexact 0
		.amdhsa_exception_int_div_zero 0
	.end_amdhsa_kernel
	.section	.text._ZL24rocblas_dot_kernel_magsqIiLb0ELi512ELi2ELb1E19rocblas_complex_numIdEPKPKS1_S1_EviT5_lT_liPT6_PT4_,"axG",@progbits,_ZL24rocblas_dot_kernel_magsqIiLb0ELi512ELi2ELb1E19rocblas_complex_numIdEPKPKS1_S1_EviT5_lT_liPT6_PT4_,comdat
.Lfunc_end135:
	.size	_ZL24rocblas_dot_kernel_magsqIiLb0ELi512ELi2ELb1E19rocblas_complex_numIdEPKPKS1_S1_EviT5_lT_liPT6_PT4_, .Lfunc_end135-_ZL24rocblas_dot_kernel_magsqIiLb0ELi512ELi2ELb1E19rocblas_complex_numIdEPKPKS1_S1_EviT5_lT_liPT6_PT4_
                                        ; -- End function
	.set _ZL24rocblas_dot_kernel_magsqIiLb0ELi512ELi2ELb1E19rocblas_complex_numIdEPKPKS1_S1_EviT5_lT_liPT6_PT4_.num_vgpr, 15
	.set _ZL24rocblas_dot_kernel_magsqIiLb0ELi512ELi2ELb1E19rocblas_complex_numIdEPKPKS1_S1_EviT5_lT_liPT6_PT4_.num_agpr, 0
	.set _ZL24rocblas_dot_kernel_magsqIiLb0ELi512ELi2ELb1E19rocblas_complex_numIdEPKPKS1_S1_EviT5_lT_liPT6_PT4_.numbered_sgpr, 18
	.set _ZL24rocblas_dot_kernel_magsqIiLb0ELi512ELi2ELb1E19rocblas_complex_numIdEPKPKS1_S1_EviT5_lT_liPT6_PT4_.num_named_barrier, 0
	.set _ZL24rocblas_dot_kernel_magsqIiLb0ELi512ELi2ELb1E19rocblas_complex_numIdEPKPKS1_S1_EviT5_lT_liPT6_PT4_.private_seg_size, 0
	.set _ZL24rocblas_dot_kernel_magsqIiLb0ELi512ELi2ELb1E19rocblas_complex_numIdEPKPKS1_S1_EviT5_lT_liPT6_PT4_.uses_vcc, 1
	.set _ZL24rocblas_dot_kernel_magsqIiLb0ELi512ELi2ELb1E19rocblas_complex_numIdEPKPKS1_S1_EviT5_lT_liPT6_PT4_.uses_flat_scratch, 0
	.set _ZL24rocblas_dot_kernel_magsqIiLb0ELi512ELi2ELb1E19rocblas_complex_numIdEPKPKS1_S1_EviT5_lT_liPT6_PT4_.has_dyn_sized_stack, 0
	.set _ZL24rocblas_dot_kernel_magsqIiLb0ELi512ELi2ELb1E19rocblas_complex_numIdEPKPKS1_S1_EviT5_lT_liPT6_PT4_.has_recursion, 0
	.set _ZL24rocblas_dot_kernel_magsqIiLb0ELi512ELi2ELb1E19rocblas_complex_numIdEPKPKS1_S1_EviT5_lT_liPT6_PT4_.has_indirect_call, 0
	.section	.AMDGPU.csdata,"",@progbits
; Kernel info:
; codeLenInByte = 1304
; TotalNumSgprs: 22
; NumVgprs: 15
; ScratchSize: 0
; MemoryBound: 0
; FloatMode: 240
; IeeeMode: 1
; LDSByteSize: 1024 bytes/workgroup (compile time only)
; SGPRBlocks: 2
; VGPRBlocks: 3
; NumSGPRsForWavesPerEU: 22
; NumVGPRsForWavesPerEU: 15
; Occupancy: 10
; WaveLimiterHint : 1
; COMPUTE_PGM_RSRC2:SCRATCH_EN: 0
; COMPUTE_PGM_RSRC2:USER_SGPR: 6
; COMPUTE_PGM_RSRC2:TRAP_HANDLER: 0
; COMPUTE_PGM_RSRC2:TGID_X_EN: 1
; COMPUTE_PGM_RSRC2:TGID_Y_EN: 0
; COMPUTE_PGM_RSRC2:TGID_Z_EN: 1
; COMPUTE_PGM_RSRC2:TIDIG_COMP_CNT: 0
	.section	.text._ZL28rocblas_dot_batched_4_kernelIiLi32ELi4ELb0EfDF16_PKDF16_EviT5_lT_lS2_lS3_liPT4_,"axG",@progbits,_ZL28rocblas_dot_batched_4_kernelIiLi32ELi4ELb0EfDF16_PKDF16_EviT5_lT_lS2_lS3_liPT4_,comdat
	.globl	_ZL28rocblas_dot_batched_4_kernelIiLi32ELi4ELb0EfDF16_PKDF16_EviT5_lT_lS2_lS3_liPT4_ ; -- Begin function _ZL28rocblas_dot_batched_4_kernelIiLi32ELi4ELb0EfDF16_PKDF16_EviT5_lT_lS2_lS3_liPT4_
	.p2align	8
	.type	_ZL28rocblas_dot_batched_4_kernelIiLi32ELi4ELb0EfDF16_PKDF16_EviT5_lT_lS2_lS3_liPT4_,@function
_ZL28rocblas_dot_batched_4_kernelIiLi32ELi4ELb0EfDF16_PKDF16_EviT5_lT_lS2_lS3_liPT4_: ; @_ZL28rocblas_dot_batched_4_kernelIiLi32ELi4ELb0EfDF16_PKDF16_EviT5_lT_lS2_lS3_liPT4_
; %bb.0:
	s_load_dword s0, s[4:5], 0x48
	v_lshl_add_u32 v1, s6, 2, v1
	s_waitcnt lgkmcnt(0)
	v_cmp_gt_u32_e32 vcc, s0, v1
	s_and_saveexec_b64 s[0:1], vcc
	s_cbranch_execz .LBB136_7
; %bb.1:
	s_load_dword s12, s[4:5], 0x0
	s_load_dwordx2 s[6:7], s[4:5], 0x50
	v_mov_b32_e32 v2, 0
	v_mov_b32_e32 v7, v2
	s_waitcnt lgkmcnt(0)
	v_cmp_gt_i32_e32 vcc, s12, v0
	s_and_saveexec_b64 s[8:9], vcc
	s_cbranch_execz .LBB136_5
; %bb.2:
	s_load_dwordx4 s[0:3], s[4:5], 0x20
	s_load_dwordx4 s[16:19], s[4:5], 0x8
	s_load_dword s10, s[4:5], 0x18
	s_load_dwordx2 s[14:15], s[4:5], 0x30
	s_waitcnt lgkmcnt(0)
	v_mad_u64_u32 v[3:4], s[20:21], s0, v1, 0
	s_load_dword s0, s[4:5], 0x38
	s_load_dwordx2 s[20:21], s[4:5], 0x40
	v_mad_i64_i32 v[5:6], s[4:5], s10, v0, 0
	s_ashr_i32 s11, s10, 31
	v_mad_u64_u32 v[7:8], s[4:5], s1, v1, v[4:5]
	v_lshlrev_b64 v[5:6], 1, v[5:6]
	s_waitcnt lgkmcnt(0)
	s_ashr_i32 s1, s0, 31
	v_mov_b32_e32 v4, v7
	v_lshlrev_b64 v[3:4], 1, v[3:4]
	s_lshl_b64 s[4:5], s[18:19], 1
	v_add_co_u32_e32 v11, vcc, v5, v3
	s_add_u32 s13, s16, s4
	v_addc_co_u32_e32 v4, vcc, v6, v4, vcc
	s_addc_u32 s16, s17, s5
	v_mad_u64_u32 v[5:6], s[4:5], s20, v1, 0
	v_mad_i64_i32 v[7:8], s[4:5], s0, v0, 0
	v_mov_b32_e32 v3, v6
	v_mad_u64_u32 v[9:10], s[4:5], s21, v1, v[3:4]
	v_mov_b32_e32 v12, s16
	v_add_co_u32_e32 v3, vcc, s13, v11
	v_mov_b32_e32 v6, v9
	v_lshlrev_b64 v[7:8], 1, v[7:8]
	v_lshlrev_b64 v[5:6], 1, v[5:6]
	v_addc_co_u32_e32 v4, vcc, v12, v4, vcc
	s_lshl_b64 s[4:5], s[10:11], 6
	s_lshl_b64 s[10:11], s[14:15], 1
	v_add_co_u32_e32 v5, vcc, v7, v5
	s_add_u32 s2, s2, s10
	v_addc_co_u32_e32 v6, vcc, v8, v6, vcc
	s_addc_u32 s3, s3, s11
	v_mov_b32_e32 v7, s3
	v_add_co_u32_e32 v5, vcc, s2, v5
	v_addc_co_u32_e32 v6, vcc, v7, v6, vcc
	s_lshl_b64 s[2:3], s[0:1], 6
	v_mov_b32_e32 v7, 0
	s_mov_b64 s[10:11], 0
	v_mov_b32_e32 v8, v0
.LBB136_3:                              ; =>This Inner Loop Header: Depth=1
	global_load_ushort v9, v[3:4], off
	global_load_ushort v10, v[5:6], off
	v_mov_b32_e32 v12, s3
	v_add_co_u32_e32 v5, vcc, s2, v5
	v_add_u32_e32 v8, 32, v8
	v_addc_co_u32_e32 v6, vcc, v6, v12, vcc
	v_mov_b32_e32 v11, s5
	v_add_co_u32_e64 v3, s[0:1], s4, v3
	v_cmp_le_i32_e32 vcc, s12, v8
	v_addc_co_u32_e64 v4, s[0:1], v4, v11, s[0:1]
	s_or_b64 s[10:11], vcc, s[10:11]
	s_waitcnt vmcnt(0)
	v_fma_mix_f32 v7, v9, v10, v7 op_sel_hi:[1,1,0]
	s_andn2_b64 exec, exec, s[10:11]
	s_cbranch_execnz .LBB136_3
; %bb.4:
	s_or_b64 exec, exec, s[10:11]
.LBB136_5:
	s_or_b64 exec, exec, s[8:9]
	v_mbcnt_lo_u32_b32 v3, -1, 0
	v_mbcnt_hi_u32_b32 v3, -1, v3
	v_and_b32_e32 v4, 63, v3
	v_cmp_gt_u32_e32 vcc, 48, v4
	v_cndmask_b32_e64 v5, 0, 16, vcc
	v_add_lshl_u32 v5, v5, v3, 2
	ds_bpermute_b32 v5, v5, v7
	v_cmp_gt_u32_e32 vcc, 56, v4
	v_cndmask_b32_e64 v6, 0, 8, vcc
	v_add_lshl_u32 v6, v6, v3, 2
	v_cmp_gt_u32_e32 vcc, 60, v4
	s_waitcnt lgkmcnt(0)
	v_add_f32_e32 v5, v7, v5
	ds_bpermute_b32 v6, v6, v5
	v_cndmask_b32_e64 v7, 0, 4, vcc
	v_add_lshl_u32 v7, v7, v3, 2
	v_cmp_gt_u32_e32 vcc, 62, v4
	s_waitcnt lgkmcnt(0)
	v_add_f32_e32 v5, v5, v6
	ds_bpermute_b32 v6, v7, v5
	v_cndmask_b32_e64 v7, 0, 2, vcc
	v_add_lshl_u32 v7, v7, v3, 2
	v_cmp_ne_u32_e32 vcc, 63, v4
	v_addc_co_u32_e32 v4, vcc, 0, v3, vcc
	s_waitcnt lgkmcnt(0)
	v_add_f32_e32 v5, v5, v6
	ds_bpermute_b32 v6, v7, v5
	v_lshlrev_b32_e32 v4, 2, v4
	v_cmp_eq_u32_e32 vcc, 0, v0
	s_waitcnt lgkmcnt(0)
	s_barrier
	v_add_f32_e32 v3, v5, v6
	ds_bpermute_b32 v4, v4, v3
	s_and_b64 exec, exec, vcc
	s_cbranch_execz .LBB136_7
; %bb.6:
	s_waitcnt lgkmcnt(0)
	v_add_f32_e32 v3, v3, v4
	v_lshlrev_b64 v[0:1], 1, v[1:2]
	v_cvt_f16_f32_e32 v3, v3
	v_mov_b32_e32 v2, s7
	v_add_co_u32_e32 v0, vcc, s6, v0
	v_addc_co_u32_e32 v1, vcc, v2, v1, vcc
	global_store_short v[0:1], v3, off
.LBB136_7:
	s_endpgm
	.section	.rodata,"a",@progbits
	.p2align	6, 0x0
	.amdhsa_kernel _ZL28rocblas_dot_batched_4_kernelIiLi32ELi4ELb0EfDF16_PKDF16_EviT5_lT_lS2_lS3_liPT4_
		.amdhsa_group_segment_fixed_size 0
		.amdhsa_private_segment_fixed_size 0
		.amdhsa_kernarg_size 88
		.amdhsa_user_sgpr_count 6
		.amdhsa_user_sgpr_private_segment_buffer 1
		.amdhsa_user_sgpr_dispatch_ptr 0
		.amdhsa_user_sgpr_queue_ptr 0
		.amdhsa_user_sgpr_kernarg_segment_ptr 1
		.amdhsa_user_sgpr_dispatch_id 0
		.amdhsa_user_sgpr_flat_scratch_init 0
		.amdhsa_user_sgpr_private_segment_size 0
		.amdhsa_uses_dynamic_stack 0
		.amdhsa_system_sgpr_private_segment_wavefront_offset 0
		.amdhsa_system_sgpr_workgroup_id_x 1
		.amdhsa_system_sgpr_workgroup_id_y 0
		.amdhsa_system_sgpr_workgroup_id_z 0
		.amdhsa_system_sgpr_workgroup_info 0
		.amdhsa_system_vgpr_workitem_id 1
		.amdhsa_next_free_vgpr 13
		.amdhsa_next_free_sgpr 22
		.amdhsa_reserve_vcc 1
		.amdhsa_reserve_flat_scratch 0
		.amdhsa_float_round_mode_32 0
		.amdhsa_float_round_mode_16_64 0
		.amdhsa_float_denorm_mode_32 3
		.amdhsa_float_denorm_mode_16_64 3
		.amdhsa_dx10_clamp 1
		.amdhsa_ieee_mode 1
		.amdhsa_fp16_overflow 0
		.amdhsa_exception_fp_ieee_invalid_op 0
		.amdhsa_exception_fp_denorm_src 0
		.amdhsa_exception_fp_ieee_div_zero 0
		.amdhsa_exception_fp_ieee_overflow 0
		.amdhsa_exception_fp_ieee_underflow 0
		.amdhsa_exception_fp_ieee_inexact 0
		.amdhsa_exception_int_div_zero 0
	.end_amdhsa_kernel
	.section	.text._ZL28rocblas_dot_batched_4_kernelIiLi32ELi4ELb0EfDF16_PKDF16_EviT5_lT_lS2_lS3_liPT4_,"axG",@progbits,_ZL28rocblas_dot_batched_4_kernelIiLi32ELi4ELb0EfDF16_PKDF16_EviT5_lT_lS2_lS3_liPT4_,comdat
.Lfunc_end136:
	.size	_ZL28rocblas_dot_batched_4_kernelIiLi32ELi4ELb0EfDF16_PKDF16_EviT5_lT_lS2_lS3_liPT4_, .Lfunc_end136-_ZL28rocblas_dot_batched_4_kernelIiLi32ELi4ELb0EfDF16_PKDF16_EviT5_lT_lS2_lS3_liPT4_
                                        ; -- End function
	.set _ZL28rocblas_dot_batched_4_kernelIiLi32ELi4ELb0EfDF16_PKDF16_EviT5_lT_lS2_lS3_liPT4_.num_vgpr, 13
	.set _ZL28rocblas_dot_batched_4_kernelIiLi32ELi4ELb0EfDF16_PKDF16_EviT5_lT_lS2_lS3_liPT4_.num_agpr, 0
	.set _ZL28rocblas_dot_batched_4_kernelIiLi32ELi4ELb0EfDF16_PKDF16_EviT5_lT_lS2_lS3_liPT4_.numbered_sgpr, 22
	.set _ZL28rocblas_dot_batched_4_kernelIiLi32ELi4ELb0EfDF16_PKDF16_EviT5_lT_lS2_lS3_liPT4_.num_named_barrier, 0
	.set _ZL28rocblas_dot_batched_4_kernelIiLi32ELi4ELb0EfDF16_PKDF16_EviT5_lT_lS2_lS3_liPT4_.private_seg_size, 0
	.set _ZL28rocblas_dot_batched_4_kernelIiLi32ELi4ELb0EfDF16_PKDF16_EviT5_lT_lS2_lS3_liPT4_.uses_vcc, 1
	.set _ZL28rocblas_dot_batched_4_kernelIiLi32ELi4ELb0EfDF16_PKDF16_EviT5_lT_lS2_lS3_liPT4_.uses_flat_scratch, 0
	.set _ZL28rocblas_dot_batched_4_kernelIiLi32ELi4ELb0EfDF16_PKDF16_EviT5_lT_lS2_lS3_liPT4_.has_dyn_sized_stack, 0
	.set _ZL28rocblas_dot_batched_4_kernelIiLi32ELi4ELb0EfDF16_PKDF16_EviT5_lT_lS2_lS3_liPT4_.has_recursion, 0
	.set _ZL28rocblas_dot_batched_4_kernelIiLi32ELi4ELb0EfDF16_PKDF16_EviT5_lT_lS2_lS3_liPT4_.has_indirect_call, 0
	.section	.AMDGPU.csdata,"",@progbits
; Kernel info:
; codeLenInByte = 644
; TotalNumSgprs: 26
; NumVgprs: 13
; ScratchSize: 0
; MemoryBound: 0
; FloatMode: 240
; IeeeMode: 1
; LDSByteSize: 0 bytes/workgroup (compile time only)
; SGPRBlocks: 3
; VGPRBlocks: 3
; NumSGPRsForWavesPerEU: 26
; NumVGPRsForWavesPerEU: 13
; Occupancy: 10
; WaveLimiterHint : 0
; COMPUTE_PGM_RSRC2:SCRATCH_EN: 0
; COMPUTE_PGM_RSRC2:USER_SGPR: 6
; COMPUTE_PGM_RSRC2:TRAP_HANDLER: 0
; COMPUTE_PGM_RSRC2:TGID_X_EN: 1
; COMPUTE_PGM_RSRC2:TGID_Y_EN: 0
; COMPUTE_PGM_RSRC2:TGID_Z_EN: 0
; COMPUTE_PGM_RSRC2:TIDIG_COMP_CNT: 1
	.section	.text._ZL28rocblas_dot_batched_4_kernelIiLi64ELi4ELb0EfDF16_PKDF16_EviT5_lT_lS2_lS3_liPT4_,"axG",@progbits,_ZL28rocblas_dot_batched_4_kernelIiLi64ELi4ELb0EfDF16_PKDF16_EviT5_lT_lS2_lS3_liPT4_,comdat
	.globl	_ZL28rocblas_dot_batched_4_kernelIiLi64ELi4ELb0EfDF16_PKDF16_EviT5_lT_lS2_lS3_liPT4_ ; -- Begin function _ZL28rocblas_dot_batched_4_kernelIiLi64ELi4ELb0EfDF16_PKDF16_EviT5_lT_lS2_lS3_liPT4_
	.p2align	8
	.type	_ZL28rocblas_dot_batched_4_kernelIiLi64ELi4ELb0EfDF16_PKDF16_EviT5_lT_lS2_lS3_liPT4_,@function
_ZL28rocblas_dot_batched_4_kernelIiLi64ELi4ELb0EfDF16_PKDF16_EviT5_lT_lS2_lS3_liPT4_: ; @_ZL28rocblas_dot_batched_4_kernelIiLi64ELi4ELb0EfDF16_PKDF16_EviT5_lT_lS2_lS3_liPT4_
; %bb.0:
	s_load_dword s0, s[4:5], 0x48
	v_lshl_add_u32 v1, s6, 2, v1
	s_waitcnt lgkmcnt(0)
	v_cmp_gt_u32_e32 vcc, s0, v1
	s_and_saveexec_b64 s[0:1], vcc
	s_cbranch_execz .LBB137_7
; %bb.1:
	s_load_dword s12, s[4:5], 0x0
	s_load_dwordx2 s[6:7], s[4:5], 0x50
	v_mov_b32_e32 v2, 0
	v_mov_b32_e32 v7, v2
	s_waitcnt lgkmcnt(0)
	v_cmp_gt_i32_e32 vcc, s12, v0
	s_and_saveexec_b64 s[8:9], vcc
	s_cbranch_execz .LBB137_5
; %bb.2:
	s_load_dwordx4 s[0:3], s[4:5], 0x20
	s_load_dwordx4 s[16:19], s[4:5], 0x8
	s_load_dword s10, s[4:5], 0x18
	s_load_dwordx2 s[14:15], s[4:5], 0x30
	s_waitcnt lgkmcnt(0)
	v_mad_u64_u32 v[3:4], s[20:21], s0, v1, 0
	s_load_dword s0, s[4:5], 0x38
	s_load_dwordx2 s[20:21], s[4:5], 0x40
	v_mad_i64_i32 v[5:6], s[4:5], s10, v0, 0
	s_ashr_i32 s11, s10, 31
	v_mad_u64_u32 v[7:8], s[4:5], s1, v1, v[4:5]
	v_lshlrev_b64 v[5:6], 1, v[5:6]
	s_waitcnt lgkmcnt(0)
	s_ashr_i32 s1, s0, 31
	v_mov_b32_e32 v4, v7
	v_lshlrev_b64 v[3:4], 1, v[3:4]
	s_lshl_b64 s[4:5], s[18:19], 1
	v_add_co_u32_e32 v11, vcc, v5, v3
	s_add_u32 s13, s16, s4
	v_addc_co_u32_e32 v4, vcc, v6, v4, vcc
	s_addc_u32 s16, s17, s5
	v_mad_u64_u32 v[5:6], s[4:5], s20, v1, 0
	v_mad_i64_i32 v[7:8], s[4:5], s0, v0, 0
	v_mov_b32_e32 v3, v6
	v_mad_u64_u32 v[9:10], s[4:5], s21, v1, v[3:4]
	v_mov_b32_e32 v12, s16
	v_add_co_u32_e32 v3, vcc, s13, v11
	v_mov_b32_e32 v6, v9
	v_lshlrev_b64 v[7:8], 1, v[7:8]
	v_lshlrev_b64 v[5:6], 1, v[5:6]
	v_addc_co_u32_e32 v4, vcc, v12, v4, vcc
	s_lshl_b64 s[4:5], s[10:11], 7
	s_lshl_b64 s[10:11], s[14:15], 1
	v_add_co_u32_e32 v5, vcc, v7, v5
	s_add_u32 s2, s2, s10
	v_addc_co_u32_e32 v6, vcc, v8, v6, vcc
	s_addc_u32 s3, s3, s11
	v_mov_b32_e32 v7, s3
	v_add_co_u32_e32 v5, vcc, s2, v5
	v_addc_co_u32_e32 v6, vcc, v7, v6, vcc
	s_lshl_b64 s[2:3], s[0:1], 7
	v_mov_b32_e32 v7, 0
	s_mov_b64 s[10:11], 0
	v_mov_b32_e32 v8, v0
.LBB137_3:                              ; =>This Inner Loop Header: Depth=1
	global_load_ushort v9, v[3:4], off
	global_load_ushort v10, v[5:6], off
	v_mov_b32_e32 v12, s3
	v_add_co_u32_e32 v5, vcc, s2, v5
	v_add_u32_e32 v8, 64, v8
	v_addc_co_u32_e32 v6, vcc, v6, v12, vcc
	v_mov_b32_e32 v11, s5
	v_add_co_u32_e64 v3, s[0:1], s4, v3
	v_cmp_le_i32_e32 vcc, s12, v8
	v_addc_co_u32_e64 v4, s[0:1], v4, v11, s[0:1]
	s_or_b64 s[10:11], vcc, s[10:11]
	s_waitcnt vmcnt(0)
	v_fma_mix_f32 v7, v9, v10, v7 op_sel_hi:[1,1,0]
	s_andn2_b64 exec, exec, s[10:11]
	s_cbranch_execnz .LBB137_3
; %bb.4:
	s_or_b64 exec, exec, s[10:11]
.LBB137_5:
	s_or_b64 exec, exec, s[8:9]
	v_mbcnt_lo_u32_b32 v3, -1, 0
	v_mbcnt_hi_u32_b32 v3, -1, v3
	v_mov_b32_e32 v4, 0x80
	v_lshl_or_b32 v4, v3, 2, v4
	ds_bpermute_b32 v4, v4, v7
	v_and_b32_e32 v5, 63, v3
	v_cmp_gt_u32_e32 vcc, 48, v5
	v_cndmask_b32_e64 v6, 0, 16, vcc
	v_add_lshl_u32 v6, v6, v3, 2
	s_waitcnt lgkmcnt(0)
	v_add_f32_e32 v4, v7, v4
	ds_bpermute_b32 v6, v6, v4
	v_cmp_gt_u32_e32 vcc, 56, v5
	v_cndmask_b32_e64 v7, 0, 8, vcc
	v_add_lshl_u32 v7, v7, v3, 2
	v_cmp_gt_u32_e32 vcc, 60, v5
	s_waitcnt lgkmcnt(0)
	v_add_f32_e32 v4, v4, v6
	ds_bpermute_b32 v6, v7, v4
	v_cndmask_b32_e64 v7, 0, 4, vcc
	v_add_lshl_u32 v7, v7, v3, 2
	v_cmp_gt_u32_e32 vcc, 62, v5
	s_waitcnt lgkmcnt(0)
	v_add_f32_e32 v4, v4, v6
	ds_bpermute_b32 v6, v7, v4
	v_cndmask_b32_e64 v7, 0, 2, vcc
	v_add_lshl_u32 v7, v7, v3, 2
	v_cmp_ne_u32_e32 vcc, 63, v5
	v_addc_co_u32_e32 v5, vcc, 0, v3, vcc
	s_waitcnt lgkmcnt(0)
	v_add_f32_e32 v4, v4, v6
	ds_bpermute_b32 v6, v7, v4
	v_cmp_eq_u32_e32 vcc, 0, v0
	s_waitcnt lgkmcnt(0)
	s_barrier
	v_add_f32_e32 v3, v4, v6
	v_lshlrev_b32_e32 v4, 2, v5
	ds_bpermute_b32 v4, v4, v3
	s_and_b64 exec, exec, vcc
	s_cbranch_execz .LBB137_7
; %bb.6:
	s_waitcnt lgkmcnt(0)
	v_add_f32_e32 v3, v3, v4
	v_lshlrev_b64 v[0:1], 1, v[1:2]
	v_cvt_f16_f32_e32 v3, v3
	v_mov_b32_e32 v2, s7
	v_add_co_u32_e32 v0, vcc, s6, v0
	v_addc_co_u32_e32 v1, vcc, v2, v1, vcc
	global_store_short v[0:1], v3, off
.LBB137_7:
	s_endpgm
	.section	.rodata,"a",@progbits
	.p2align	6, 0x0
	.amdhsa_kernel _ZL28rocblas_dot_batched_4_kernelIiLi64ELi4ELb0EfDF16_PKDF16_EviT5_lT_lS2_lS3_liPT4_
		.amdhsa_group_segment_fixed_size 0
		.amdhsa_private_segment_fixed_size 0
		.amdhsa_kernarg_size 88
		.amdhsa_user_sgpr_count 6
		.amdhsa_user_sgpr_private_segment_buffer 1
		.amdhsa_user_sgpr_dispatch_ptr 0
		.amdhsa_user_sgpr_queue_ptr 0
		.amdhsa_user_sgpr_kernarg_segment_ptr 1
		.amdhsa_user_sgpr_dispatch_id 0
		.amdhsa_user_sgpr_flat_scratch_init 0
		.amdhsa_user_sgpr_private_segment_size 0
		.amdhsa_uses_dynamic_stack 0
		.amdhsa_system_sgpr_private_segment_wavefront_offset 0
		.amdhsa_system_sgpr_workgroup_id_x 1
		.amdhsa_system_sgpr_workgroup_id_y 0
		.amdhsa_system_sgpr_workgroup_id_z 0
		.amdhsa_system_sgpr_workgroup_info 0
		.amdhsa_system_vgpr_workitem_id 1
		.amdhsa_next_free_vgpr 13
		.amdhsa_next_free_sgpr 22
		.amdhsa_reserve_vcc 1
		.amdhsa_reserve_flat_scratch 0
		.amdhsa_float_round_mode_32 0
		.amdhsa_float_round_mode_16_64 0
		.amdhsa_float_denorm_mode_32 3
		.amdhsa_float_denorm_mode_16_64 3
		.amdhsa_dx10_clamp 1
		.amdhsa_ieee_mode 1
		.amdhsa_fp16_overflow 0
		.amdhsa_exception_fp_ieee_invalid_op 0
		.amdhsa_exception_fp_denorm_src 0
		.amdhsa_exception_fp_ieee_div_zero 0
		.amdhsa_exception_fp_ieee_overflow 0
		.amdhsa_exception_fp_ieee_underflow 0
		.amdhsa_exception_fp_ieee_inexact 0
		.amdhsa_exception_int_div_zero 0
	.end_amdhsa_kernel
	.section	.text._ZL28rocblas_dot_batched_4_kernelIiLi64ELi4ELb0EfDF16_PKDF16_EviT5_lT_lS2_lS3_liPT4_,"axG",@progbits,_ZL28rocblas_dot_batched_4_kernelIiLi64ELi4ELb0EfDF16_PKDF16_EviT5_lT_lS2_lS3_liPT4_,comdat
.Lfunc_end137:
	.size	_ZL28rocblas_dot_batched_4_kernelIiLi64ELi4ELb0EfDF16_PKDF16_EviT5_lT_lS2_lS3_liPT4_, .Lfunc_end137-_ZL28rocblas_dot_batched_4_kernelIiLi64ELi4ELb0EfDF16_PKDF16_EviT5_lT_lS2_lS3_liPT4_
                                        ; -- End function
	.set _ZL28rocblas_dot_batched_4_kernelIiLi64ELi4ELb0EfDF16_PKDF16_EviT5_lT_lS2_lS3_liPT4_.num_vgpr, 13
	.set _ZL28rocblas_dot_batched_4_kernelIiLi64ELi4ELb0EfDF16_PKDF16_EviT5_lT_lS2_lS3_liPT4_.num_agpr, 0
	.set _ZL28rocblas_dot_batched_4_kernelIiLi64ELi4ELb0EfDF16_PKDF16_EviT5_lT_lS2_lS3_liPT4_.numbered_sgpr, 22
	.set _ZL28rocblas_dot_batched_4_kernelIiLi64ELi4ELb0EfDF16_PKDF16_EviT5_lT_lS2_lS3_liPT4_.num_named_barrier, 0
	.set _ZL28rocblas_dot_batched_4_kernelIiLi64ELi4ELb0EfDF16_PKDF16_EviT5_lT_lS2_lS3_liPT4_.private_seg_size, 0
	.set _ZL28rocblas_dot_batched_4_kernelIiLi64ELi4ELb0EfDF16_PKDF16_EviT5_lT_lS2_lS3_liPT4_.uses_vcc, 1
	.set _ZL28rocblas_dot_batched_4_kernelIiLi64ELi4ELb0EfDF16_PKDF16_EviT5_lT_lS2_lS3_liPT4_.uses_flat_scratch, 0
	.set _ZL28rocblas_dot_batched_4_kernelIiLi64ELi4ELb0EfDF16_PKDF16_EviT5_lT_lS2_lS3_liPT4_.has_dyn_sized_stack, 0
	.set _ZL28rocblas_dot_batched_4_kernelIiLi64ELi4ELb0EfDF16_PKDF16_EviT5_lT_lS2_lS3_liPT4_.has_recursion, 0
	.set _ZL28rocblas_dot_batched_4_kernelIiLi64ELi4ELb0EfDF16_PKDF16_EviT5_lT_lS2_lS3_liPT4_.has_indirect_call, 0
	.section	.AMDGPU.csdata,"",@progbits
; Kernel info:
; codeLenInByte = 676
; TotalNumSgprs: 26
; NumVgprs: 13
; ScratchSize: 0
; MemoryBound: 0
; FloatMode: 240
; IeeeMode: 1
; LDSByteSize: 0 bytes/workgroup (compile time only)
; SGPRBlocks: 3
; VGPRBlocks: 3
; NumSGPRsForWavesPerEU: 26
; NumVGPRsForWavesPerEU: 13
; Occupancy: 10
; WaveLimiterHint : 0
; COMPUTE_PGM_RSRC2:SCRATCH_EN: 0
; COMPUTE_PGM_RSRC2:USER_SGPR: 6
; COMPUTE_PGM_RSRC2:TRAP_HANDLER: 0
; COMPUTE_PGM_RSRC2:TGID_X_EN: 1
; COMPUTE_PGM_RSRC2:TGID_Y_EN: 0
; COMPUTE_PGM_RSRC2:TGID_Z_EN: 0
; COMPUTE_PGM_RSRC2:TIDIG_COMP_CNT: 1
	.section	.text._ZL26rocblas_dot_kernel_inc1by2ILb1ELi1024ELi32ELb0EDF16_PKDF16_fEviT4_llS2_lliPT5_PT3_,"axG",@progbits,_ZL26rocblas_dot_kernel_inc1by2ILb1ELi1024ELi32ELb0EDF16_PKDF16_fEviT4_llS2_lliPT5_PT3_,comdat
	.globl	_ZL26rocblas_dot_kernel_inc1by2ILb1ELi1024ELi32ELb0EDF16_PKDF16_fEviT4_llS2_lliPT5_PT3_ ; -- Begin function _ZL26rocblas_dot_kernel_inc1by2ILb1ELi1024ELi32ELb0EDF16_PKDF16_fEviT4_llS2_lliPT5_PT3_
	.p2align	8
	.type	_ZL26rocblas_dot_kernel_inc1by2ILb1ELi1024ELi32ELb0EDF16_PKDF16_fEviT4_llS2_lliPT5_PT3_,@function
_ZL26rocblas_dot_kernel_inc1by2ILb1ELi1024ELi32ELb0EDF16_PKDF16_fEviT4_llS2_lliPT5_PT3_: ; @_ZL26rocblas_dot_kernel_inc1by2ILb1ELi1024ELi32ELb0EDF16_PKDF16_fEviT4_llS2_lliPT5_PT3_
; %bb.0:
	s_mov_b32 s2, s7
	s_load_dword s24, s[4:5], 0x0
	s_load_dwordx2 s[18:19], s[4:5], 0x8
	s_load_dwordx4 s[12:15], s[4:5], 0x10
	s_load_dwordx2 s[16:17], s[4:5], 0x20
	s_load_dwordx2 s[6:7], s[4:5], 0x48
	s_load_dwordx4 s[8:11], s[4:5], 0x28
	v_lshlrev_b32_e32 v6, 1, v0
	s_waitcnt lgkmcnt(0)
	s_mul_i32 s0, s15, s2
	s_mul_hi_u32 s1, s14, s2
	s_add_i32 s15, s1, s0
	s_mul_i32 s0, s11, s2
	s_mul_hi_u32 s1, s10, s2
	s_add_i32 s4, s24, -1
	s_mov_b32 s3, 0
	s_mul_i32 s14, s14, s2
	s_add_i32 s11, s1, s0
	s_mul_i32 s10, s10, s2
	v_cmp_gt_i32_e32 vcc, s4, v6
	v_mov_b32_e32 v5, 0
	s_and_saveexec_b64 s[20:21], vcc
	s_cbranch_execz .LBB138_4
; %bb.1:
	s_lshl_b64 s[0:1], s[10:11], 1
	s_lshl_b64 s[22:23], s[8:9], 1
	s_add_u32 s5, s16, s22
	s_addc_u32 s22, s17, s23
	s_add_u32 s0, s5, s0
	v_lshlrev_b32_e32 v3, 2, v0
	s_addc_u32 s1, s22, s1
	v_mov_b32_e32 v2, s1
	v_add_co_u32_e32 v1, vcc, s0, v3
	s_lshl_b64 s[0:1], s[14:15], 1
	s_lshl_b64 s[22:23], s[12:13], 1
	s_add_u32 s5, s18, s22
	s_addc_u32 s22, s19, s23
	s_add_u32 s0, s5, s0
	v_addc_co_u32_e32 v2, vcc, 0, v2, vcc
	s_addc_u32 s1, s22, s1
	v_mov_b32_e32 v4, s1
	v_add_co_u32_e32 v3, vcc, s0, v3
	v_mov_b32_e32 v5, 0
	v_addc_co_u32_e32 v4, vcc, 0, v4, vcc
	s_mov_b64 s[22:23], 0
	s_mov_b32 s5, s3
.LBB138_2:                              ; =>This Inner Loop Header: Depth=1
	global_load_dword v7, v[1:2], off
	global_load_dword v8, v[3:4], off
	s_add_i32 s25, s5, 1
	v_add_u32_e32 v6, 0x800, v6
	s_cmp_gt_u32 s5, 30
	v_add_co_u32_e32 v1, vcc, 0x1000, v1
	v_cmp_le_i32_e64 s[0:1], s4, v6
	s_cselect_b64 s[26:27], -1, 0
	v_addc_co_u32_e32 v2, vcc, 0, v2, vcc
	s_or_b64 s[0:1], s[26:27], s[0:1]
	v_add_co_u32_e32 v3, vcc, 0x1000, v3
	s_and_b64 s[0:1], exec, s[0:1]
	s_mov_b32 s5, s25
	v_addc_co_u32_e32 v4, vcc, 0, v4, vcc
	s_or_b64 s[22:23], s[0:1], s[22:23]
	s_waitcnt vmcnt(0)
	v_dot2_f32_f16 v5, v7, v8, v5
	s_andn2_b64 exec, exec, s[22:23]
	s_cbranch_execnz .LBB138_2
; %bb.3:
	s_or_b64 exec, exec, s[22:23]
.LBB138_4:
	s_or_b64 exec, exec, s[20:21]
	s_bitcmp1_b32 s24, 0
	s_cselect_b64 s[0:1], -1, 0
	v_cmp_eq_u32_e32 vcc, s4, v6
	s_and_b64 s[20:21], s[0:1], vcc
	s_and_saveexec_b64 s[0:1], s[20:21]
	s_cbranch_execz .LBB138_6
; %bb.5:
	s_lshl_b64 s[14:15], s[14:15], 1
	s_add_u32 s5, s18, s14
	s_addc_u32 s14, s19, s15
	s_lshl_b64 s[12:13], s[12:13], 1
	s_add_u32 s12, s5, s12
	s_addc_u32 s13, s14, s13
	;; [unrolled: 3-line block ×3, first 2 shown]
	s_lshl_b64 s[8:9], s[8:9], 1
	s_add_u32 s8, s5, s8
	s_mov_b32 s5, 0
	s_addc_u32 s9, s10, s9
	s_lshl_b64 s[4:5], s[4:5], 1
	s_add_u32 s8, s8, s4
	s_addc_u32 s9, s9, s5
	v_mov_b32_e32 v1, 0
	s_add_u32 s4, s12, s4
	s_addc_u32 s5, s13, s5
	global_load_ushort v2, v1, s[8:9]
	global_load_ushort v3, v1, s[4:5]
	s_waitcnt vmcnt(0)
	v_fma_mix_f32 v5, v2, v3, v5 op_sel_hi:[1,1,0]
.LBB138_6:
	s_or_b64 exec, exec, s[0:1]
	v_and_b32_e32 v4, 63, v0
	v_cmp_gt_u32_e32 vcc, 64, v0
	v_lshlrev_b32_e32 v1, 2, v4
	s_and_saveexec_b64 s[0:1], vcc
; %bb.7:
	v_mov_b32_e32 v2, 0
	ds_write_b32 v1, v2
; %bb.8:
	s_or_b64 exec, exec, s[0:1]
	v_mbcnt_lo_u32_b32 v2, -1, 0
	v_mbcnt_hi_u32_b32 v6, -1, v2
	v_mov_b32_e32 v2, 0x80
	v_lshl_or_b32 v2, v6, 2, v2
	ds_bpermute_b32 v2, v2, v5
	v_and_b32_e32 v7, 63, v6
	v_cmp_gt_u32_e64 s[0:1], 48, v7
	v_cndmask_b32_e64 v3, 0, 16, s[0:1]
	v_cmp_gt_u32_e64 s[0:1], 56, v7
	s_waitcnt lgkmcnt(0)
	v_add_f32_e32 v5, v5, v2
	v_add_lshl_u32 v2, v3, v6, 2
	ds_bpermute_b32 v3, v2, v5
	v_cndmask_b32_e64 v2, 0, 8, s[0:1]
	v_add_lshl_u32 v2, v2, v6, 2
	v_cmp_gt_u32_e64 s[0:1], 60, v7
	s_waitcnt lgkmcnt(0)
	v_add_f32_e32 v5, v5, v3
	ds_bpermute_b32 v8, v2, v5
	v_cndmask_b32_e64 v3, 0, 4, s[0:1]
	v_add_lshl_u32 v3, v3, v6, 2
	v_cmp_gt_u32_e64 s[0:1], 62, v7
	s_waitcnt lgkmcnt(0)
	s_barrier
	v_add_f32_e32 v8, v5, v8
	ds_bpermute_b32 v9, v3, v8
	v_cndmask_b32_e64 v5, 0, 2, s[0:1]
	v_add_lshl_u32 v5, v5, v6, 2
	v_cmp_ne_u32_e64 s[0:1], 63, v7
	v_addc_co_u32_e64 v6, s[0:1], 0, v6, s[0:1]
	s_waitcnt lgkmcnt(0)
	v_add_f32_e32 v8, v8, v9
	ds_bpermute_b32 v9, v5, v8
	v_lshlrev_b32_e32 v6, 2, v6
	v_cmp_eq_u32_e64 s[0:1], 0, v4
	s_waitcnt lgkmcnt(0)
	v_add_f32_e32 v7, v8, v9
	ds_bpermute_b32 v8, v6, v7
	s_and_saveexec_b64 s[4:5], s[0:1]
	s_cbranch_execz .LBB138_10
; %bb.9:
	s_waitcnt lgkmcnt(0)
	v_add_f32_e32 v4, v7, v8
	v_lshrrev_b32_e32 v7, 4, v0
	v_and_b32_e32 v7, 60, v7
	ds_write_b32 v7, v4
.LBB138_10:
	s_or_b64 exec, exec, s[4:5]
	v_cmp_gt_u32_e64 s[0:1], 16, v0
	v_mov_b32_e32 v4, 0
	s_waitcnt lgkmcnt(0)
	s_barrier
	s_and_saveexec_b64 s[4:5], s[0:1]
	s_cbranch_execnz .LBB138_14
; %bb.11:
	s_or_b64 exec, exec, s[4:5]
	s_and_saveexec_b64 s[0:1], vcc
	s_cbranch_execnz .LBB138_15
.LBB138_12:
	s_or_b64 exec, exec, s[0:1]
	v_cmp_eq_u32_e32 vcc, 0, v0
	s_and_saveexec_b64 s[0:1], vcc
	s_cbranch_execnz .LBB138_16
.LBB138_13:
	s_endpgm
.LBB138_14:
	ds_read_b32 v4, v1
	s_or_b64 exec, exec, s[4:5]
	s_and_saveexec_b64 s[0:1], vcc
	s_cbranch_execz .LBB138_12
.LBB138_15:
	s_waitcnt lgkmcnt(0)
	ds_bpermute_b32 v1, v2, v4
	s_waitcnt lgkmcnt(0)
	v_add_f32_e32 v1, v4, v1
	ds_bpermute_b32 v2, v3, v1
	s_waitcnt lgkmcnt(0)
	v_add_f32_e32 v1, v1, v2
	;; [unrolled: 3-line block ×4, first 2 shown]
	s_or_b64 exec, exec, s[0:1]
	v_cmp_eq_u32_e32 vcc, 0, v0
	s_and_saveexec_b64 s[0:1], vcc
	s_cbranch_execz .LBB138_13
.LBB138_16:
	s_waitcnt lgkmcnt(0)
	v_cvt_f16_f32_e32 v0, v4
	s_lshl_b64 s[0:1], s[2:3], 1
	s_add_u32 s0, s6, s0
	s_addc_u32 s1, s7, s1
	v_mov_b32_e32 v1, 0
	global_store_short v1, v0, s[0:1]
	s_endpgm
	.section	.rodata,"a",@progbits
	.p2align	6, 0x0
	.amdhsa_kernel _ZL26rocblas_dot_kernel_inc1by2ILb1ELi1024ELi32ELb0EDF16_PKDF16_fEviT4_llS2_lliPT5_PT3_
		.amdhsa_group_segment_fixed_size 256
		.amdhsa_private_segment_fixed_size 0
		.amdhsa_kernarg_size 80
		.amdhsa_user_sgpr_count 6
		.amdhsa_user_sgpr_private_segment_buffer 1
		.amdhsa_user_sgpr_dispatch_ptr 0
		.amdhsa_user_sgpr_queue_ptr 0
		.amdhsa_user_sgpr_kernarg_segment_ptr 1
		.amdhsa_user_sgpr_dispatch_id 0
		.amdhsa_user_sgpr_flat_scratch_init 0
		.amdhsa_user_sgpr_private_segment_size 0
		.amdhsa_uses_dynamic_stack 0
		.amdhsa_system_sgpr_private_segment_wavefront_offset 0
		.amdhsa_system_sgpr_workgroup_id_x 1
		.amdhsa_system_sgpr_workgroup_id_y 0
		.amdhsa_system_sgpr_workgroup_id_z 1
		.amdhsa_system_sgpr_workgroup_info 0
		.amdhsa_system_vgpr_workitem_id 0
		.amdhsa_next_free_vgpr 10
		.amdhsa_next_free_sgpr 28
		.amdhsa_reserve_vcc 1
		.amdhsa_reserve_flat_scratch 0
		.amdhsa_float_round_mode_32 0
		.amdhsa_float_round_mode_16_64 0
		.amdhsa_float_denorm_mode_32 3
		.amdhsa_float_denorm_mode_16_64 3
		.amdhsa_dx10_clamp 1
		.amdhsa_ieee_mode 1
		.amdhsa_fp16_overflow 0
		.amdhsa_exception_fp_ieee_invalid_op 0
		.amdhsa_exception_fp_denorm_src 0
		.amdhsa_exception_fp_ieee_div_zero 0
		.amdhsa_exception_fp_ieee_overflow 0
		.amdhsa_exception_fp_ieee_underflow 0
		.amdhsa_exception_fp_ieee_inexact 0
		.amdhsa_exception_int_div_zero 0
	.end_amdhsa_kernel
	.section	.text._ZL26rocblas_dot_kernel_inc1by2ILb1ELi1024ELi32ELb0EDF16_PKDF16_fEviT4_llS2_lliPT5_PT3_,"axG",@progbits,_ZL26rocblas_dot_kernel_inc1by2ILb1ELi1024ELi32ELb0EDF16_PKDF16_fEviT4_llS2_lliPT5_PT3_,comdat
.Lfunc_end138:
	.size	_ZL26rocblas_dot_kernel_inc1by2ILb1ELi1024ELi32ELb0EDF16_PKDF16_fEviT4_llS2_lliPT5_PT3_, .Lfunc_end138-_ZL26rocblas_dot_kernel_inc1by2ILb1ELi1024ELi32ELb0EDF16_PKDF16_fEviT4_llS2_lliPT5_PT3_
                                        ; -- End function
	.set _ZL26rocblas_dot_kernel_inc1by2ILb1ELi1024ELi32ELb0EDF16_PKDF16_fEviT4_llS2_lliPT5_PT3_.num_vgpr, 10
	.set _ZL26rocblas_dot_kernel_inc1by2ILb1ELi1024ELi32ELb0EDF16_PKDF16_fEviT4_llS2_lliPT5_PT3_.num_agpr, 0
	.set _ZL26rocblas_dot_kernel_inc1by2ILb1ELi1024ELi32ELb0EDF16_PKDF16_fEviT4_llS2_lliPT5_PT3_.numbered_sgpr, 28
	.set _ZL26rocblas_dot_kernel_inc1by2ILb1ELi1024ELi32ELb0EDF16_PKDF16_fEviT4_llS2_lliPT5_PT3_.num_named_barrier, 0
	.set _ZL26rocblas_dot_kernel_inc1by2ILb1ELi1024ELi32ELb0EDF16_PKDF16_fEviT4_llS2_lliPT5_PT3_.private_seg_size, 0
	.set _ZL26rocblas_dot_kernel_inc1by2ILb1ELi1024ELi32ELb0EDF16_PKDF16_fEviT4_llS2_lliPT5_PT3_.uses_vcc, 1
	.set _ZL26rocblas_dot_kernel_inc1by2ILb1ELi1024ELi32ELb0EDF16_PKDF16_fEviT4_llS2_lliPT5_PT3_.uses_flat_scratch, 0
	.set _ZL26rocblas_dot_kernel_inc1by2ILb1ELi1024ELi32ELb0EDF16_PKDF16_fEviT4_llS2_lliPT5_PT3_.has_dyn_sized_stack, 0
	.set _ZL26rocblas_dot_kernel_inc1by2ILb1ELi1024ELi32ELb0EDF16_PKDF16_fEviT4_llS2_lliPT5_PT3_.has_recursion, 0
	.set _ZL26rocblas_dot_kernel_inc1by2ILb1ELi1024ELi32ELb0EDF16_PKDF16_fEviT4_llS2_lliPT5_PT3_.has_indirect_call, 0
	.section	.AMDGPU.csdata,"",@progbits
; Kernel info:
; codeLenInByte = 968
; TotalNumSgprs: 32
; NumVgprs: 10
; ScratchSize: 0
; MemoryBound: 0
; FloatMode: 240
; IeeeMode: 1
; LDSByteSize: 256 bytes/workgroup (compile time only)
; SGPRBlocks: 3
; VGPRBlocks: 2
; NumSGPRsForWavesPerEU: 32
; NumVGPRsForWavesPerEU: 10
; Occupancy: 10
; WaveLimiterHint : 0
; COMPUTE_PGM_RSRC2:SCRATCH_EN: 0
; COMPUTE_PGM_RSRC2:USER_SGPR: 6
; COMPUTE_PGM_RSRC2:TRAP_HANDLER: 0
; COMPUTE_PGM_RSRC2:TGID_X_EN: 1
; COMPUTE_PGM_RSRC2:TGID_Y_EN: 0
; COMPUTE_PGM_RSRC2:TGID_Z_EN: 1
; COMPUTE_PGM_RSRC2:TIDIG_COMP_CNT: 0
	.section	.text._ZL18rocblas_dot_kernelIiLb1ELi1024ELi32ELb0EDF16_PKDF16_fEviT5_lT_lS2_lS3_liPT6_PT4_,"axG",@progbits,_ZL18rocblas_dot_kernelIiLb1ELi1024ELi32ELb0EDF16_PKDF16_fEviT5_lT_lS2_lS3_liPT6_PT4_,comdat
	.globl	_ZL18rocblas_dot_kernelIiLb1ELi1024ELi32ELb0EDF16_PKDF16_fEviT5_lT_lS2_lS3_liPT6_PT4_ ; -- Begin function _ZL18rocblas_dot_kernelIiLb1ELi1024ELi32ELb0EDF16_PKDF16_fEviT5_lT_lS2_lS3_liPT6_PT4_
	.p2align	8
	.type	_ZL18rocblas_dot_kernelIiLb1ELi1024ELi32ELb0EDF16_PKDF16_fEviT5_lT_lS2_lS3_liPT6_PT4_,@function
_ZL18rocblas_dot_kernelIiLb1ELi1024ELi32ELb0EDF16_PKDF16_fEviT5_lT_lS2_lS3_liPT6_PT4_: ; @_ZL18rocblas_dot_kernelIiLb1ELi1024ELi32ELb0EDF16_PKDF16_fEviT5_lT_lS2_lS3_liPT6_PT4_
; %bb.0:
	s_load_dword s14, s[4:5], 0x0
	s_load_dwordx2 s[8:9], s[4:5], 0x58
	s_mov_b32 s6, s7
	s_mov_b32 s7, 0
	v_mov_b32_e32 v6, 0
	s_waitcnt lgkmcnt(0)
	v_cmp_gt_i32_e32 vcc, s14, v0
	s_and_saveexec_b64 s[10:11], vcc
	s_cbranch_execz .LBB139_4
; %bb.1:
	s_load_dword s22, s[4:5], 0x38
	s_load_dwordx2 s[12:13], s[4:5], 0x40
	s_load_dword s15, s[4:5], 0x60
	s_load_dwordx4 s[0:3], s[4:5], 0x20
	s_load_dwordx4 s[16:19], s[4:5], 0x8
	s_load_dword s23, s[4:5], 0x18
	s_load_dwordx2 s[20:21], s[4:5], 0x30
	s_waitcnt lgkmcnt(0)
	s_lshl_b32 s15, s15, 10
	s_mul_i32 s1, s1, s6
	s_mul_hi_u32 s24, s0, s6
	v_mad_i64_i32 v[1:2], s[4:5], s23, v0, 0
	s_add_i32 s1, s24, s1
	s_mul_i32 s0, s0, s6
	s_lshl_b64 s[0:1], s[0:1], 1
	s_lshl_b64 s[4:5], s[18:19], 1
	s_add_u32 s4, s16, s4
	s_addc_u32 s5, s17, s5
	v_lshlrev_b64 v[1:2], 1, v[1:2]
	s_add_u32 s0, s4, s0
	s_addc_u32 s1, s5, s1
	v_mov_b32_e32 v3, s1
	v_add_co_u32_e32 v1, vcc, s0, v1
	s_mul_hi_i32 s1, s23, s15
	s_mul_i32 s0, s23, s15
	v_addc_co_u32_e32 v2, vcc, v3, v2, vcc
	s_lshl_b64 s[4:5], s[0:1], 1
	s_mul_i32 s13, s13, s6
	s_mul_hi_u32 s16, s12, s6
	v_mad_i64_i32 v[3:4], s[0:1], s22, v0, 0
	s_add_i32 s1, s16, s13
	s_mul_i32 s0, s12, s6
	s_lshl_b64 s[0:1], s[0:1], 1
	s_lshl_b64 s[12:13], s[20:21], 1
	s_add_u32 s2, s2, s12
	s_addc_u32 s3, s3, s13
	v_lshlrev_b64 v[3:4], 1, v[3:4]
	s_add_u32 s0, s2, s0
	s_addc_u32 s1, s3, s1
	v_mov_b32_e32 v6, s1
	v_add_co_u32_e32 v3, vcc, s0, v3
	s_mul_hi_i32 s1, s22, s15
	s_mul_i32 s0, s22, s15
	s_lshl_b64 s[2:3], s[0:1], 1
	v_or_b32_e32 v5, s15, v0
	v_addc_co_u32_e32 v4, vcc, v6, v4, vcc
	v_mov_b32_e32 v6, 0
	s_mov_b64 s[12:13], 0
	v_mov_b32_e32 v7, s5
	v_mov_b32_e32 v8, s3
	s_mov_b32 s3, s7
.LBB139_2:                              ; =>This Inner Loop Header: Depth=1
	global_load_ushort v9, v[3:4], off
	global_load_ushort v10, v[1:2], off
	v_add_co_u32_e64 v1, s[0:1], s4, v1
	v_addc_co_u32_e64 v2, s[0:1], v2, v7, s[0:1]
	s_add_i32 s5, s3, 1
	v_add_co_u32_e64 v3, s[0:1], s2, v3
	v_addc_co_u32_e64 v4, s[0:1], v4, v8, s[0:1]
	s_cmp_gt_u32 s3, 30
	v_cmp_le_i32_e32 vcc, s14, v5
	s_cselect_b64 s[0:1], -1, 0
	s_or_b64 s[0:1], s[0:1], vcc
	s_and_b64 s[0:1], exec, s[0:1]
	v_add_u32_e32 v5, s15, v5
	s_mov_b32 s3, s5
	s_or_b64 s[12:13], s[0:1], s[12:13]
	s_waitcnt vmcnt(0)
	v_fma_mix_f32 v6, v9, v10, v6 op_sel_hi:[1,1,0]
	s_andn2_b64 exec, exec, s[12:13]
	s_cbranch_execnz .LBB139_2
; %bb.3:
	s_or_b64 exec, exec, s[12:13]
.LBB139_4:
	s_or_b64 exec, exec, s[10:11]
	v_and_b32_e32 v4, 63, v0
	v_cmp_gt_u32_e32 vcc, 64, v0
	v_lshlrev_b32_e32 v1, 2, v4
	s_and_saveexec_b64 s[0:1], vcc
; %bb.5:
	v_mov_b32_e32 v2, 0
	ds_write_b32 v1, v2
; %bb.6:
	s_or_b64 exec, exec, s[0:1]
	v_mbcnt_lo_u32_b32 v2, -1, 0
	v_mbcnt_hi_u32_b32 v7, -1, v2
	v_mov_b32_e32 v2, 0x80
	v_lshl_or_b32 v2, v7, 2, v2
	ds_bpermute_b32 v2, v2, v6
	v_and_b32_e32 v8, 63, v7
	v_cmp_gt_u32_e64 s[0:1], 48, v8
	v_cndmask_b32_e64 v3, 0, 16, s[0:1]
	v_cmp_gt_u32_e64 s[0:1], 56, v8
	s_waitcnt lgkmcnt(0)
	v_add_f32_e32 v5, v6, v2
	v_add_lshl_u32 v2, v3, v7, 2
	ds_bpermute_b32 v3, v2, v5
	v_cndmask_b32_e64 v2, 0, 8, s[0:1]
	v_add_lshl_u32 v2, v2, v7, 2
	v_cmp_gt_u32_e64 s[0:1], 60, v8
	s_waitcnt lgkmcnt(0)
	v_add_f32_e32 v5, v5, v3
	ds_bpermute_b32 v6, v2, v5
	v_cndmask_b32_e64 v3, 0, 4, s[0:1]
	v_add_lshl_u32 v3, v3, v7, 2
	v_cmp_gt_u32_e64 s[0:1], 62, v8
	s_waitcnt lgkmcnt(0)
	s_barrier
	v_add_f32_e32 v6, v5, v6
	ds_bpermute_b32 v9, v3, v6
	v_cndmask_b32_e64 v5, 0, 2, s[0:1]
	v_add_lshl_u32 v5, v5, v7, 2
	v_cmp_ne_u32_e64 s[0:1], 63, v8
	v_addc_co_u32_e64 v8, s[0:1], 0, v7, s[0:1]
	s_waitcnt lgkmcnt(0)
	v_add_f32_e32 v6, v6, v9
	ds_bpermute_b32 v9, v5, v6
	v_cmp_eq_u32_e64 s[0:1], 0, v4
	s_waitcnt lgkmcnt(0)
	v_add_f32_e32 v7, v6, v9
	v_lshlrev_b32_e32 v6, 2, v8
	ds_bpermute_b32 v8, v6, v7
	s_and_saveexec_b64 s[2:3], s[0:1]
	s_cbranch_execz .LBB139_8
; %bb.7:
	s_waitcnt lgkmcnt(0)
	v_add_f32_e32 v4, v7, v8
	v_lshrrev_b32_e32 v7, 4, v0
	v_and_b32_e32 v7, 60, v7
	ds_write_b32 v7, v4
.LBB139_8:
	s_or_b64 exec, exec, s[2:3]
	v_cmp_gt_u32_e64 s[0:1], 16, v0
	v_mov_b32_e32 v4, 0
	s_waitcnt lgkmcnt(0)
	s_barrier
	s_and_saveexec_b64 s[2:3], s[0:1]
	s_cbranch_execnz .LBB139_12
; %bb.9:
	s_or_b64 exec, exec, s[2:3]
	s_and_saveexec_b64 s[0:1], vcc
	s_cbranch_execnz .LBB139_13
.LBB139_10:
	s_or_b64 exec, exec, s[0:1]
	v_cmp_eq_u32_e32 vcc, 0, v0
	s_and_saveexec_b64 s[0:1], vcc
	s_cbranch_execnz .LBB139_14
.LBB139_11:
	s_endpgm
.LBB139_12:
	ds_read_b32 v4, v1
	s_or_b64 exec, exec, s[2:3]
	s_and_saveexec_b64 s[0:1], vcc
	s_cbranch_execz .LBB139_10
.LBB139_13:
	s_waitcnt lgkmcnt(0)
	ds_bpermute_b32 v1, v2, v4
	s_waitcnt lgkmcnt(0)
	v_add_f32_e32 v1, v4, v1
	ds_bpermute_b32 v2, v3, v1
	s_waitcnt lgkmcnt(0)
	v_add_f32_e32 v1, v1, v2
	;; [unrolled: 3-line block ×4, first 2 shown]
	s_or_b64 exec, exec, s[0:1]
	v_cmp_eq_u32_e32 vcc, 0, v0
	s_and_saveexec_b64 s[0:1], vcc
	s_cbranch_execz .LBB139_11
.LBB139_14:
	s_waitcnt lgkmcnt(0)
	v_cvt_f16_f32_e32 v0, v4
	s_lshl_b64 s[0:1], s[6:7], 1
	s_add_u32 s0, s8, s0
	s_addc_u32 s1, s9, s1
	v_mov_b32_e32 v1, 0
	global_store_short v1, v0, s[0:1]
	s_endpgm
	.section	.rodata,"a",@progbits
	.p2align	6, 0x0
	.amdhsa_kernel _ZL18rocblas_dot_kernelIiLb1ELi1024ELi32ELb0EDF16_PKDF16_fEviT5_lT_lS2_lS3_liPT6_PT4_
		.amdhsa_group_segment_fixed_size 256
		.amdhsa_private_segment_fixed_size 0
		.amdhsa_kernarg_size 352
		.amdhsa_user_sgpr_count 6
		.amdhsa_user_sgpr_private_segment_buffer 1
		.amdhsa_user_sgpr_dispatch_ptr 0
		.amdhsa_user_sgpr_queue_ptr 0
		.amdhsa_user_sgpr_kernarg_segment_ptr 1
		.amdhsa_user_sgpr_dispatch_id 0
		.amdhsa_user_sgpr_flat_scratch_init 0
		.amdhsa_user_sgpr_private_segment_size 0
		.amdhsa_uses_dynamic_stack 0
		.amdhsa_system_sgpr_private_segment_wavefront_offset 0
		.amdhsa_system_sgpr_workgroup_id_x 1
		.amdhsa_system_sgpr_workgroup_id_y 0
		.amdhsa_system_sgpr_workgroup_id_z 1
		.amdhsa_system_sgpr_workgroup_info 0
		.amdhsa_system_vgpr_workitem_id 0
		.amdhsa_next_free_vgpr 11
		.amdhsa_next_free_sgpr 25
		.amdhsa_reserve_vcc 1
		.amdhsa_reserve_flat_scratch 0
		.amdhsa_float_round_mode_32 0
		.amdhsa_float_round_mode_16_64 0
		.amdhsa_float_denorm_mode_32 3
		.amdhsa_float_denorm_mode_16_64 3
		.amdhsa_dx10_clamp 1
		.amdhsa_ieee_mode 1
		.amdhsa_fp16_overflow 0
		.amdhsa_exception_fp_ieee_invalid_op 0
		.amdhsa_exception_fp_denorm_src 0
		.amdhsa_exception_fp_ieee_div_zero 0
		.amdhsa_exception_fp_ieee_overflow 0
		.amdhsa_exception_fp_ieee_underflow 0
		.amdhsa_exception_fp_ieee_inexact 0
		.amdhsa_exception_int_div_zero 0
	.end_amdhsa_kernel
	.section	.text._ZL18rocblas_dot_kernelIiLb1ELi1024ELi32ELb0EDF16_PKDF16_fEviT5_lT_lS2_lS3_liPT6_PT4_,"axG",@progbits,_ZL18rocblas_dot_kernelIiLb1ELi1024ELi32ELb0EDF16_PKDF16_fEviT5_lT_lS2_lS3_liPT6_PT4_,comdat
.Lfunc_end139:
	.size	_ZL18rocblas_dot_kernelIiLb1ELi1024ELi32ELb0EDF16_PKDF16_fEviT5_lT_lS2_lS3_liPT6_PT4_, .Lfunc_end139-_ZL18rocblas_dot_kernelIiLb1ELi1024ELi32ELb0EDF16_PKDF16_fEviT5_lT_lS2_lS3_liPT6_PT4_
                                        ; -- End function
	.set _ZL18rocblas_dot_kernelIiLb1ELi1024ELi32ELb0EDF16_PKDF16_fEviT5_lT_lS2_lS3_liPT6_PT4_.num_vgpr, 11
	.set _ZL18rocblas_dot_kernelIiLb1ELi1024ELi32ELb0EDF16_PKDF16_fEviT5_lT_lS2_lS3_liPT6_PT4_.num_agpr, 0
	.set _ZL18rocblas_dot_kernelIiLb1ELi1024ELi32ELb0EDF16_PKDF16_fEviT5_lT_lS2_lS3_liPT6_PT4_.numbered_sgpr, 25
	.set _ZL18rocblas_dot_kernelIiLb1ELi1024ELi32ELb0EDF16_PKDF16_fEviT5_lT_lS2_lS3_liPT6_PT4_.num_named_barrier, 0
	.set _ZL18rocblas_dot_kernelIiLb1ELi1024ELi32ELb0EDF16_PKDF16_fEviT5_lT_lS2_lS3_liPT6_PT4_.private_seg_size, 0
	.set _ZL18rocblas_dot_kernelIiLb1ELi1024ELi32ELb0EDF16_PKDF16_fEviT5_lT_lS2_lS3_liPT6_PT4_.uses_vcc, 1
	.set _ZL18rocblas_dot_kernelIiLb1ELi1024ELi32ELb0EDF16_PKDF16_fEviT5_lT_lS2_lS3_liPT6_PT4_.uses_flat_scratch, 0
	.set _ZL18rocblas_dot_kernelIiLb1ELi1024ELi32ELb0EDF16_PKDF16_fEviT5_lT_lS2_lS3_liPT6_PT4_.has_dyn_sized_stack, 0
	.set _ZL18rocblas_dot_kernelIiLb1ELi1024ELi32ELb0EDF16_PKDF16_fEviT5_lT_lS2_lS3_liPT6_PT4_.has_recursion, 0
	.set _ZL18rocblas_dot_kernelIiLb1ELi1024ELi32ELb0EDF16_PKDF16_fEviT5_lT_lS2_lS3_liPT6_PT4_.has_indirect_call, 0
	.section	.AMDGPU.csdata,"",@progbits
; Kernel info:
; codeLenInByte = 924
; TotalNumSgprs: 29
; NumVgprs: 11
; ScratchSize: 0
; MemoryBound: 0
; FloatMode: 240
; IeeeMode: 1
; LDSByteSize: 256 bytes/workgroup (compile time only)
; SGPRBlocks: 3
; VGPRBlocks: 2
; NumSGPRsForWavesPerEU: 29
; NumVGPRsForWavesPerEU: 11
; Occupancy: 10
; WaveLimiterHint : 0
; COMPUTE_PGM_RSRC2:SCRATCH_EN: 0
; COMPUTE_PGM_RSRC2:USER_SGPR: 6
; COMPUTE_PGM_RSRC2:TRAP_HANDLER: 0
; COMPUTE_PGM_RSRC2:TGID_X_EN: 1
; COMPUTE_PGM_RSRC2:TGID_Y_EN: 0
; COMPUTE_PGM_RSRC2:TGID_Z_EN: 1
; COMPUTE_PGM_RSRC2:TIDIG_COMP_CNT: 0
	.section	.text._ZL24rocblas_dot_kernel_magsqIiLb1ELi1024ELi32ELb0EDF16_PKDF16_fEviT5_lT_liPT6_PT4_,"axG",@progbits,_ZL24rocblas_dot_kernel_magsqIiLb1ELi1024ELi32ELb0EDF16_PKDF16_fEviT5_lT_liPT6_PT4_,comdat
	.globl	_ZL24rocblas_dot_kernel_magsqIiLb1ELi1024ELi32ELb0EDF16_PKDF16_fEviT5_lT_liPT6_PT4_ ; -- Begin function _ZL24rocblas_dot_kernel_magsqIiLb1ELi1024ELi32ELb0EDF16_PKDF16_fEviT5_lT_liPT6_PT4_
	.p2align	8
	.type	_ZL24rocblas_dot_kernel_magsqIiLb1ELi1024ELi32ELb0EDF16_PKDF16_fEviT5_lT_liPT6_PT4_,@function
_ZL24rocblas_dot_kernel_magsqIiLb1ELi1024ELi32ELb0EDF16_PKDF16_fEviT5_lT_liPT6_PT4_: ; @_ZL24rocblas_dot_kernel_magsqIiLb1ELi1024ELi32ELb0EDF16_PKDF16_fEviT5_lT_liPT6_PT4_
; %bb.0:
	s_mov_b32 s2, s7
	s_load_dword s12, s[4:5], 0x0
	s_load_dwordx2 s[6:7], s[4:5], 0x38
	s_mov_b32 s3, 0
	v_mov_b32_e32 v3, 0
	s_waitcnt lgkmcnt(0)
	v_cmp_gt_i32_e32 vcc, s12, v0
	s_and_saveexec_b64 s[8:9], vcc
	s_cbranch_execz .LBB140_4
; %bb.1:
	s_load_dword s10, s[4:5], 0x40
	s_load_dwordx2 s[0:1], s[4:5], 0x20
	s_load_dwordx4 s[16:19], s[4:5], 0x8
	s_load_dword s11, s[4:5], 0x18
	s_waitcnt lgkmcnt(0)
	s_lshl_b32 s13, s10, 10
	s_mul_i32 s1, s1, s2
	s_mul_hi_u32 s10, s0, s2
	v_mad_i64_i32 v[1:2], s[4:5], s11, v0, 0
	s_add_i32 s1, s10, s1
	s_mul_i32 s0, s0, s2
	s_lshl_b64 s[0:1], s[0:1], 1
	s_lshl_b64 s[4:5], s[18:19], 1
	s_add_u32 s4, s16, s4
	s_addc_u32 s5, s17, s5
	v_lshlrev_b64 v[1:2], 1, v[1:2]
	s_add_u32 s0, s4, s0
	s_addc_u32 s1, s5, s1
	v_mov_b32_e32 v3, s1
	v_add_co_u32_e32 v1, vcc, s0, v1
	s_mul_hi_i32 s1, s11, s13
	s_mul_i32 s0, s11, s13
	s_lshl_b64 s[4:5], s[0:1], 1
	v_or_b32_e32 v4, s13, v0
	v_addc_co_u32_e32 v2, vcc, v3, v2, vcc
	v_mov_b32_e32 v3, 0
	s_mov_b64 s[10:11], 0
	v_mov_b32_e32 v5, s5
	s_mov_b32 s5, s3
.LBB140_2:                              ; =>This Inner Loop Header: Depth=1
	global_load_ushort v6, v[1:2], off
	s_add_i32 s14, s5, 1
	v_add_co_u32_e64 v1, s[0:1], s4, v1
	v_addc_co_u32_e64 v2, s[0:1], v2, v5, s[0:1]
	s_cmp_gt_u32 s5, 30
	v_cmp_le_i32_e32 vcc, s12, v4
	s_cselect_b64 s[0:1], -1, 0
	s_or_b64 s[0:1], s[0:1], vcc
	s_and_b64 s[0:1], exec, s[0:1]
	v_add_u32_e32 v4, s13, v4
	s_mov_b32 s5, s14
	s_or_b64 s[10:11], s[0:1], s[10:11]
	s_waitcnt vmcnt(0)
	v_fma_mix_f32 v3, v6, v6, v3 op_sel_hi:[1,1,0]
	s_andn2_b64 exec, exec, s[10:11]
	s_cbranch_execnz .LBB140_2
; %bb.3:
	s_or_b64 exec, exec, s[10:11]
.LBB140_4:
	s_or_b64 exec, exec, s[8:9]
	v_and_b32_e32 v4, 63, v0
	v_cmp_gt_u32_e32 vcc, 64, v0
	v_lshlrev_b32_e32 v1, 2, v4
	s_and_saveexec_b64 s[0:1], vcc
; %bb.5:
	v_mov_b32_e32 v2, 0
	ds_write_b32 v1, v2
; %bb.6:
	s_or_b64 exec, exec, s[0:1]
	v_mbcnt_lo_u32_b32 v2, -1, 0
	v_mbcnt_hi_u32_b32 v6, -1, v2
	v_mov_b32_e32 v2, 0x80
	v_lshl_or_b32 v2, v6, 2, v2
	ds_bpermute_b32 v2, v2, v3
	v_and_b32_e32 v7, 63, v6
	v_cmp_gt_u32_e64 s[0:1], 48, v7
	v_cndmask_b32_e64 v5, 0, 16, s[0:1]
	v_cmp_gt_u32_e64 s[0:1], 56, v7
	s_waitcnt lgkmcnt(0)
	v_add_f32_e32 v3, v3, v2
	v_add_lshl_u32 v2, v5, v6, 2
	ds_bpermute_b32 v5, v2, v3
	v_cndmask_b32_e64 v2, 0, 8, s[0:1]
	v_add_lshl_u32 v2, v2, v6, 2
	v_cmp_gt_u32_e64 s[0:1], 60, v7
	s_waitcnt lgkmcnt(0)
	v_add_f32_e32 v5, v3, v5
	ds_bpermute_b32 v8, v2, v5
	v_cndmask_b32_e64 v3, 0, 4, s[0:1]
	v_add_lshl_u32 v3, v3, v6, 2
	v_cmp_gt_u32_e64 s[0:1], 62, v7
	s_waitcnt lgkmcnt(0)
	s_barrier
	v_add_f32_e32 v8, v5, v8
	ds_bpermute_b32 v9, v3, v8
	v_cndmask_b32_e64 v5, 0, 2, s[0:1]
	v_add_lshl_u32 v5, v5, v6, 2
	v_cmp_ne_u32_e64 s[0:1], 63, v7
	v_addc_co_u32_e64 v6, s[0:1], 0, v6, s[0:1]
	s_waitcnt lgkmcnt(0)
	v_add_f32_e32 v8, v8, v9
	ds_bpermute_b32 v9, v5, v8
	v_lshlrev_b32_e32 v6, 2, v6
	v_cmp_eq_u32_e64 s[0:1], 0, v4
	s_waitcnt lgkmcnt(0)
	v_add_f32_e32 v7, v8, v9
	ds_bpermute_b32 v8, v6, v7
	s_and_saveexec_b64 s[4:5], s[0:1]
	s_cbranch_execz .LBB140_8
; %bb.7:
	s_waitcnt lgkmcnt(0)
	v_add_f32_e32 v4, v7, v8
	v_lshrrev_b32_e32 v7, 4, v0
	v_and_b32_e32 v7, 60, v7
	ds_write_b32 v7, v4
.LBB140_8:
	s_or_b64 exec, exec, s[4:5]
	v_cmp_gt_u32_e64 s[0:1], 16, v0
	v_mov_b32_e32 v4, 0
	s_waitcnt lgkmcnt(0)
	s_barrier
	s_and_saveexec_b64 s[4:5], s[0:1]
	s_cbranch_execnz .LBB140_12
; %bb.9:
	s_or_b64 exec, exec, s[4:5]
	s_and_saveexec_b64 s[0:1], vcc
	s_cbranch_execnz .LBB140_13
.LBB140_10:
	s_or_b64 exec, exec, s[0:1]
	v_cmp_eq_u32_e32 vcc, 0, v0
	s_and_saveexec_b64 s[0:1], vcc
	s_cbranch_execnz .LBB140_14
.LBB140_11:
	s_endpgm
.LBB140_12:
	ds_read_b32 v4, v1
	s_or_b64 exec, exec, s[4:5]
	s_and_saveexec_b64 s[0:1], vcc
	s_cbranch_execz .LBB140_10
.LBB140_13:
	s_waitcnt lgkmcnt(0)
	ds_bpermute_b32 v1, v2, v4
	s_waitcnt lgkmcnt(0)
	v_add_f32_e32 v1, v4, v1
	ds_bpermute_b32 v2, v3, v1
	s_waitcnt lgkmcnt(0)
	v_add_f32_e32 v1, v1, v2
	;; [unrolled: 3-line block ×4, first 2 shown]
	s_or_b64 exec, exec, s[0:1]
	v_cmp_eq_u32_e32 vcc, 0, v0
	s_and_saveexec_b64 s[0:1], vcc
	s_cbranch_execz .LBB140_11
.LBB140_14:
	s_waitcnt lgkmcnt(0)
	v_cvt_f16_f32_e32 v0, v4
	s_lshl_b64 s[0:1], s[2:3], 1
	s_add_u32 s0, s6, s0
	s_addc_u32 s1, s7, s1
	v_mov_b32_e32 v1, 0
	global_store_short v1, v0, s[0:1]
	s_endpgm
	.section	.rodata,"a",@progbits
	.p2align	6, 0x0
	.amdhsa_kernel _ZL24rocblas_dot_kernel_magsqIiLb1ELi1024ELi32ELb0EDF16_PKDF16_fEviT5_lT_liPT6_PT4_
		.amdhsa_group_segment_fixed_size 256
		.amdhsa_private_segment_fixed_size 0
		.amdhsa_kernarg_size 320
		.amdhsa_user_sgpr_count 6
		.amdhsa_user_sgpr_private_segment_buffer 1
		.amdhsa_user_sgpr_dispatch_ptr 0
		.amdhsa_user_sgpr_queue_ptr 0
		.amdhsa_user_sgpr_kernarg_segment_ptr 1
		.amdhsa_user_sgpr_dispatch_id 0
		.amdhsa_user_sgpr_flat_scratch_init 0
		.amdhsa_user_sgpr_private_segment_size 0
		.amdhsa_uses_dynamic_stack 0
		.amdhsa_system_sgpr_private_segment_wavefront_offset 0
		.amdhsa_system_sgpr_workgroup_id_x 1
		.amdhsa_system_sgpr_workgroup_id_y 0
		.amdhsa_system_sgpr_workgroup_id_z 1
		.amdhsa_system_sgpr_workgroup_info 0
		.amdhsa_system_vgpr_workitem_id 0
		.amdhsa_next_free_vgpr 10
		.amdhsa_next_free_sgpr 20
		.amdhsa_reserve_vcc 1
		.amdhsa_reserve_flat_scratch 0
		.amdhsa_float_round_mode_32 0
		.amdhsa_float_round_mode_16_64 0
		.amdhsa_float_denorm_mode_32 3
		.amdhsa_float_denorm_mode_16_64 3
		.amdhsa_dx10_clamp 1
		.amdhsa_ieee_mode 1
		.amdhsa_fp16_overflow 0
		.amdhsa_exception_fp_ieee_invalid_op 0
		.amdhsa_exception_fp_denorm_src 0
		.amdhsa_exception_fp_ieee_div_zero 0
		.amdhsa_exception_fp_ieee_overflow 0
		.amdhsa_exception_fp_ieee_underflow 0
		.amdhsa_exception_fp_ieee_inexact 0
		.amdhsa_exception_int_div_zero 0
	.end_amdhsa_kernel
	.section	.text._ZL24rocblas_dot_kernel_magsqIiLb1ELi1024ELi32ELb0EDF16_PKDF16_fEviT5_lT_liPT6_PT4_,"axG",@progbits,_ZL24rocblas_dot_kernel_magsqIiLb1ELi1024ELi32ELb0EDF16_PKDF16_fEviT5_lT_liPT6_PT4_,comdat
.Lfunc_end140:
	.size	_ZL24rocblas_dot_kernel_magsqIiLb1ELi1024ELi32ELb0EDF16_PKDF16_fEviT5_lT_liPT6_PT4_, .Lfunc_end140-_ZL24rocblas_dot_kernel_magsqIiLb1ELi1024ELi32ELb0EDF16_PKDF16_fEviT5_lT_liPT6_PT4_
                                        ; -- End function
	.set _ZL24rocblas_dot_kernel_magsqIiLb1ELi1024ELi32ELb0EDF16_PKDF16_fEviT5_lT_liPT6_PT4_.num_vgpr, 10
	.set _ZL24rocblas_dot_kernel_magsqIiLb1ELi1024ELi32ELb0EDF16_PKDF16_fEviT5_lT_liPT6_PT4_.num_agpr, 0
	.set _ZL24rocblas_dot_kernel_magsqIiLb1ELi1024ELi32ELb0EDF16_PKDF16_fEviT5_lT_liPT6_PT4_.numbered_sgpr, 20
	.set _ZL24rocblas_dot_kernel_magsqIiLb1ELi1024ELi32ELb0EDF16_PKDF16_fEviT5_lT_liPT6_PT4_.num_named_barrier, 0
	.set _ZL24rocblas_dot_kernel_magsqIiLb1ELi1024ELi32ELb0EDF16_PKDF16_fEviT5_lT_liPT6_PT4_.private_seg_size, 0
	.set _ZL24rocblas_dot_kernel_magsqIiLb1ELi1024ELi32ELb0EDF16_PKDF16_fEviT5_lT_liPT6_PT4_.uses_vcc, 1
	.set _ZL24rocblas_dot_kernel_magsqIiLb1ELi1024ELi32ELb0EDF16_PKDF16_fEviT5_lT_liPT6_PT4_.uses_flat_scratch, 0
	.set _ZL24rocblas_dot_kernel_magsqIiLb1ELi1024ELi32ELb0EDF16_PKDF16_fEviT5_lT_liPT6_PT4_.has_dyn_sized_stack, 0
	.set _ZL24rocblas_dot_kernel_magsqIiLb1ELi1024ELi32ELb0EDF16_PKDF16_fEviT5_lT_liPT6_PT4_.has_recursion, 0
	.set _ZL24rocblas_dot_kernel_magsqIiLb1ELi1024ELi32ELb0EDF16_PKDF16_fEviT5_lT_liPT6_PT4_.has_indirect_call, 0
	.section	.AMDGPU.csdata,"",@progbits
; Kernel info:
; codeLenInByte = 792
; TotalNumSgprs: 24
; NumVgprs: 10
; ScratchSize: 0
; MemoryBound: 0
; FloatMode: 240
; IeeeMode: 1
; LDSByteSize: 256 bytes/workgroup (compile time only)
; SGPRBlocks: 2
; VGPRBlocks: 2
; NumSGPRsForWavesPerEU: 24
; NumVGPRsForWavesPerEU: 10
; Occupancy: 10
; WaveLimiterHint : 0
; COMPUTE_PGM_RSRC2:SCRATCH_EN: 0
; COMPUTE_PGM_RSRC2:USER_SGPR: 6
; COMPUTE_PGM_RSRC2:TRAP_HANDLER: 0
; COMPUTE_PGM_RSRC2:TGID_X_EN: 1
; COMPUTE_PGM_RSRC2:TGID_Y_EN: 0
; COMPUTE_PGM_RSRC2:TGID_Z_EN: 1
; COMPUTE_PGM_RSRC2:TIDIG_COMP_CNT: 0
	.section	.text._ZL38rocblas_dot_kernel_gfx942_float_doubleIiLi1024EDF16_PKDF16_fEviT2_lT_lS2_lS3_lPT3_PT1_,"axG",@progbits,_ZL38rocblas_dot_kernel_gfx942_float_doubleIiLi1024EDF16_PKDF16_fEviT2_lT_lS2_lS3_lPT3_PT1_,comdat
	.globl	_ZL38rocblas_dot_kernel_gfx942_float_doubleIiLi1024EDF16_PKDF16_fEviT2_lT_lS2_lS3_lPT3_PT1_ ; -- Begin function _ZL38rocblas_dot_kernel_gfx942_float_doubleIiLi1024EDF16_PKDF16_fEviT2_lT_lS2_lS3_lPT3_PT1_
	.p2align	8
	.type	_ZL38rocblas_dot_kernel_gfx942_float_doubleIiLi1024EDF16_PKDF16_fEviT2_lT_lS2_lS3_lPT3_PT1_,@function
_ZL38rocblas_dot_kernel_gfx942_float_doubleIiLi1024EDF16_PKDF16_fEviT2_lT_lS2_lS3_lPT3_PT1_: ; @_ZL38rocblas_dot_kernel_gfx942_float_doubleIiLi1024EDF16_PKDF16_fEviT2_lT_lS2_lS3_lPT3_PT1_
; %bb.0:
	s_endpgm
	.section	.rodata,"a",@progbits
	.p2align	6, 0x0
	.amdhsa_kernel _ZL38rocblas_dot_kernel_gfx942_float_doubleIiLi1024EDF16_PKDF16_fEviT2_lT_lS2_lS3_lPT3_PT1_
		.amdhsa_group_segment_fixed_size 0
		.amdhsa_private_segment_fixed_size 0
		.amdhsa_kernarg_size 88
		.amdhsa_user_sgpr_count 6
		.amdhsa_user_sgpr_private_segment_buffer 1
		.amdhsa_user_sgpr_dispatch_ptr 0
		.amdhsa_user_sgpr_queue_ptr 0
		.amdhsa_user_sgpr_kernarg_segment_ptr 1
		.amdhsa_user_sgpr_dispatch_id 0
		.amdhsa_user_sgpr_flat_scratch_init 0
		.amdhsa_user_sgpr_private_segment_size 0
		.amdhsa_uses_dynamic_stack 0
		.amdhsa_system_sgpr_private_segment_wavefront_offset 0
		.amdhsa_system_sgpr_workgroup_id_x 1
		.amdhsa_system_sgpr_workgroup_id_y 0
		.amdhsa_system_sgpr_workgroup_id_z 0
		.amdhsa_system_sgpr_workgroup_info 0
		.amdhsa_system_vgpr_workitem_id 0
		.amdhsa_next_free_vgpr 1
		.amdhsa_next_free_sgpr 0
		.amdhsa_reserve_vcc 0
		.amdhsa_reserve_flat_scratch 0
		.amdhsa_float_round_mode_32 0
		.amdhsa_float_round_mode_16_64 0
		.amdhsa_float_denorm_mode_32 3
		.amdhsa_float_denorm_mode_16_64 3
		.amdhsa_dx10_clamp 1
		.amdhsa_ieee_mode 1
		.amdhsa_fp16_overflow 0
		.amdhsa_exception_fp_ieee_invalid_op 0
		.amdhsa_exception_fp_denorm_src 0
		.amdhsa_exception_fp_ieee_div_zero 0
		.amdhsa_exception_fp_ieee_overflow 0
		.amdhsa_exception_fp_ieee_underflow 0
		.amdhsa_exception_fp_ieee_inexact 0
		.amdhsa_exception_int_div_zero 0
	.end_amdhsa_kernel
	.section	.text._ZL38rocblas_dot_kernel_gfx942_float_doubleIiLi1024EDF16_PKDF16_fEviT2_lT_lS2_lS3_lPT3_PT1_,"axG",@progbits,_ZL38rocblas_dot_kernel_gfx942_float_doubleIiLi1024EDF16_PKDF16_fEviT2_lT_lS2_lS3_lPT3_PT1_,comdat
.Lfunc_end141:
	.size	_ZL38rocblas_dot_kernel_gfx942_float_doubleIiLi1024EDF16_PKDF16_fEviT2_lT_lS2_lS3_lPT3_PT1_, .Lfunc_end141-_ZL38rocblas_dot_kernel_gfx942_float_doubleIiLi1024EDF16_PKDF16_fEviT2_lT_lS2_lS3_lPT3_PT1_
                                        ; -- End function
	.set _ZL38rocblas_dot_kernel_gfx942_float_doubleIiLi1024EDF16_PKDF16_fEviT2_lT_lS2_lS3_lPT3_PT1_.num_vgpr, 0
	.set _ZL38rocblas_dot_kernel_gfx942_float_doubleIiLi1024EDF16_PKDF16_fEviT2_lT_lS2_lS3_lPT3_PT1_.num_agpr, 0
	.set _ZL38rocblas_dot_kernel_gfx942_float_doubleIiLi1024EDF16_PKDF16_fEviT2_lT_lS2_lS3_lPT3_PT1_.numbered_sgpr, 0
	.set _ZL38rocblas_dot_kernel_gfx942_float_doubleIiLi1024EDF16_PKDF16_fEviT2_lT_lS2_lS3_lPT3_PT1_.num_named_barrier, 0
	.set _ZL38rocblas_dot_kernel_gfx942_float_doubleIiLi1024EDF16_PKDF16_fEviT2_lT_lS2_lS3_lPT3_PT1_.private_seg_size, 0
	.set _ZL38rocblas_dot_kernel_gfx942_float_doubleIiLi1024EDF16_PKDF16_fEviT2_lT_lS2_lS3_lPT3_PT1_.uses_vcc, 0
	.set _ZL38rocblas_dot_kernel_gfx942_float_doubleIiLi1024EDF16_PKDF16_fEviT2_lT_lS2_lS3_lPT3_PT1_.uses_flat_scratch, 0
	.set _ZL38rocblas_dot_kernel_gfx942_float_doubleIiLi1024EDF16_PKDF16_fEviT2_lT_lS2_lS3_lPT3_PT1_.has_dyn_sized_stack, 0
	.set _ZL38rocblas_dot_kernel_gfx942_float_doubleIiLi1024EDF16_PKDF16_fEviT2_lT_lS2_lS3_lPT3_PT1_.has_recursion, 0
	.set _ZL38rocblas_dot_kernel_gfx942_float_doubleIiLi1024EDF16_PKDF16_fEviT2_lT_lS2_lS3_lPT3_PT1_.has_indirect_call, 0
	.section	.AMDGPU.csdata,"",@progbits
; Kernel info:
; codeLenInByte = 4
; TotalNumSgprs: 4
; NumVgprs: 0
; ScratchSize: 0
; MemoryBound: 0
; FloatMode: 240
; IeeeMode: 1
; LDSByteSize: 0 bytes/workgroup (compile time only)
; SGPRBlocks: 0
; VGPRBlocks: 0
; NumSGPRsForWavesPerEU: 4
; NumVGPRsForWavesPerEU: 1
; Occupancy: 10
; WaveLimiterHint : 0
; COMPUTE_PGM_RSRC2:SCRATCH_EN: 0
; COMPUTE_PGM_RSRC2:USER_SGPR: 6
; COMPUTE_PGM_RSRC2:TRAP_HANDLER: 0
; COMPUTE_PGM_RSRC2:TGID_X_EN: 1
; COMPUTE_PGM_RSRC2:TGID_Y_EN: 0
; COMPUTE_PGM_RSRC2:TGID_Z_EN: 0
; COMPUTE_PGM_RSRC2:TIDIG_COMP_CNT: 0
	.section	.text._ZL30rocblas_reduction_kernel_part2ILi1024ELi4E25rocblas_finalize_identityfDF16_EviPT2_PT3_,"axG",@progbits,_ZL30rocblas_reduction_kernel_part2ILi1024ELi4E25rocblas_finalize_identityfDF16_EviPT2_PT3_,comdat
	.globl	_ZL30rocblas_reduction_kernel_part2ILi1024ELi4E25rocblas_finalize_identityfDF16_EviPT2_PT3_ ; -- Begin function _ZL30rocblas_reduction_kernel_part2ILi1024ELi4E25rocblas_finalize_identityfDF16_EviPT2_PT3_
	.p2align	8
	.type	_ZL30rocblas_reduction_kernel_part2ILi1024ELi4E25rocblas_finalize_identityfDF16_EviPT2_PT3_,@function
_ZL30rocblas_reduction_kernel_part2ILi1024ELi4E25rocblas_finalize_identityfDF16_EviPT2_PT3_: ; @_ZL30rocblas_reduction_kernel_part2ILi1024ELi4E25rocblas_finalize_identityfDF16_EviPT2_PT3_
; %bb.0:
	s_load_dword s12, s[4:5], 0x0
	s_load_dwordx4 s[0:3], s[4:5], 0x8
	v_lshlrev_b32_e32 v4, 2, v0
	s_mov_b32 s7, 0
	v_mov_b32_e32 v3, 0
	s_waitcnt lgkmcnt(0)
	s_ashr_i32 s8, s12, 31
	s_mul_i32 s5, s8, s6
	s_lshr_b32 s8, s8, 30
	s_add_i32 s8, s12, s8
	s_mul_hi_u32 s4, s12, s6
	s_and_b32 s13, s8, -4
	s_add_i32 s5, s4, s5
	s_mul_i32 s4, s12, s6
	v_cmp_gt_i32_e32 vcc, s13, v4
	s_and_saveexec_b64 s[8:9], vcc
	s_cbranch_execz .LBB142_4
; %bb.1:
	s_lshl_b64 s[10:11], s[4:5], 2
	s_add_u32 s10, s0, s10
	v_lshlrev_b32_e32 v1, 4, v0
	s_addc_u32 s11, s1, s11
	v_mov_b32_e32 v2, s11
	v_add_co_u32_e32 v1, vcc, s10, v1
	v_addc_co_u32_e32 v2, vcc, 0, v2, vcc
	v_add_co_u32_e32 v1, vcc, 8, v1
	v_mov_b32_e32 v3, 0
	v_addc_co_u32_e32 v2, vcc, 0, v2, vcc
	s_mov_b64 s[10:11], 0
.LBB142_2:                              ; =>This Inner Loop Header: Depth=1
	global_load_dwordx4 v[5:8], v[1:2], off offset:-8
	v_add_co_u32_e32 v1, vcc, 0x4000, v1
	v_add_u32_e32 v4, 0x1000, v4
	v_addc_co_u32_e32 v2, vcc, 0, v2, vcc
	v_cmp_le_i32_e32 vcc, s13, v4
	s_or_b64 s[10:11], vcc, s[10:11]
	s_waitcnt vmcnt(0)
	v_add_f32_e32 v3, v3, v5
	v_add_f32_e32 v3, v3, v6
	;; [unrolled: 1-line block ×4, first 2 shown]
	s_andn2_b64 exec, exec, s[10:11]
	s_cbranch_execnz .LBB142_2
; %bb.3:
	s_or_b64 exec, exec, s[10:11]
.LBB142_4:
	s_or_b64 exec, exec, s[8:9]
	s_sub_i32 s8, s12, s13
	v_cmp_gt_u32_e32 vcc, s8, v0
	s_and_saveexec_b64 s[8:9], vcc
	s_cbranch_execz .LBB142_6
; %bb.5:
	s_lshl_b64 s[4:5], s[4:5], 2
	v_xad_u32 v1, v0, -1, s12
	v_mov_b32_e32 v2, 0
	s_add_u32 s0, s0, s4
	v_lshlrev_b64 v[1:2], 2, v[1:2]
	s_addc_u32 s1, s1, s5
	v_mov_b32_e32 v4, s1
	v_add_co_u32_e32 v1, vcc, s0, v1
	v_addc_co_u32_e32 v2, vcc, v4, v2, vcc
	global_load_dword v1, v[1:2], off
	s_waitcnt vmcnt(0)
	v_add_f32_e32 v3, v3, v1
.LBB142_6:
	s_or_b64 exec, exec, s[8:9]
	v_and_b32_e32 v4, 63, v0
	v_cmp_gt_u32_e32 vcc, 64, v0
	v_lshlrev_b32_e32 v1, 2, v4
	s_and_saveexec_b64 s[0:1], vcc
; %bb.7:
	v_mov_b32_e32 v2, 0
	ds_write_b32 v1, v2
; %bb.8:
	s_or_b64 exec, exec, s[0:1]
	v_mbcnt_lo_u32_b32 v2, -1, 0
	v_mbcnt_hi_u32_b32 v6, -1, v2
	v_mov_b32_e32 v2, 0x80
	v_lshl_or_b32 v2, v6, 2, v2
	ds_bpermute_b32 v2, v2, v3
	v_and_b32_e32 v7, 63, v6
	v_cmp_gt_u32_e64 s[0:1], 48, v7
	v_cndmask_b32_e64 v5, 0, 16, s[0:1]
	v_cmp_gt_u32_e64 s[0:1], 56, v7
	s_waitcnt lgkmcnt(0)
	v_add_f32_e32 v3, v3, v2
	v_add_lshl_u32 v2, v5, v6, 2
	ds_bpermute_b32 v5, v2, v3
	v_cndmask_b32_e64 v2, 0, 8, s[0:1]
	v_add_lshl_u32 v2, v2, v6, 2
	v_cmp_gt_u32_e64 s[0:1], 60, v7
	s_waitcnt lgkmcnt(0)
	v_add_f32_e32 v5, v3, v5
	ds_bpermute_b32 v8, v2, v5
	v_cndmask_b32_e64 v3, 0, 4, s[0:1]
	v_add_lshl_u32 v3, v3, v6, 2
	v_cmp_gt_u32_e64 s[0:1], 62, v7
	s_waitcnt lgkmcnt(0)
	s_barrier
	v_add_f32_e32 v8, v5, v8
	ds_bpermute_b32 v9, v3, v8
	v_cndmask_b32_e64 v5, 0, 2, s[0:1]
	v_add_lshl_u32 v5, v5, v6, 2
	v_cmp_ne_u32_e64 s[0:1], 63, v7
	v_addc_co_u32_e64 v6, s[0:1], 0, v6, s[0:1]
	s_waitcnt lgkmcnt(0)
	v_add_f32_e32 v8, v8, v9
	ds_bpermute_b32 v9, v5, v8
	v_lshlrev_b32_e32 v6, 2, v6
	v_cmp_eq_u32_e64 s[0:1], 0, v4
	s_waitcnt lgkmcnt(0)
	v_add_f32_e32 v7, v8, v9
	ds_bpermute_b32 v8, v6, v7
	s_and_saveexec_b64 s[4:5], s[0:1]
	s_cbranch_execz .LBB142_10
; %bb.9:
	s_waitcnt lgkmcnt(0)
	v_add_f32_e32 v4, v7, v8
	v_lshrrev_b32_e32 v7, 4, v0
	v_and_b32_e32 v7, 60, v7
	ds_write_b32 v7, v4
.LBB142_10:
	s_or_b64 exec, exec, s[4:5]
	v_cmp_gt_u32_e64 s[0:1], 16, v0
	v_mov_b32_e32 v4, 0
	s_waitcnt lgkmcnt(0)
	s_barrier
	s_and_saveexec_b64 s[4:5], s[0:1]
	s_cbranch_execnz .LBB142_14
; %bb.11:
	s_or_b64 exec, exec, s[4:5]
	s_and_saveexec_b64 s[0:1], vcc
	s_cbranch_execnz .LBB142_15
.LBB142_12:
	s_or_b64 exec, exec, s[0:1]
	v_cmp_eq_u32_e32 vcc, 0, v0
	s_and_saveexec_b64 s[0:1], vcc
	s_cbranch_execnz .LBB142_16
.LBB142_13:
	s_endpgm
.LBB142_14:
	ds_read_b32 v4, v1
	s_or_b64 exec, exec, s[4:5]
	s_and_saveexec_b64 s[0:1], vcc
	s_cbranch_execz .LBB142_12
.LBB142_15:
	s_waitcnt lgkmcnt(0)
	ds_bpermute_b32 v1, v2, v4
	s_waitcnt lgkmcnt(0)
	v_add_f32_e32 v1, v4, v1
	ds_bpermute_b32 v2, v3, v1
	s_waitcnt lgkmcnt(0)
	v_add_f32_e32 v1, v1, v2
	;; [unrolled: 3-line block ×4, first 2 shown]
	s_or_b64 exec, exec, s[0:1]
	v_cmp_eq_u32_e32 vcc, 0, v0
	s_and_saveexec_b64 s[0:1], vcc
	s_cbranch_execz .LBB142_13
.LBB142_16:
	s_waitcnt lgkmcnt(0)
	v_cvt_f16_f32_e32 v0, v4
	s_lshl_b64 s[0:1], s[6:7], 1
	s_add_u32 s0, s2, s0
	s_addc_u32 s1, s3, s1
	v_mov_b32_e32 v1, 0
	global_store_short v1, v0, s[0:1]
	s_endpgm
	.section	.rodata,"a",@progbits
	.p2align	6, 0x0
	.amdhsa_kernel _ZL30rocblas_reduction_kernel_part2ILi1024ELi4E25rocblas_finalize_identityfDF16_EviPT2_PT3_
		.amdhsa_group_segment_fixed_size 256
		.amdhsa_private_segment_fixed_size 0
		.amdhsa_kernarg_size 24
		.amdhsa_user_sgpr_count 6
		.amdhsa_user_sgpr_private_segment_buffer 1
		.amdhsa_user_sgpr_dispatch_ptr 0
		.amdhsa_user_sgpr_queue_ptr 0
		.amdhsa_user_sgpr_kernarg_segment_ptr 1
		.amdhsa_user_sgpr_dispatch_id 0
		.amdhsa_user_sgpr_flat_scratch_init 0
		.amdhsa_user_sgpr_private_segment_size 0
		.amdhsa_uses_dynamic_stack 0
		.amdhsa_system_sgpr_private_segment_wavefront_offset 0
		.amdhsa_system_sgpr_workgroup_id_x 1
		.amdhsa_system_sgpr_workgroup_id_y 0
		.amdhsa_system_sgpr_workgroup_id_z 0
		.amdhsa_system_sgpr_workgroup_info 0
		.amdhsa_system_vgpr_workitem_id 0
		.amdhsa_next_free_vgpr 10
		.amdhsa_next_free_sgpr 14
		.amdhsa_reserve_vcc 1
		.amdhsa_reserve_flat_scratch 0
		.amdhsa_float_round_mode_32 0
		.amdhsa_float_round_mode_16_64 0
		.amdhsa_float_denorm_mode_32 3
		.amdhsa_float_denorm_mode_16_64 3
		.amdhsa_dx10_clamp 1
		.amdhsa_ieee_mode 1
		.amdhsa_fp16_overflow 0
		.amdhsa_exception_fp_ieee_invalid_op 0
		.amdhsa_exception_fp_denorm_src 0
		.amdhsa_exception_fp_ieee_div_zero 0
		.amdhsa_exception_fp_ieee_overflow 0
		.amdhsa_exception_fp_ieee_underflow 0
		.amdhsa_exception_fp_ieee_inexact 0
		.amdhsa_exception_int_div_zero 0
	.end_amdhsa_kernel
	.section	.text._ZL30rocblas_reduction_kernel_part2ILi1024ELi4E25rocblas_finalize_identityfDF16_EviPT2_PT3_,"axG",@progbits,_ZL30rocblas_reduction_kernel_part2ILi1024ELi4E25rocblas_finalize_identityfDF16_EviPT2_PT3_,comdat
.Lfunc_end142:
	.size	_ZL30rocblas_reduction_kernel_part2ILi1024ELi4E25rocblas_finalize_identityfDF16_EviPT2_PT3_, .Lfunc_end142-_ZL30rocblas_reduction_kernel_part2ILi1024ELi4E25rocblas_finalize_identityfDF16_EviPT2_PT3_
                                        ; -- End function
	.set _ZL30rocblas_reduction_kernel_part2ILi1024ELi4E25rocblas_finalize_identityfDF16_EviPT2_PT3_.num_vgpr, 10
	.set _ZL30rocblas_reduction_kernel_part2ILi1024ELi4E25rocblas_finalize_identityfDF16_EviPT2_PT3_.num_agpr, 0
	.set _ZL30rocblas_reduction_kernel_part2ILi1024ELi4E25rocblas_finalize_identityfDF16_EviPT2_PT3_.numbered_sgpr, 14
	.set _ZL30rocblas_reduction_kernel_part2ILi1024ELi4E25rocblas_finalize_identityfDF16_EviPT2_PT3_.num_named_barrier, 0
	.set _ZL30rocblas_reduction_kernel_part2ILi1024ELi4E25rocblas_finalize_identityfDF16_EviPT2_PT3_.private_seg_size, 0
	.set _ZL30rocblas_reduction_kernel_part2ILi1024ELi4E25rocblas_finalize_identityfDF16_EviPT2_PT3_.uses_vcc, 1
	.set _ZL30rocblas_reduction_kernel_part2ILi1024ELi4E25rocblas_finalize_identityfDF16_EviPT2_PT3_.uses_flat_scratch, 0
	.set _ZL30rocblas_reduction_kernel_part2ILi1024ELi4E25rocblas_finalize_identityfDF16_EviPT2_PT3_.has_dyn_sized_stack, 0
	.set _ZL30rocblas_reduction_kernel_part2ILi1024ELi4E25rocblas_finalize_identityfDF16_EviPT2_PT3_.has_recursion, 0
	.set _ZL30rocblas_reduction_kernel_part2ILi1024ELi4E25rocblas_finalize_identityfDF16_EviPT2_PT3_.has_indirect_call, 0
	.section	.AMDGPU.csdata,"",@progbits
; Kernel info:
; codeLenInByte = 792
; TotalNumSgprs: 18
; NumVgprs: 10
; ScratchSize: 0
; MemoryBound: 0
; FloatMode: 240
; IeeeMode: 1
; LDSByteSize: 256 bytes/workgroup (compile time only)
; SGPRBlocks: 2
; VGPRBlocks: 2
; NumSGPRsForWavesPerEU: 18
; NumVGPRsForWavesPerEU: 10
; Occupancy: 10
; WaveLimiterHint : 0
; COMPUTE_PGM_RSRC2:SCRATCH_EN: 0
; COMPUTE_PGM_RSRC2:USER_SGPR: 6
; COMPUTE_PGM_RSRC2:TRAP_HANDLER: 0
; COMPUTE_PGM_RSRC2:TGID_X_EN: 1
; COMPUTE_PGM_RSRC2:TGID_Y_EN: 0
; COMPUTE_PGM_RSRC2:TGID_Z_EN: 0
; COMPUTE_PGM_RSRC2:TIDIG_COMP_CNT: 0
	.section	.text._ZL23rocblas_dot_kernel_inc1ILb0ELi512ELi8ELb0EDF16_PKDF16_fEviT4_llS2_lliPT5_PT3_,"axG",@progbits,_ZL23rocblas_dot_kernel_inc1ILb0ELi512ELi8ELb0EDF16_PKDF16_fEviT4_llS2_lliPT5_PT3_,comdat
	.globl	_ZL23rocblas_dot_kernel_inc1ILb0ELi512ELi8ELb0EDF16_PKDF16_fEviT4_llS2_lliPT5_PT3_ ; -- Begin function _ZL23rocblas_dot_kernel_inc1ILb0ELi512ELi8ELb0EDF16_PKDF16_fEviT4_llS2_lliPT5_PT3_
	.p2align	8
	.type	_ZL23rocblas_dot_kernel_inc1ILb0ELi512ELi8ELb0EDF16_PKDF16_fEviT4_llS2_lliPT5_PT3_,@function
_ZL23rocblas_dot_kernel_inc1ILb0ELi512ELi8ELb0EDF16_PKDF16_fEviT4_llS2_lliPT5_PT3_: ; @_ZL23rocblas_dot_kernel_inc1ILb0ELi512ELi8ELb0EDF16_PKDF16_fEviT4_llS2_lliPT5_PT3_
; %bb.0:
	s_mov_b32 s2, s7
	s_load_dword s18, s[4:5], 0x50
	s_load_dword s7, s[4:5], 0x0
	s_load_dwordx4 s[8:11], s[4:5], 0x40
	v_lshl_or_b32 v1, s6, 9, v0
	s_mov_b32 s3, 0
	v_mov_b32_e32 v3, 0
	s_waitcnt lgkmcnt(0)
	v_cmp_gt_i32_e32 vcc, s7, v1
	s_and_saveexec_b64 s[12:13], vcc
	s_cbranch_execz .LBB143_4
; %bb.1:
	s_load_dwordx4 s[20:23], s[4:5], 0x10
	s_load_dwordx2 s[0:1], s[4:5], 0x8
	s_load_dwordx2 s[14:15], s[4:5], 0x20
	s_load_dwordx4 s[24:27], s[4:5], 0x28
	v_ashrrev_i32_e32 v2, 31, v1
	s_waitcnt lgkmcnt(0)
	s_mul_i32 s4, s23, s2
	s_mul_hi_u32 s5, s22, s2
	s_add_i32 s5, s5, s4
	s_mul_i32 s4, s22, s2
	s_lshl_b64 s[4:5], s[4:5], 1
	s_add_u32 s4, s0, s4
	s_addc_u32 s5, s1, s5
	s_lshl_b64 s[0:1], s[20:21], 1
	s_add_u32 s19, s4, s0
	s_addc_u32 s21, s5, s1
	s_mul_i32 s0, s27, s2
	s_mul_hi_u32 s1, s26, s2
	s_add_i32 s1, s1, s0
	s_mul_i32 s0, s26, s2
	s_lshl_b64 s[0:1], s[0:1], 1
	s_add_u32 s4, s14, s0
	s_addc_u32 s5, s15, s1
	s_lshl_b64 s[0:1], s[24:25], 1
	s_add_u32 s20, s4, s0
	s_addc_u32 s0, s5, s1
	s_lshl_b32 s4, s18, 9
	s_ashr_i32 s5, s4, 31
	v_add_u32_e32 v4, s4, v1
	v_lshlrev_b64 v[1:2], 1, v[1:2]
	s_lshl_b64 s[14:15], s[4:5], 1
	v_mov_b32_e32 v3, 0
	s_mov_b64 s[16:17], 0
	v_mov_b32_e32 v5, s0
	v_mov_b32_e32 v6, s21
	;; [unrolled: 1-line block ×3, first 2 shown]
	s_mov_b32 s5, s3
.LBB143_2:                              ; =>This Inner Loop Header: Depth=1
	v_add_co_u32_e32 v8, vcc, s20, v1
	v_addc_co_u32_e32 v9, vcc, v5, v2, vcc
	v_add_co_u32_e32 v10, vcc, s19, v1
	v_addc_co_u32_e32 v11, vcc, v6, v2, vcc
	global_load_ushort v12, v[8:9], off
	global_load_ushort v13, v[10:11], off
	s_add_i32 s15, s5, 1
	v_add_co_u32_e64 v1, s[0:1], s14, v1
	v_addc_co_u32_e64 v2, s[0:1], v2, v7, s[0:1]
	s_cmp_gt_u32 s5, 6
	v_cmp_le_i32_e32 vcc, s7, v4
	s_cselect_b64 s[0:1], -1, 0
	s_or_b64 s[0:1], s[0:1], vcc
	s_and_b64 s[0:1], exec, s[0:1]
	v_add_u32_e32 v4, s4, v4
	s_mov_b32 s5, s15
	s_or_b64 s[16:17], s[0:1], s[16:17]
	s_waitcnt vmcnt(0)
	v_fma_mix_f32 v3, v12, v13, v3 op_sel_hi:[1,1,0]
	s_andn2_b64 exec, exec, s[16:17]
	s_cbranch_execnz .LBB143_2
; %bb.3:
	s_or_b64 exec, exec, s[16:17]
.LBB143_4:
	s_or_b64 exec, exec, s[12:13]
	v_and_b32_e32 v2, 63, v0
	v_cmp_gt_u32_e32 vcc, 64, v0
	v_lshlrev_b32_e32 v1, 2, v2
	s_and_saveexec_b64 s[0:1], vcc
; %bb.5:
	v_mov_b32_e32 v4, 0
	ds_write_b32 v1, v4
; %bb.6:
	s_or_b64 exec, exec, s[0:1]
	v_mbcnt_lo_u32_b32 v4, -1, 0
	v_mbcnt_hi_u32_b32 v5, -1, v4
	v_mov_b32_e32 v4, 0x80
	v_lshl_or_b32 v4, v5, 2, v4
	ds_bpermute_b32 v4, v4, v3
	v_and_b32_e32 v6, 63, v5
	v_cmp_gt_u32_e64 s[0:1], 48, v6
	v_cndmask_b32_e64 v7, 0, 16, s[0:1]
	v_cmp_gt_u32_e64 s[0:1], 56, v6
	s_waitcnt lgkmcnt(0)
	v_add_f32_e32 v3, v3, v4
	v_add_lshl_u32 v4, v7, v5, 2
	ds_bpermute_b32 v4, v4, v3
	v_cndmask_b32_e64 v7, 0, 8, s[0:1]
	v_add_lshl_u32 v7, v7, v5, 2
	v_cmp_gt_u32_e64 s[0:1], 60, v6
	s_waitcnt lgkmcnt(0)
	v_add_f32_e32 v4, v3, v4
	ds_bpermute_b32 v7, v7, v4
	v_cndmask_b32_e64 v3, 0, 4, s[0:1]
	v_add_lshl_u32 v3, v3, v5, 2
	v_cmp_gt_u32_e64 s[0:1], 62, v6
	s_waitcnt lgkmcnt(0)
	s_barrier
	v_add_f32_e32 v7, v4, v7
	ds_bpermute_b32 v8, v3, v7
	v_cndmask_b32_e64 v4, 0, 2, s[0:1]
	v_add_lshl_u32 v4, v4, v5, 2
	v_cmp_ne_u32_e64 s[0:1], 63, v6
	v_addc_co_u32_e64 v5, s[0:1], 0, v5, s[0:1]
	s_waitcnt lgkmcnt(0)
	v_add_f32_e32 v7, v7, v8
	ds_bpermute_b32 v8, v4, v7
	v_lshlrev_b32_e32 v5, 2, v5
	v_cmp_eq_u32_e64 s[0:1], 0, v2
	s_waitcnt lgkmcnt(0)
	v_add_f32_e32 v6, v7, v8
	ds_bpermute_b32 v7, v5, v6
	s_and_saveexec_b64 s[4:5], s[0:1]
	s_cbranch_execz .LBB143_8
; %bb.7:
	s_waitcnt lgkmcnt(0)
	v_add_f32_e32 v2, v6, v7
	v_lshrrev_b32_e32 v6, 4, v0
	v_and_b32_e32 v6, 28, v6
	ds_write_b32 v6, v2
.LBB143_8:
	s_or_b64 exec, exec, s[4:5]
	v_cmp_gt_u32_e64 s[0:1], 8, v0
	v_mov_b32_e32 v2, 0
	s_waitcnt lgkmcnt(0)
	s_barrier
	s_and_saveexec_b64 s[4:5], s[0:1]
	s_cbranch_execnz .LBB143_12
; %bb.9:
	s_or_b64 exec, exec, s[4:5]
	s_and_saveexec_b64 s[0:1], vcc
	s_cbranch_execnz .LBB143_13
.LBB143_10:
	s_or_b64 exec, exec, s[0:1]
	v_cmp_eq_u32_e32 vcc, 0, v0
	s_and_saveexec_b64 s[0:1], vcc
	s_cbranch_execnz .LBB143_14
.LBB143_11:
	s_endpgm
.LBB143_12:
	ds_read_b32 v2, v1
	s_or_b64 exec, exec, s[4:5]
	s_and_saveexec_b64 s[0:1], vcc
	s_cbranch_execz .LBB143_10
.LBB143_13:
	s_waitcnt lgkmcnt(0)
	ds_bpermute_b32 v1, v3, v2
	s_waitcnt lgkmcnt(0)
	v_add_f32_e32 v1, v2, v1
	ds_bpermute_b32 v2, v4, v1
	s_waitcnt lgkmcnt(0)
	v_add_f32_e32 v1, v1, v2
	;; [unrolled: 3-line block ×3, first 2 shown]
	s_or_b64 exec, exec, s[0:1]
	v_cmp_eq_u32_e32 vcc, 0, v0
	s_and_saveexec_b64 s[0:1], vcc
	s_cbranch_execz .LBB143_11
.LBB143_14:
	s_cmp_lg_u32 s18, 1
	s_mov_b64 s[0:1], -1
	s_cbranch_scc0 .LBB143_16
; %bb.15:
	s_mul_hi_u32 s1, s18, s2
	s_mul_i32 s0, s18, s2
	s_lshl_b64 s[0:1], s[0:1], 2
	s_mov_b32 s7, 0
	s_add_u32 s4, s8, s0
	s_addc_u32 s5, s9, s1
	s_lshl_b64 s[0:1], s[6:7], 2
	s_add_u32 s0, s4, s0
	s_addc_u32 s1, s5, s1
	v_mov_b32_e32 v0, 0
	s_waitcnt lgkmcnt(0)
	global_store_dword v0, v2, s[0:1]
	s_mov_b64 s[0:1], 0
.LBB143_16:
	s_andn2_b64 vcc, exec, s[0:1]
	s_cbranch_vccnz .LBB143_11
; %bb.17:
	s_waitcnt lgkmcnt(0)
	v_cvt_f16_f32_e32 v0, v2
	s_lshl_b64 s[0:1], s[2:3], 1
	s_add_u32 s0, s10, s0
	s_addc_u32 s1, s11, s1
	v_mov_b32_e32 v1, 0
	global_store_short v1, v0, s[0:1]
	s_endpgm
	.section	.rodata,"a",@progbits
	.p2align	6, 0x0
	.amdhsa_kernel _ZL23rocblas_dot_kernel_inc1ILb0ELi512ELi8ELb0EDF16_PKDF16_fEviT4_llS2_lliPT5_PT3_
		.amdhsa_group_segment_fixed_size 256
		.amdhsa_private_segment_fixed_size 0
		.amdhsa_kernarg_size 336
		.amdhsa_user_sgpr_count 6
		.amdhsa_user_sgpr_private_segment_buffer 1
		.amdhsa_user_sgpr_dispatch_ptr 0
		.amdhsa_user_sgpr_queue_ptr 0
		.amdhsa_user_sgpr_kernarg_segment_ptr 1
		.amdhsa_user_sgpr_dispatch_id 0
		.amdhsa_user_sgpr_flat_scratch_init 0
		.amdhsa_user_sgpr_private_segment_size 0
		.amdhsa_uses_dynamic_stack 0
		.amdhsa_system_sgpr_private_segment_wavefront_offset 0
		.amdhsa_system_sgpr_workgroup_id_x 1
		.amdhsa_system_sgpr_workgroup_id_y 0
		.amdhsa_system_sgpr_workgroup_id_z 1
		.amdhsa_system_sgpr_workgroup_info 0
		.amdhsa_system_vgpr_workitem_id 0
		.amdhsa_next_free_vgpr 14
		.amdhsa_next_free_sgpr 28
		.amdhsa_reserve_vcc 1
		.amdhsa_reserve_flat_scratch 0
		.amdhsa_float_round_mode_32 0
		.amdhsa_float_round_mode_16_64 0
		.amdhsa_float_denorm_mode_32 3
		.amdhsa_float_denorm_mode_16_64 3
		.amdhsa_dx10_clamp 1
		.amdhsa_ieee_mode 1
		.amdhsa_fp16_overflow 0
		.amdhsa_exception_fp_ieee_invalid_op 0
		.amdhsa_exception_fp_denorm_src 0
		.amdhsa_exception_fp_ieee_div_zero 0
		.amdhsa_exception_fp_ieee_overflow 0
		.amdhsa_exception_fp_ieee_underflow 0
		.amdhsa_exception_fp_ieee_inexact 0
		.amdhsa_exception_int_div_zero 0
	.end_amdhsa_kernel
	.section	.text._ZL23rocblas_dot_kernel_inc1ILb0ELi512ELi8ELb0EDF16_PKDF16_fEviT4_llS2_lliPT5_PT3_,"axG",@progbits,_ZL23rocblas_dot_kernel_inc1ILb0ELi512ELi8ELb0EDF16_PKDF16_fEviT4_llS2_lliPT5_PT3_,comdat
.Lfunc_end143:
	.size	_ZL23rocblas_dot_kernel_inc1ILb0ELi512ELi8ELb0EDF16_PKDF16_fEviT4_llS2_lliPT5_PT3_, .Lfunc_end143-_ZL23rocblas_dot_kernel_inc1ILb0ELi512ELi8ELb0EDF16_PKDF16_fEviT4_llS2_lliPT5_PT3_
                                        ; -- End function
	.set _ZL23rocblas_dot_kernel_inc1ILb0ELi512ELi8ELb0EDF16_PKDF16_fEviT4_llS2_lliPT5_PT3_.num_vgpr, 14
	.set _ZL23rocblas_dot_kernel_inc1ILb0ELi512ELi8ELb0EDF16_PKDF16_fEviT4_llS2_lliPT5_PT3_.num_agpr, 0
	.set _ZL23rocblas_dot_kernel_inc1ILb0ELi512ELi8ELb0EDF16_PKDF16_fEviT4_llS2_lliPT5_PT3_.numbered_sgpr, 28
	.set _ZL23rocblas_dot_kernel_inc1ILb0ELi512ELi8ELb0EDF16_PKDF16_fEviT4_llS2_lliPT5_PT3_.num_named_barrier, 0
	.set _ZL23rocblas_dot_kernel_inc1ILb0ELi512ELi8ELb0EDF16_PKDF16_fEviT4_llS2_lliPT5_PT3_.private_seg_size, 0
	.set _ZL23rocblas_dot_kernel_inc1ILb0ELi512ELi8ELb0EDF16_PKDF16_fEviT4_llS2_lliPT5_PT3_.uses_vcc, 1
	.set _ZL23rocblas_dot_kernel_inc1ILb0ELi512ELi8ELb0EDF16_PKDF16_fEviT4_llS2_lliPT5_PT3_.uses_flat_scratch, 0
	.set _ZL23rocblas_dot_kernel_inc1ILb0ELi512ELi8ELb0EDF16_PKDF16_fEviT4_llS2_lliPT5_PT3_.has_dyn_sized_stack, 0
	.set _ZL23rocblas_dot_kernel_inc1ILb0ELi512ELi8ELb0EDF16_PKDF16_fEviT4_llS2_lliPT5_PT3_.has_recursion, 0
	.set _ZL23rocblas_dot_kernel_inc1ILb0ELi512ELi8ELb0EDF16_PKDF16_fEviT4_llS2_lliPT5_PT3_.has_indirect_call, 0
	.section	.AMDGPU.csdata,"",@progbits
; Kernel info:
; codeLenInByte = 920
; TotalNumSgprs: 32
; NumVgprs: 14
; ScratchSize: 0
; MemoryBound: 0
; FloatMode: 240
; IeeeMode: 1
; LDSByteSize: 256 bytes/workgroup (compile time only)
; SGPRBlocks: 3
; VGPRBlocks: 3
; NumSGPRsForWavesPerEU: 32
; NumVGPRsForWavesPerEU: 14
; Occupancy: 10
; WaveLimiterHint : 0
; COMPUTE_PGM_RSRC2:SCRATCH_EN: 0
; COMPUTE_PGM_RSRC2:USER_SGPR: 6
; COMPUTE_PGM_RSRC2:TRAP_HANDLER: 0
; COMPUTE_PGM_RSRC2:TGID_X_EN: 1
; COMPUTE_PGM_RSRC2:TGID_Y_EN: 0
; COMPUTE_PGM_RSRC2:TGID_Z_EN: 1
; COMPUTE_PGM_RSRC2:TIDIG_COMP_CNT: 0
	.section	.text._ZL18rocblas_dot_kernelIiLb0ELi512ELi8ELb0EDF16_PKDF16_fEviT5_lT_lS2_lS3_liPT6_PT4_,"axG",@progbits,_ZL18rocblas_dot_kernelIiLb0ELi512ELi8ELb0EDF16_PKDF16_fEviT5_lT_lS2_lS3_liPT6_PT4_,comdat
	.globl	_ZL18rocblas_dot_kernelIiLb0ELi512ELi8ELb0EDF16_PKDF16_fEviT5_lT_lS2_lS3_liPT6_PT4_ ; -- Begin function _ZL18rocblas_dot_kernelIiLb0ELi512ELi8ELb0EDF16_PKDF16_fEviT5_lT_lS2_lS3_liPT6_PT4_
	.p2align	8
	.type	_ZL18rocblas_dot_kernelIiLb0ELi512ELi8ELb0EDF16_PKDF16_fEviT5_lT_lS2_lS3_liPT6_PT4_,@function
_ZL18rocblas_dot_kernelIiLb0ELi512ELi8ELb0EDF16_PKDF16_fEviT5_lT_lS2_lS3_liPT6_PT4_: ; @_ZL18rocblas_dot_kernelIiLb0ELi512ELi8ELb0EDF16_PKDF16_fEviT5_lT_lS2_lS3_liPT6_PT4_
; %bb.0:
	s_mov_b32 s12, s7
	s_load_dword s18, s[4:5], 0x60
	s_load_dword s7, s[4:5], 0x0
	s_load_dwordx4 s[8:11], s[4:5], 0x50
	v_lshl_or_b32 v3, s6, 9, v0
	s_mov_b32 s13, 0
	v_mov_b32_e32 v6, 0
	s_waitcnt lgkmcnt(0)
	v_cmp_gt_i32_e32 vcc, s7, v3
	s_and_saveexec_b64 s[14:15], vcc
	s_cbranch_execz .LBB144_4
; %bb.1:
	s_load_dword s26, s[4:5], 0x18
	s_load_dwordx4 s[20:23], s[4:5], 0x8
	s_load_dwordx4 s[0:3], s[4:5], 0x20
	s_load_dwordx2 s[16:17], s[4:5], 0x30
	s_lshl_b32 s19, s18, 9
	s_waitcnt lgkmcnt(0)
	v_mad_i64_i32 v[1:2], s[24:25], s26, v3, 0
	s_load_dword s27, s[4:5], 0x38
	s_load_dwordx2 s[24:25], s[4:5], 0x40
	s_mul_i32 s1, s1, s12
	s_mul_hi_u32 s4, s0, s12
	s_add_i32 s1, s4, s1
	s_mul_i32 s0, s0, s12
	s_lshl_b64 s[0:1], s[0:1], 1
	s_lshl_b64 s[4:5], s[22:23], 1
	s_add_u32 s4, s20, s4
	s_addc_u32 s5, s21, s5
	v_lshlrev_b64 v[1:2], 1, v[1:2]
	s_add_u32 s0, s4, s0
	s_addc_u32 s1, s5, s1
	v_mov_b32_e32 v4, s1
	v_add_co_u32_e32 v1, vcc, s0, v1
	v_add_u32_e32 v5, s19, v3
	v_addc_co_u32_e32 v2, vcc, v4, v2, vcc
	s_waitcnt lgkmcnt(0)
	v_mad_i64_i32 v[3:4], s[0:1], s27, v3, 0
	s_mul_hi_i32 s1, s26, s19
	s_mul_i32 s0, s26, s19
	s_lshl_b64 s[4:5], s[0:1], 1
	s_mul_i32 s0, s25, s12
	s_mul_hi_u32 s1, s24, s12
	s_add_i32 s1, s1, s0
	s_mul_i32 s0, s24, s12
	s_lshl_b64 s[0:1], s[0:1], 1
	s_lshl_b64 s[16:17], s[16:17], 1
	s_add_u32 s2, s2, s16
	s_addc_u32 s3, s3, s17
	v_lshlrev_b64 v[3:4], 1, v[3:4]
	s_add_u32 s0, s2, s0
	s_addc_u32 s1, s3, s1
	v_mov_b32_e32 v6, s1
	v_add_co_u32_e32 v3, vcc, s0, v3
	s_mul_hi_i32 s1, s27, s19
	s_mul_i32 s0, s27, s19
	s_lshl_b64 s[2:3], s[0:1], 1
	v_addc_co_u32_e32 v4, vcc, v6, v4, vcc
	v_mov_b32_e32 v6, 0
	s_mov_b64 s[16:17], 0
	v_mov_b32_e32 v7, s5
	v_mov_b32_e32 v8, s3
	s_mov_b32 s3, s13
.LBB144_2:                              ; =>This Inner Loop Header: Depth=1
	global_load_ushort v9, v[3:4], off
	global_load_ushort v10, v[1:2], off
	v_add_co_u32_e64 v1, s[0:1], s4, v1
	v_addc_co_u32_e64 v2, s[0:1], v2, v7, s[0:1]
	s_add_i32 s5, s3, 1
	v_add_co_u32_e64 v3, s[0:1], s2, v3
	v_addc_co_u32_e64 v4, s[0:1], v4, v8, s[0:1]
	s_cmp_gt_u32 s3, 6
	v_cmp_le_i32_e32 vcc, s7, v5
	s_cselect_b64 s[0:1], -1, 0
	s_or_b64 s[0:1], s[0:1], vcc
	s_and_b64 s[0:1], exec, s[0:1]
	v_add_u32_e32 v5, s19, v5
	s_mov_b32 s3, s5
	s_or_b64 s[16:17], s[0:1], s[16:17]
	s_waitcnt vmcnt(0)
	v_fma_mix_f32 v6, v9, v10, v6 op_sel_hi:[1,1,0]
	s_andn2_b64 exec, exec, s[16:17]
	s_cbranch_execnz .LBB144_2
; %bb.3:
	s_or_b64 exec, exec, s[16:17]
.LBB144_4:
	s_or_b64 exec, exec, s[14:15]
	v_and_b32_e32 v2, 63, v0
	v_cmp_gt_u32_e32 vcc, 64, v0
	v_lshlrev_b32_e32 v1, 2, v2
	s_and_saveexec_b64 s[0:1], vcc
; %bb.5:
	v_mov_b32_e32 v3, 0
	ds_write_b32 v1, v3
; %bb.6:
	s_or_b64 exec, exec, s[0:1]
	v_mbcnt_lo_u32_b32 v3, -1, 0
	v_mbcnt_hi_u32_b32 v5, -1, v3
	v_mov_b32_e32 v3, 0x80
	v_lshl_or_b32 v3, v5, 2, v3
	ds_bpermute_b32 v3, v3, v6
	v_and_b32_e32 v7, 63, v5
	v_cmp_gt_u32_e64 s[0:1], 48, v7
	v_cndmask_b32_e64 v4, 0, 16, s[0:1]
	v_add_lshl_u32 v4, v4, v5, 2
	s_waitcnt lgkmcnt(0)
	v_add_f32_e32 v3, v6, v3
	ds_bpermute_b32 v4, v4, v3
	v_cmp_gt_u32_e64 s[0:1], 56, v7
	v_cndmask_b32_e64 v6, 0, 8, s[0:1]
	v_add_lshl_u32 v6, v6, v5, 2
	v_cmp_gt_u32_e64 s[0:1], 60, v7
	s_waitcnt lgkmcnt(0)
	v_add_f32_e32 v4, v3, v4
	ds_bpermute_b32 v6, v6, v4
	v_cndmask_b32_e64 v3, 0, 4, s[0:1]
	v_add_lshl_u32 v3, v3, v5, 2
	v_cmp_gt_u32_e64 s[0:1], 62, v7
	s_waitcnt lgkmcnt(0)
	v_add_f32_e32 v6, v4, v6
	ds_bpermute_b32 v8, v3, v6
	v_cndmask_b32_e64 v4, 0, 2, s[0:1]
	v_add_lshl_u32 v4, v4, v5, 2
	v_cmp_ne_u32_e64 s[0:1], 63, v7
	v_addc_co_u32_e64 v5, s[0:1], 0, v5, s[0:1]
	s_waitcnt lgkmcnt(0)
	v_add_f32_e32 v6, v6, v8
	ds_bpermute_b32 v8, v4, v6
	v_lshlrev_b32_e32 v5, 2, v5
	v_cmp_eq_u32_e64 s[0:1], 0, v2
	s_waitcnt lgkmcnt(0)
	s_barrier
	v_add_f32_e32 v6, v6, v8
	ds_bpermute_b32 v7, v5, v6
	s_and_saveexec_b64 s[2:3], s[0:1]
	s_cbranch_execz .LBB144_8
; %bb.7:
	s_waitcnt lgkmcnt(0)
	v_add_f32_e32 v2, v6, v7
	v_lshrrev_b32_e32 v6, 4, v0
	v_and_b32_e32 v6, 28, v6
	ds_write_b32 v6, v2
.LBB144_8:
	s_or_b64 exec, exec, s[2:3]
	v_cmp_gt_u32_e64 s[0:1], 8, v0
	v_mov_b32_e32 v2, 0
	s_waitcnt lgkmcnt(0)
	s_barrier
	s_and_saveexec_b64 s[2:3], s[0:1]
	s_cbranch_execnz .LBB144_12
; %bb.9:
	s_or_b64 exec, exec, s[2:3]
	s_and_saveexec_b64 s[0:1], vcc
	s_cbranch_execnz .LBB144_13
.LBB144_10:
	s_or_b64 exec, exec, s[0:1]
	v_cmp_eq_u32_e32 vcc, 0, v0
	s_and_saveexec_b64 s[0:1], vcc
	s_cbranch_execnz .LBB144_14
.LBB144_11:
	s_endpgm
.LBB144_12:
	ds_read_b32 v2, v1
	s_or_b64 exec, exec, s[2:3]
	s_and_saveexec_b64 s[0:1], vcc
	s_cbranch_execz .LBB144_10
.LBB144_13:
	s_waitcnt lgkmcnt(0)
	ds_bpermute_b32 v1, v3, v2
	s_waitcnt lgkmcnt(0)
	v_add_f32_e32 v1, v2, v1
	ds_bpermute_b32 v2, v4, v1
	s_waitcnt lgkmcnt(0)
	v_add_f32_e32 v1, v1, v2
	;; [unrolled: 3-line block ×3, first 2 shown]
	s_or_b64 exec, exec, s[0:1]
	v_cmp_eq_u32_e32 vcc, 0, v0
	s_and_saveexec_b64 s[0:1], vcc
	s_cbranch_execz .LBB144_11
.LBB144_14:
	s_cmp_lg_u32 s18, 1
	s_mov_b64 s[0:1], -1
	s_cbranch_scc0 .LBB144_16
; %bb.15:
	s_mul_hi_u32 s1, s18, s12
	s_mul_i32 s0, s18, s12
	s_lshl_b64 s[0:1], s[0:1], 2
	s_mov_b32 s7, 0
	s_add_u32 s2, s8, s0
	s_addc_u32 s3, s9, s1
	s_lshl_b64 s[0:1], s[6:7], 2
	s_add_u32 s0, s2, s0
	s_addc_u32 s1, s3, s1
	v_mov_b32_e32 v0, 0
	s_waitcnt lgkmcnt(0)
	global_store_dword v0, v2, s[0:1]
	s_mov_b64 s[0:1], 0
.LBB144_16:
	s_andn2_b64 vcc, exec, s[0:1]
	s_cbranch_vccnz .LBB144_11
; %bb.17:
	s_waitcnt lgkmcnt(0)
	v_cvt_f16_f32_e32 v0, v2
	s_lshl_b64 s[0:1], s[12:13], 1
	s_add_u32 s0, s10, s0
	s_addc_u32 s1, s11, s1
	v_mov_b32_e32 v1, 0
	global_store_short v1, v0, s[0:1]
	s_endpgm
	.section	.rodata,"a",@progbits
	.p2align	6, 0x0
	.amdhsa_kernel _ZL18rocblas_dot_kernelIiLb0ELi512ELi8ELb0EDF16_PKDF16_fEviT5_lT_lS2_lS3_liPT6_PT4_
		.amdhsa_group_segment_fixed_size 256
		.amdhsa_private_segment_fixed_size 0
		.amdhsa_kernarg_size 352
		.amdhsa_user_sgpr_count 6
		.amdhsa_user_sgpr_private_segment_buffer 1
		.amdhsa_user_sgpr_dispatch_ptr 0
		.amdhsa_user_sgpr_queue_ptr 0
		.amdhsa_user_sgpr_kernarg_segment_ptr 1
		.amdhsa_user_sgpr_dispatch_id 0
		.amdhsa_user_sgpr_flat_scratch_init 0
		.amdhsa_user_sgpr_private_segment_size 0
		.amdhsa_uses_dynamic_stack 0
		.amdhsa_system_sgpr_private_segment_wavefront_offset 0
		.amdhsa_system_sgpr_workgroup_id_x 1
		.amdhsa_system_sgpr_workgroup_id_y 0
		.amdhsa_system_sgpr_workgroup_id_z 1
		.amdhsa_system_sgpr_workgroup_info 0
		.amdhsa_system_vgpr_workitem_id 0
		.amdhsa_next_free_vgpr 11
		.amdhsa_next_free_sgpr 28
		.amdhsa_reserve_vcc 1
		.amdhsa_reserve_flat_scratch 0
		.amdhsa_float_round_mode_32 0
		.amdhsa_float_round_mode_16_64 0
		.amdhsa_float_denorm_mode_32 3
		.amdhsa_float_denorm_mode_16_64 3
		.amdhsa_dx10_clamp 1
		.amdhsa_ieee_mode 1
		.amdhsa_fp16_overflow 0
		.amdhsa_exception_fp_ieee_invalid_op 0
		.amdhsa_exception_fp_denorm_src 0
		.amdhsa_exception_fp_ieee_div_zero 0
		.amdhsa_exception_fp_ieee_overflow 0
		.amdhsa_exception_fp_ieee_underflow 0
		.amdhsa_exception_fp_ieee_inexact 0
		.amdhsa_exception_int_div_zero 0
	.end_amdhsa_kernel
	.section	.text._ZL18rocblas_dot_kernelIiLb0ELi512ELi8ELb0EDF16_PKDF16_fEviT5_lT_lS2_lS3_liPT6_PT4_,"axG",@progbits,_ZL18rocblas_dot_kernelIiLb0ELi512ELi8ELb0EDF16_PKDF16_fEviT5_lT_lS2_lS3_liPT6_PT4_,comdat
.Lfunc_end144:
	.size	_ZL18rocblas_dot_kernelIiLb0ELi512ELi8ELb0EDF16_PKDF16_fEviT5_lT_lS2_lS3_liPT6_PT4_, .Lfunc_end144-_ZL18rocblas_dot_kernelIiLb0ELi512ELi8ELb0EDF16_PKDF16_fEviT5_lT_lS2_lS3_liPT6_PT4_
                                        ; -- End function
	.set _ZL18rocblas_dot_kernelIiLb0ELi512ELi8ELb0EDF16_PKDF16_fEviT5_lT_lS2_lS3_liPT6_PT4_.num_vgpr, 11
	.set _ZL18rocblas_dot_kernelIiLb0ELi512ELi8ELb0EDF16_PKDF16_fEviT5_lT_lS2_lS3_liPT6_PT4_.num_agpr, 0
	.set _ZL18rocblas_dot_kernelIiLb0ELi512ELi8ELb0EDF16_PKDF16_fEviT5_lT_lS2_lS3_liPT6_PT4_.numbered_sgpr, 28
	.set _ZL18rocblas_dot_kernelIiLb0ELi512ELi8ELb0EDF16_PKDF16_fEviT5_lT_lS2_lS3_liPT6_PT4_.num_named_barrier, 0
	.set _ZL18rocblas_dot_kernelIiLb0ELi512ELi8ELb0EDF16_PKDF16_fEviT5_lT_lS2_lS3_liPT6_PT4_.private_seg_size, 0
	.set _ZL18rocblas_dot_kernelIiLb0ELi512ELi8ELb0EDF16_PKDF16_fEviT5_lT_lS2_lS3_liPT6_PT4_.uses_vcc, 1
	.set _ZL18rocblas_dot_kernelIiLb0ELi512ELi8ELb0EDF16_PKDF16_fEviT5_lT_lS2_lS3_liPT6_PT4_.uses_flat_scratch, 0
	.set _ZL18rocblas_dot_kernelIiLb0ELi512ELi8ELb0EDF16_PKDF16_fEviT5_lT_lS2_lS3_liPT6_PT4_.has_dyn_sized_stack, 0
	.set _ZL18rocblas_dot_kernelIiLb0ELi512ELi8ELb0EDF16_PKDF16_fEviT5_lT_lS2_lS3_liPT6_PT4_.has_recursion, 0
	.set _ZL18rocblas_dot_kernelIiLb0ELi512ELi8ELb0EDF16_PKDF16_fEviT5_lT_lS2_lS3_liPT6_PT4_.has_indirect_call, 0
	.section	.AMDGPU.csdata,"",@progbits
; Kernel info:
; codeLenInByte = 996
; TotalNumSgprs: 32
; NumVgprs: 11
; ScratchSize: 0
; MemoryBound: 0
; FloatMode: 240
; IeeeMode: 1
; LDSByteSize: 256 bytes/workgroup (compile time only)
; SGPRBlocks: 3
; VGPRBlocks: 2
; NumSGPRsForWavesPerEU: 32
; NumVGPRsForWavesPerEU: 11
; Occupancy: 10
; WaveLimiterHint : 0
; COMPUTE_PGM_RSRC2:SCRATCH_EN: 0
; COMPUTE_PGM_RSRC2:USER_SGPR: 6
; COMPUTE_PGM_RSRC2:TRAP_HANDLER: 0
; COMPUTE_PGM_RSRC2:TGID_X_EN: 1
; COMPUTE_PGM_RSRC2:TGID_Y_EN: 0
; COMPUTE_PGM_RSRC2:TGID_Z_EN: 1
; COMPUTE_PGM_RSRC2:TIDIG_COMP_CNT: 0
	.section	.text._ZL24rocblas_dot_kernel_magsqIiLb0ELi512ELi8ELb0EDF16_PKDF16_fEviT5_lT_liPT6_PT4_,"axG",@progbits,_ZL24rocblas_dot_kernel_magsqIiLb0ELi512ELi8ELb0EDF16_PKDF16_fEviT5_lT_liPT6_PT4_,comdat
	.globl	_ZL24rocblas_dot_kernel_magsqIiLb0ELi512ELi8ELb0EDF16_PKDF16_fEviT5_lT_liPT6_PT4_ ; -- Begin function _ZL24rocblas_dot_kernel_magsqIiLb0ELi512ELi8ELb0EDF16_PKDF16_fEviT5_lT_liPT6_PT4_
	.p2align	8
	.type	_ZL24rocblas_dot_kernel_magsqIiLb0ELi512ELi8ELb0EDF16_PKDF16_fEviT5_lT_liPT6_PT4_,@function
_ZL24rocblas_dot_kernel_magsqIiLb0ELi512ELi8ELb0EDF16_PKDF16_fEviT5_lT_liPT6_PT4_: ; @_ZL24rocblas_dot_kernel_magsqIiLb0ELi512ELi8ELb0EDF16_PKDF16_fEviT5_lT_liPT6_PT4_
; %bb.0:
	s_mov_b32 s2, s7
	s_load_dword s7, s[4:5], 0x0
	s_load_dwordx4 s[8:11], s[4:5], 0x30
	s_load_dword s16, s[4:5], 0x40
	v_lshl_or_b32 v1, s6, 9, v0
	s_mov_b32 s3, 0
	s_waitcnt lgkmcnt(0)
	v_cmp_gt_i32_e32 vcc, s7, v1
	v_mov_b32_e32 v3, 0
	s_and_saveexec_b64 s[12:13], vcc
	s_cbranch_execz .LBB145_4
; %bb.1:
	s_load_dword s14, s[4:5], 0x18
	s_load_dwordx4 s[20:23], s[4:5], 0x8
	s_load_dwordx2 s[0:1], s[4:5], 0x20
	s_lshl_b32 s17, s16, 9
	v_add_u32_e32 v4, s17, v1
	s_waitcnt lgkmcnt(0)
	v_mad_i64_i32 v[2:3], s[4:5], s14, v1, 0
	s_mul_i32 s1, s1, s2
	s_mul_hi_u32 s4, s0, s2
	s_add_i32 s1, s4, s1
	s_mul_i32 s0, s0, s2
	s_lshl_b64 s[0:1], s[0:1], 1
	s_lshl_b64 s[4:5], s[22:23], 1
	s_add_u32 s4, s20, s4
	s_addc_u32 s5, s21, s5
	v_lshlrev_b64 v[1:2], 1, v[2:3]
	s_add_u32 s0, s4, s0
	s_addc_u32 s1, s5, s1
	v_mov_b32_e32 v3, s1
	v_add_co_u32_e32 v1, vcc, s0, v1
	s_mul_hi_i32 s1, s14, s17
	s_mul_i32 s0, s14, s17
	s_lshl_b64 s[4:5], s[0:1], 1
	v_addc_co_u32_e32 v2, vcc, v3, v2, vcc
	v_mov_b32_e32 v3, 0
	s_mov_b64 s[14:15], 0
	v_mov_b32_e32 v5, s5
	s_mov_b32 s5, s3
.LBB145_2:                              ; =>This Inner Loop Header: Depth=1
	global_load_ushort v6, v[1:2], off
	s_add_i32 s18, s5, 1
	v_add_co_u32_e64 v1, s[0:1], s4, v1
	v_addc_co_u32_e64 v2, s[0:1], v2, v5, s[0:1]
	s_cmp_gt_u32 s5, 6
	v_cmp_le_i32_e32 vcc, s7, v4
	s_cselect_b64 s[0:1], -1, 0
	s_or_b64 s[0:1], s[0:1], vcc
	s_and_b64 s[0:1], exec, s[0:1]
	v_add_u32_e32 v4, s17, v4
	s_mov_b32 s5, s18
	s_or_b64 s[14:15], s[0:1], s[14:15]
	s_waitcnt vmcnt(0)
	v_fma_mix_f32 v3, v6, v6, v3 op_sel_hi:[1,1,0]
	s_andn2_b64 exec, exec, s[14:15]
	s_cbranch_execnz .LBB145_2
; %bb.3:
	s_or_b64 exec, exec, s[14:15]
.LBB145_4:
	s_or_b64 exec, exec, s[12:13]
	v_and_b32_e32 v2, 63, v0
	v_cmp_gt_u32_e32 vcc, 64, v0
	v_lshlrev_b32_e32 v1, 2, v2
	s_and_saveexec_b64 s[0:1], vcc
; %bb.5:
	v_mov_b32_e32 v4, 0
	ds_write_b32 v1, v4
; %bb.6:
	s_or_b64 exec, exec, s[0:1]
	v_mbcnt_lo_u32_b32 v4, -1, 0
	v_mbcnt_hi_u32_b32 v5, -1, v4
	v_mov_b32_e32 v4, 0x80
	v_lshl_or_b32 v4, v5, 2, v4
	ds_bpermute_b32 v4, v4, v3
	v_and_b32_e32 v6, 63, v5
	v_cmp_gt_u32_e64 s[0:1], 48, v6
	v_cndmask_b32_e64 v7, 0, 16, s[0:1]
	v_cmp_gt_u32_e64 s[0:1], 56, v6
	s_waitcnt lgkmcnt(0)
	v_add_f32_e32 v3, v3, v4
	v_add_lshl_u32 v4, v7, v5, 2
	ds_bpermute_b32 v4, v4, v3
	v_cndmask_b32_e64 v7, 0, 8, s[0:1]
	v_add_lshl_u32 v7, v7, v5, 2
	v_cmp_gt_u32_e64 s[0:1], 60, v6
	s_waitcnt lgkmcnt(0)
	v_add_f32_e32 v4, v3, v4
	ds_bpermute_b32 v7, v7, v4
	v_cndmask_b32_e64 v3, 0, 4, s[0:1]
	v_add_lshl_u32 v3, v3, v5, 2
	v_cmp_gt_u32_e64 s[0:1], 62, v6
	s_waitcnt lgkmcnt(0)
	s_barrier
	v_add_f32_e32 v7, v4, v7
	ds_bpermute_b32 v8, v3, v7
	v_cndmask_b32_e64 v4, 0, 2, s[0:1]
	v_add_lshl_u32 v4, v4, v5, 2
	v_cmp_ne_u32_e64 s[0:1], 63, v6
	v_addc_co_u32_e64 v5, s[0:1], 0, v5, s[0:1]
	s_waitcnt lgkmcnt(0)
	v_add_f32_e32 v7, v7, v8
	ds_bpermute_b32 v8, v4, v7
	v_lshlrev_b32_e32 v5, 2, v5
	v_cmp_eq_u32_e64 s[0:1], 0, v2
	s_waitcnt lgkmcnt(0)
	v_add_f32_e32 v6, v7, v8
	ds_bpermute_b32 v7, v5, v6
	s_and_saveexec_b64 s[4:5], s[0:1]
	s_cbranch_execz .LBB145_8
; %bb.7:
	s_waitcnt lgkmcnt(0)
	v_add_f32_e32 v2, v6, v7
	v_lshrrev_b32_e32 v6, 4, v0
	v_and_b32_e32 v6, 28, v6
	ds_write_b32 v6, v2
.LBB145_8:
	s_or_b64 exec, exec, s[4:5]
	v_cmp_gt_u32_e64 s[0:1], 8, v0
	v_mov_b32_e32 v2, 0
	s_waitcnt lgkmcnt(0)
	s_barrier
	s_and_saveexec_b64 s[4:5], s[0:1]
	s_cbranch_execnz .LBB145_12
; %bb.9:
	s_or_b64 exec, exec, s[4:5]
	s_and_saveexec_b64 s[0:1], vcc
	s_cbranch_execnz .LBB145_13
.LBB145_10:
	s_or_b64 exec, exec, s[0:1]
	v_cmp_eq_u32_e32 vcc, 0, v0
	s_and_saveexec_b64 s[0:1], vcc
	s_cbranch_execnz .LBB145_14
.LBB145_11:
	s_endpgm
.LBB145_12:
	ds_read_b32 v2, v1
	s_or_b64 exec, exec, s[4:5]
	s_and_saveexec_b64 s[0:1], vcc
	s_cbranch_execz .LBB145_10
.LBB145_13:
	s_waitcnt lgkmcnt(0)
	ds_bpermute_b32 v1, v3, v2
	s_waitcnt lgkmcnt(0)
	v_add_f32_e32 v1, v2, v1
	ds_bpermute_b32 v2, v4, v1
	s_waitcnt lgkmcnt(0)
	v_add_f32_e32 v1, v1, v2
	;; [unrolled: 3-line block ×3, first 2 shown]
	s_or_b64 exec, exec, s[0:1]
	v_cmp_eq_u32_e32 vcc, 0, v0
	s_and_saveexec_b64 s[0:1], vcc
	s_cbranch_execz .LBB145_11
.LBB145_14:
	s_cmp_lg_u32 s16, 1
	s_mov_b64 s[0:1], -1
	s_cbranch_scc0 .LBB145_16
; %bb.15:
	s_mul_hi_u32 s1, s16, s2
	s_mul_i32 s0, s16, s2
	s_lshl_b64 s[0:1], s[0:1], 2
	s_mov_b32 s7, 0
	s_add_u32 s4, s8, s0
	s_addc_u32 s5, s9, s1
	s_lshl_b64 s[0:1], s[6:7], 2
	s_add_u32 s0, s4, s0
	s_addc_u32 s1, s5, s1
	v_mov_b32_e32 v0, 0
	s_waitcnt lgkmcnt(0)
	global_store_dword v0, v2, s[0:1]
	s_mov_b64 s[0:1], 0
.LBB145_16:
	s_andn2_b64 vcc, exec, s[0:1]
	s_cbranch_vccnz .LBB145_11
; %bb.17:
	s_waitcnt lgkmcnt(0)
	v_cvt_f16_f32_e32 v0, v2
	s_lshl_b64 s[0:1], s[2:3], 1
	s_add_u32 s0, s10, s0
	s_addc_u32 s1, s11, s1
	v_mov_b32_e32 v1, 0
	global_store_short v1, v0, s[0:1]
	s_endpgm
	.section	.rodata,"a",@progbits
	.p2align	6, 0x0
	.amdhsa_kernel _ZL24rocblas_dot_kernel_magsqIiLb0ELi512ELi8ELb0EDF16_PKDF16_fEviT5_lT_liPT6_PT4_
		.amdhsa_group_segment_fixed_size 256
		.amdhsa_private_segment_fixed_size 0
		.amdhsa_kernarg_size 320
		.amdhsa_user_sgpr_count 6
		.amdhsa_user_sgpr_private_segment_buffer 1
		.amdhsa_user_sgpr_dispatch_ptr 0
		.amdhsa_user_sgpr_queue_ptr 0
		.amdhsa_user_sgpr_kernarg_segment_ptr 1
		.amdhsa_user_sgpr_dispatch_id 0
		.amdhsa_user_sgpr_flat_scratch_init 0
		.amdhsa_user_sgpr_private_segment_size 0
		.amdhsa_uses_dynamic_stack 0
		.amdhsa_system_sgpr_private_segment_wavefront_offset 0
		.amdhsa_system_sgpr_workgroup_id_x 1
		.amdhsa_system_sgpr_workgroup_id_y 0
		.amdhsa_system_sgpr_workgroup_id_z 1
		.amdhsa_system_sgpr_workgroup_info 0
		.amdhsa_system_vgpr_workitem_id 0
		.amdhsa_next_free_vgpr 9
		.amdhsa_next_free_sgpr 24
		.amdhsa_reserve_vcc 1
		.amdhsa_reserve_flat_scratch 0
		.amdhsa_float_round_mode_32 0
		.amdhsa_float_round_mode_16_64 0
		.amdhsa_float_denorm_mode_32 3
		.amdhsa_float_denorm_mode_16_64 3
		.amdhsa_dx10_clamp 1
		.amdhsa_ieee_mode 1
		.amdhsa_fp16_overflow 0
		.amdhsa_exception_fp_ieee_invalid_op 0
		.amdhsa_exception_fp_denorm_src 0
		.amdhsa_exception_fp_ieee_div_zero 0
		.amdhsa_exception_fp_ieee_overflow 0
		.amdhsa_exception_fp_ieee_underflow 0
		.amdhsa_exception_fp_ieee_inexact 0
		.amdhsa_exception_int_div_zero 0
	.end_amdhsa_kernel
	.section	.text._ZL24rocblas_dot_kernel_magsqIiLb0ELi512ELi8ELb0EDF16_PKDF16_fEviT5_lT_liPT6_PT4_,"axG",@progbits,_ZL24rocblas_dot_kernel_magsqIiLb0ELi512ELi8ELb0EDF16_PKDF16_fEviT5_lT_liPT6_PT4_,comdat
.Lfunc_end145:
	.size	_ZL24rocblas_dot_kernel_magsqIiLb0ELi512ELi8ELb0EDF16_PKDF16_fEviT5_lT_liPT6_PT4_, .Lfunc_end145-_ZL24rocblas_dot_kernel_magsqIiLb0ELi512ELi8ELb0EDF16_PKDF16_fEviT5_lT_liPT6_PT4_
                                        ; -- End function
	.set _ZL24rocblas_dot_kernel_magsqIiLb0ELi512ELi8ELb0EDF16_PKDF16_fEviT5_lT_liPT6_PT4_.num_vgpr, 9
	.set _ZL24rocblas_dot_kernel_magsqIiLb0ELi512ELi8ELb0EDF16_PKDF16_fEviT5_lT_liPT6_PT4_.num_agpr, 0
	.set _ZL24rocblas_dot_kernel_magsqIiLb0ELi512ELi8ELb0EDF16_PKDF16_fEviT5_lT_liPT6_PT4_.numbered_sgpr, 24
	.set _ZL24rocblas_dot_kernel_magsqIiLb0ELi512ELi8ELb0EDF16_PKDF16_fEviT5_lT_liPT6_PT4_.num_named_barrier, 0
	.set _ZL24rocblas_dot_kernel_magsqIiLb0ELi512ELi8ELb0EDF16_PKDF16_fEviT5_lT_liPT6_PT4_.private_seg_size, 0
	.set _ZL24rocblas_dot_kernel_magsqIiLb0ELi512ELi8ELb0EDF16_PKDF16_fEviT5_lT_liPT6_PT4_.uses_vcc, 1
	.set _ZL24rocblas_dot_kernel_magsqIiLb0ELi512ELi8ELb0EDF16_PKDF16_fEviT5_lT_liPT6_PT4_.uses_flat_scratch, 0
	.set _ZL24rocblas_dot_kernel_magsqIiLb0ELi512ELi8ELb0EDF16_PKDF16_fEviT5_lT_liPT6_PT4_.has_dyn_sized_stack, 0
	.set _ZL24rocblas_dot_kernel_magsqIiLb0ELi512ELi8ELb0EDF16_PKDF16_fEviT5_lT_liPT6_PT4_.has_recursion, 0
	.set _ZL24rocblas_dot_kernel_magsqIiLb0ELi512ELi8ELb0EDF16_PKDF16_fEviT5_lT_liPT6_PT4_.has_indirect_call, 0
	.section	.AMDGPU.csdata,"",@progbits
; Kernel info:
; codeLenInByte = 860
; TotalNumSgprs: 28
; NumVgprs: 9
; ScratchSize: 0
; MemoryBound: 0
; FloatMode: 240
; IeeeMode: 1
; LDSByteSize: 256 bytes/workgroup (compile time only)
; SGPRBlocks: 3
; VGPRBlocks: 2
; NumSGPRsForWavesPerEU: 28
; NumVGPRsForWavesPerEU: 9
; Occupancy: 10
; WaveLimiterHint : 0
; COMPUTE_PGM_RSRC2:SCRATCH_EN: 0
; COMPUTE_PGM_RSRC2:USER_SGPR: 6
; COMPUTE_PGM_RSRC2:TRAP_HANDLER: 0
; COMPUTE_PGM_RSRC2:TGID_X_EN: 1
; COMPUTE_PGM_RSRC2:TGID_Y_EN: 0
; COMPUTE_PGM_RSRC2:TGID_Z_EN: 1
; COMPUTE_PGM_RSRC2:TIDIG_COMP_CNT: 0
	.section	.text._ZL30rocblas_reduction_kernel_part2ILi512ELi8E25rocblas_finalize_identityfDF16_EviPT2_PT3_,"axG",@progbits,_ZL30rocblas_reduction_kernel_part2ILi512ELi8E25rocblas_finalize_identityfDF16_EviPT2_PT3_,comdat
	.globl	_ZL30rocblas_reduction_kernel_part2ILi512ELi8E25rocblas_finalize_identityfDF16_EviPT2_PT3_ ; -- Begin function _ZL30rocblas_reduction_kernel_part2ILi512ELi8E25rocblas_finalize_identityfDF16_EviPT2_PT3_
	.p2align	8
	.type	_ZL30rocblas_reduction_kernel_part2ILi512ELi8E25rocblas_finalize_identityfDF16_EviPT2_PT3_,@function
_ZL30rocblas_reduction_kernel_part2ILi512ELi8E25rocblas_finalize_identityfDF16_EviPT2_PT3_: ; @_ZL30rocblas_reduction_kernel_part2ILi512ELi8E25rocblas_finalize_identityfDF16_EviPT2_PT3_
; %bb.0:
	s_load_dword s12, s[4:5], 0x0
	s_load_dwordx4 s[0:3], s[4:5], 0x8
	v_lshlrev_b32_e32 v4, 3, v0
	s_mov_b32 s7, 0
	v_mov_b32_e32 v3, 0
	s_waitcnt lgkmcnt(0)
	s_ashr_i32 s8, s12, 31
	s_mul_i32 s5, s8, s6
	s_lshr_b32 s8, s8, 29
	s_add_i32 s8, s12, s8
	s_mul_hi_u32 s4, s12, s6
	s_and_b32 s13, s8, -8
	s_add_i32 s5, s4, s5
	s_mul_i32 s4, s12, s6
	v_cmp_gt_i32_e32 vcc, s13, v4
	s_and_saveexec_b64 s[8:9], vcc
	s_cbranch_execz .LBB146_4
; %bb.1:
	s_lshl_b64 s[10:11], s[4:5], 2
	s_add_u32 s10, s0, s10
	v_lshlrev_b32_e32 v1, 5, v0
	s_addc_u32 s11, s1, s11
	v_mov_b32_e32 v2, s11
	v_add_co_u32_e32 v1, vcc, s10, v1
	v_addc_co_u32_e32 v2, vcc, 0, v2, vcc
	v_add_co_u32_e32 v1, vcc, 28, v1
	v_mov_b32_e32 v3, 0
	v_addc_co_u32_e32 v2, vcc, 0, v2, vcc
	s_mov_b64 s[10:11], 0
.LBB146_2:                              ; =>This Inner Loop Header: Depth=1
	global_load_dwordx4 v[5:8], v[1:2], off offset:-28
	global_load_dwordx4 v[9:12], v[1:2], off offset:-12
	v_add_co_u32_e32 v1, vcc, 0x4000, v1
	v_add_u32_e32 v4, 0x1000, v4
	v_addc_co_u32_e32 v2, vcc, 0, v2, vcc
	v_cmp_le_i32_e32 vcc, s13, v4
	s_or_b64 s[10:11], vcc, s[10:11]
	s_waitcnt vmcnt(1)
	v_add_f32_e32 v3, v3, v5
	v_add_f32_e32 v3, v3, v6
	;; [unrolled: 1-line block ×4, first 2 shown]
	s_waitcnt vmcnt(0)
	v_add_f32_e32 v3, v3, v9
	v_add_f32_e32 v3, v3, v10
	;; [unrolled: 1-line block ×4, first 2 shown]
	s_andn2_b64 exec, exec, s[10:11]
	s_cbranch_execnz .LBB146_2
; %bb.3:
	s_or_b64 exec, exec, s[10:11]
.LBB146_4:
	s_or_b64 exec, exec, s[8:9]
	s_sub_i32 s8, s12, s13
	v_cmp_gt_u32_e32 vcc, s8, v0
	s_and_saveexec_b64 s[8:9], vcc
	s_cbranch_execz .LBB146_6
; %bb.5:
	s_lshl_b64 s[4:5], s[4:5], 2
	v_xad_u32 v1, v0, -1, s12
	v_mov_b32_e32 v2, 0
	s_add_u32 s0, s0, s4
	v_lshlrev_b64 v[1:2], 2, v[1:2]
	s_addc_u32 s1, s1, s5
	v_mov_b32_e32 v4, s1
	v_add_co_u32_e32 v1, vcc, s0, v1
	v_addc_co_u32_e32 v2, vcc, v4, v2, vcc
	global_load_dword v1, v[1:2], off
	s_waitcnt vmcnt(0)
	v_add_f32_e32 v3, v3, v1
.LBB146_6:
	s_or_b64 exec, exec, s[8:9]
	v_and_b32_e32 v2, 63, v0
	v_cmp_gt_u32_e32 vcc, 64, v0
	v_lshlrev_b32_e32 v1, 2, v2
	s_and_saveexec_b64 s[0:1], vcc
; %bb.7:
	v_mov_b32_e32 v4, 0
	ds_write_b32 v1, v4
; %bb.8:
	s_or_b64 exec, exec, s[0:1]
	v_mbcnt_lo_u32_b32 v4, -1, 0
	v_mbcnt_hi_u32_b32 v5, -1, v4
	v_mov_b32_e32 v4, 0x80
	v_lshl_or_b32 v4, v5, 2, v4
	ds_bpermute_b32 v4, v4, v3
	v_and_b32_e32 v6, 63, v5
	v_cmp_gt_u32_e64 s[0:1], 48, v6
	v_cndmask_b32_e64 v7, 0, 16, s[0:1]
	v_cmp_gt_u32_e64 s[0:1], 56, v6
	s_waitcnt lgkmcnt(0)
	v_add_f32_e32 v3, v3, v4
	v_add_lshl_u32 v4, v7, v5, 2
	ds_bpermute_b32 v4, v4, v3
	v_cndmask_b32_e64 v7, 0, 8, s[0:1]
	v_add_lshl_u32 v7, v7, v5, 2
	v_cmp_gt_u32_e64 s[0:1], 60, v6
	s_waitcnt lgkmcnt(0)
	v_add_f32_e32 v4, v3, v4
	ds_bpermute_b32 v7, v7, v4
	v_cndmask_b32_e64 v3, 0, 4, s[0:1]
	v_add_lshl_u32 v3, v3, v5, 2
	v_cmp_gt_u32_e64 s[0:1], 62, v6
	s_waitcnt lgkmcnt(0)
	s_barrier
	v_add_f32_e32 v7, v4, v7
	ds_bpermute_b32 v8, v3, v7
	v_cndmask_b32_e64 v4, 0, 2, s[0:1]
	v_add_lshl_u32 v4, v4, v5, 2
	v_cmp_ne_u32_e64 s[0:1], 63, v6
	v_addc_co_u32_e64 v5, s[0:1], 0, v5, s[0:1]
	s_waitcnt lgkmcnt(0)
	v_add_f32_e32 v7, v7, v8
	ds_bpermute_b32 v8, v4, v7
	v_lshlrev_b32_e32 v5, 2, v5
	v_cmp_eq_u32_e64 s[0:1], 0, v2
	s_waitcnt lgkmcnt(0)
	v_add_f32_e32 v6, v7, v8
	ds_bpermute_b32 v7, v5, v6
	s_and_saveexec_b64 s[4:5], s[0:1]
	s_cbranch_execz .LBB146_10
; %bb.9:
	s_waitcnt lgkmcnt(0)
	v_add_f32_e32 v2, v6, v7
	v_lshrrev_b32_e32 v6, 4, v0
	v_and_b32_e32 v6, 28, v6
	ds_write_b32 v6, v2
.LBB146_10:
	s_or_b64 exec, exec, s[4:5]
	v_cmp_gt_u32_e64 s[0:1], 8, v0
	v_mov_b32_e32 v2, 0
	s_waitcnt lgkmcnt(0)
	s_barrier
	s_and_saveexec_b64 s[4:5], s[0:1]
	s_cbranch_execnz .LBB146_14
; %bb.11:
	s_or_b64 exec, exec, s[4:5]
	s_and_saveexec_b64 s[0:1], vcc
	s_cbranch_execnz .LBB146_15
.LBB146_12:
	s_or_b64 exec, exec, s[0:1]
	v_cmp_eq_u32_e32 vcc, 0, v0
	s_and_saveexec_b64 s[0:1], vcc
	s_cbranch_execnz .LBB146_16
.LBB146_13:
	s_endpgm
.LBB146_14:
	ds_read_b32 v2, v1
	s_or_b64 exec, exec, s[4:5]
	s_and_saveexec_b64 s[0:1], vcc
	s_cbranch_execz .LBB146_12
.LBB146_15:
	s_waitcnt lgkmcnt(0)
	ds_bpermute_b32 v1, v3, v2
	s_waitcnt lgkmcnt(0)
	v_add_f32_e32 v1, v2, v1
	ds_bpermute_b32 v2, v4, v1
	s_waitcnt lgkmcnt(0)
	v_add_f32_e32 v1, v1, v2
	;; [unrolled: 3-line block ×3, first 2 shown]
	s_or_b64 exec, exec, s[0:1]
	v_cmp_eq_u32_e32 vcc, 0, v0
	s_and_saveexec_b64 s[0:1], vcc
	s_cbranch_execz .LBB146_13
.LBB146_16:
	s_waitcnt lgkmcnt(0)
	v_cvt_f16_f32_e32 v0, v2
	s_lshl_b64 s[0:1], s[6:7], 1
	s_add_u32 s0, s2, s0
	s_addc_u32 s1, s3, s1
	v_mov_b32_e32 v1, 0
	global_store_short v1, v0, s[0:1]
	s_endpgm
	.section	.rodata,"a",@progbits
	.p2align	6, 0x0
	.amdhsa_kernel _ZL30rocblas_reduction_kernel_part2ILi512ELi8E25rocblas_finalize_identityfDF16_EviPT2_PT3_
		.amdhsa_group_segment_fixed_size 256
		.amdhsa_private_segment_fixed_size 0
		.amdhsa_kernarg_size 24
		.amdhsa_user_sgpr_count 6
		.amdhsa_user_sgpr_private_segment_buffer 1
		.amdhsa_user_sgpr_dispatch_ptr 0
		.amdhsa_user_sgpr_queue_ptr 0
		.amdhsa_user_sgpr_kernarg_segment_ptr 1
		.amdhsa_user_sgpr_dispatch_id 0
		.amdhsa_user_sgpr_flat_scratch_init 0
		.amdhsa_user_sgpr_private_segment_size 0
		.amdhsa_uses_dynamic_stack 0
		.amdhsa_system_sgpr_private_segment_wavefront_offset 0
		.amdhsa_system_sgpr_workgroup_id_x 1
		.amdhsa_system_sgpr_workgroup_id_y 0
		.amdhsa_system_sgpr_workgroup_id_z 0
		.amdhsa_system_sgpr_workgroup_info 0
		.amdhsa_system_vgpr_workitem_id 0
		.amdhsa_next_free_vgpr 13
		.amdhsa_next_free_sgpr 14
		.amdhsa_reserve_vcc 1
		.amdhsa_reserve_flat_scratch 0
		.amdhsa_float_round_mode_32 0
		.amdhsa_float_round_mode_16_64 0
		.amdhsa_float_denorm_mode_32 3
		.amdhsa_float_denorm_mode_16_64 3
		.amdhsa_dx10_clamp 1
		.amdhsa_ieee_mode 1
		.amdhsa_fp16_overflow 0
		.amdhsa_exception_fp_ieee_invalid_op 0
		.amdhsa_exception_fp_denorm_src 0
		.amdhsa_exception_fp_ieee_div_zero 0
		.amdhsa_exception_fp_ieee_overflow 0
		.amdhsa_exception_fp_ieee_underflow 0
		.amdhsa_exception_fp_ieee_inexact 0
		.amdhsa_exception_int_div_zero 0
	.end_amdhsa_kernel
	.section	.text._ZL30rocblas_reduction_kernel_part2ILi512ELi8E25rocblas_finalize_identityfDF16_EviPT2_PT3_,"axG",@progbits,_ZL30rocblas_reduction_kernel_part2ILi512ELi8E25rocblas_finalize_identityfDF16_EviPT2_PT3_,comdat
.Lfunc_end146:
	.size	_ZL30rocblas_reduction_kernel_part2ILi512ELi8E25rocblas_finalize_identityfDF16_EviPT2_PT3_, .Lfunc_end146-_ZL30rocblas_reduction_kernel_part2ILi512ELi8E25rocblas_finalize_identityfDF16_EviPT2_PT3_
                                        ; -- End function
	.set _ZL30rocblas_reduction_kernel_part2ILi512ELi8E25rocblas_finalize_identityfDF16_EviPT2_PT3_.num_vgpr, 13
	.set _ZL30rocblas_reduction_kernel_part2ILi512ELi8E25rocblas_finalize_identityfDF16_EviPT2_PT3_.num_agpr, 0
	.set _ZL30rocblas_reduction_kernel_part2ILi512ELi8E25rocblas_finalize_identityfDF16_EviPT2_PT3_.numbered_sgpr, 14
	.set _ZL30rocblas_reduction_kernel_part2ILi512ELi8E25rocblas_finalize_identityfDF16_EviPT2_PT3_.num_named_barrier, 0
	.set _ZL30rocblas_reduction_kernel_part2ILi512ELi8E25rocblas_finalize_identityfDF16_EviPT2_PT3_.private_seg_size, 0
	.set _ZL30rocblas_reduction_kernel_part2ILi512ELi8E25rocblas_finalize_identityfDF16_EviPT2_PT3_.uses_vcc, 1
	.set _ZL30rocblas_reduction_kernel_part2ILi512ELi8E25rocblas_finalize_identityfDF16_EviPT2_PT3_.uses_flat_scratch, 0
	.set _ZL30rocblas_reduction_kernel_part2ILi512ELi8E25rocblas_finalize_identityfDF16_EviPT2_PT3_.has_dyn_sized_stack, 0
	.set _ZL30rocblas_reduction_kernel_part2ILi512ELi8E25rocblas_finalize_identityfDF16_EviPT2_PT3_.has_recursion, 0
	.set _ZL30rocblas_reduction_kernel_part2ILi512ELi8E25rocblas_finalize_identityfDF16_EviPT2_PT3_.has_indirect_call, 0
	.section	.AMDGPU.csdata,"",@progbits
; Kernel info:
; codeLenInByte = 804
; TotalNumSgprs: 18
; NumVgprs: 13
; ScratchSize: 0
; MemoryBound: 0
; FloatMode: 240
; IeeeMode: 1
; LDSByteSize: 256 bytes/workgroup (compile time only)
; SGPRBlocks: 2
; VGPRBlocks: 3
; NumSGPRsForWavesPerEU: 18
; NumVGPRsForWavesPerEU: 13
; Occupancy: 10
; WaveLimiterHint : 0
; COMPUTE_PGM_RSRC2:SCRATCH_EN: 0
; COMPUTE_PGM_RSRC2:USER_SGPR: 6
; COMPUTE_PGM_RSRC2:TRAP_HANDLER: 0
; COMPUTE_PGM_RSRC2:TGID_X_EN: 1
; COMPUTE_PGM_RSRC2:TGID_Y_EN: 0
; COMPUTE_PGM_RSRC2:TGID_Z_EN: 0
; COMPUTE_PGM_RSRC2:TIDIG_COMP_CNT: 0
	.section	.text._ZL28rocblas_dot_batched_4_kernelIiLi32ELi4ELb0EfDF16_PKPKDF16_EviT5_lT_lS4_lS5_liPT4_,"axG",@progbits,_ZL28rocblas_dot_batched_4_kernelIiLi32ELi4ELb0EfDF16_PKPKDF16_EviT5_lT_lS4_lS5_liPT4_,comdat
	.globl	_ZL28rocblas_dot_batched_4_kernelIiLi32ELi4ELb0EfDF16_PKPKDF16_EviT5_lT_lS4_lS5_liPT4_ ; -- Begin function _ZL28rocblas_dot_batched_4_kernelIiLi32ELi4ELb0EfDF16_PKPKDF16_EviT5_lT_lS4_lS5_liPT4_
	.p2align	8
	.type	_ZL28rocblas_dot_batched_4_kernelIiLi32ELi4ELb0EfDF16_PKPKDF16_EviT5_lT_lS4_lS5_liPT4_,@function
_ZL28rocblas_dot_batched_4_kernelIiLi32ELi4ELb0EfDF16_PKPKDF16_EviT5_lT_lS4_lS5_liPT4_: ; @_ZL28rocblas_dot_batched_4_kernelIiLi32ELi4ELb0EfDF16_PKPKDF16_EviT5_lT_lS4_lS5_liPT4_
; %bb.0:
	s_load_dword s0, s[4:5], 0x48
	v_lshl_add_u32 v1, s6, 2, v1
	s_waitcnt lgkmcnt(0)
	v_cmp_gt_u32_e32 vcc, s0, v1
	s_and_saveexec_b64 s[0:1], vcc
	s_cbranch_execz .LBB147_7
; %bb.1:
	s_load_dword s14, s[4:5], 0x0
	s_load_dwordx2 s[6:7], s[4:5], 0x50
	v_mov_b32_e32 v2, 0
	v_mov_b32_e32 v7, v2
	s_waitcnt lgkmcnt(0)
	v_cmp_gt_i32_e32 vcc, s14, v0
	s_and_saveexec_b64 s[12:13], vcc
	s_cbranch_execz .LBB147_5
; %bb.2:
	s_load_dwordx4 s[0:3], s[4:5], 0x8
	s_load_dwordx4 s[8:11], s[4:5], 0x28
	v_lshlrev_b64 v[3:4], 3, v[1:2]
	s_load_dword s16, s[4:5], 0x18
	s_waitcnt lgkmcnt(0)
	v_mov_b32_e32 v6, s1
	v_add_co_u32_e32 v5, vcc, s0, v3
	v_addc_co_u32_e32 v6, vcc, v6, v4, vcc
	global_load_dwordx2 v[5:6], v[5:6], off
	v_mov_b32_e32 v7, s9
	v_add_co_u32_e32 v3, vcc, s8, v3
	v_addc_co_u32_e32 v4, vcc, v7, v4, vcc
	global_load_dwordx2 v[10:11], v[3:4], off
	s_load_dword s4, s[4:5], 0x38
	v_mad_i64_i32 v[3:4], s[8:9], s16, v0, 0
	s_lshl_b64 s[8:9], s[2:3], 1
	v_mov_b32_e32 v14, s9
	s_waitcnt lgkmcnt(0)
	v_mad_i64_i32 v[12:13], s[2:3], s4, v0, 0
	v_lshlrev_b64 v[3:4], 1, v[3:4]
	s_lshl_b64 s[10:11], s[10:11], 1
	v_lshlrev_b64 v[12:13], 1, v[12:13]
	v_add_co_u32_e32 v3, vcc, s8, v3
	v_addc_co_u32_e32 v4, vcc, v4, v14, vcc
	v_mov_b32_e32 v15, s11
	v_add_co_u32_e32 v12, vcc, s10, v12
	v_addc_co_u32_e32 v13, vcc, v13, v15, vcc
	s_ashr_i32 s17, s16, 31
	s_ashr_i32 s5, s4, 31
	s_lshl_b64 s[2:3], s[16:17], 6
	s_lshl_b64 s[4:5], s[4:5], 6
	v_mov_b32_e32 v7, 0
	s_mov_b64 s[0:1], 0
	v_mov_b32_e32 v8, s3
	v_mov_b32_e32 v9, s5
	s_waitcnt vmcnt(1)
	v_add_co_u32_e32 v3, vcc, v5, v3
	v_addc_co_u32_e32 v4, vcc, v6, v4, vcc
	s_waitcnt vmcnt(0)
	v_add_co_u32_e32 v5, vcc, v10, v12
	v_addc_co_u32_e32 v6, vcc, v11, v13, vcc
	v_mov_b32_e32 v10, v0
.LBB147_3:                              ; =>This Inner Loop Header: Depth=1
	flat_load_ushort v11, v[3:4]
	flat_load_ushort v12, v[5:6]
	v_add_co_u32_e32 v3, vcc, s2, v3
	v_addc_co_u32_e32 v4, vcc, v4, v8, vcc
	v_add_co_u32_e32 v5, vcc, s4, v5
	v_add_u32_e32 v10, 32, v10
	v_addc_co_u32_e32 v6, vcc, v6, v9, vcc
	v_cmp_le_i32_e32 vcc, s14, v10
	s_or_b64 s[0:1], vcc, s[0:1]
	s_waitcnt vmcnt(0) lgkmcnt(0)
	v_fma_mix_f32 v7, v11, v12, v7 op_sel_hi:[1,1,0]
	s_andn2_b64 exec, exec, s[0:1]
	s_cbranch_execnz .LBB147_3
; %bb.4:
	s_or_b64 exec, exec, s[0:1]
.LBB147_5:
	s_or_b64 exec, exec, s[12:13]
	v_mbcnt_lo_u32_b32 v3, -1, 0
	v_mbcnt_hi_u32_b32 v3, -1, v3
	v_and_b32_e32 v4, 63, v3
	v_cmp_gt_u32_e32 vcc, 48, v4
	v_cndmask_b32_e64 v5, 0, 16, vcc
	v_add_lshl_u32 v5, v5, v3, 2
	ds_bpermute_b32 v5, v5, v7
	v_cmp_gt_u32_e32 vcc, 56, v4
	v_cndmask_b32_e64 v6, 0, 8, vcc
	v_add_lshl_u32 v6, v6, v3, 2
	v_cmp_gt_u32_e32 vcc, 60, v4
	s_waitcnt lgkmcnt(0)
	v_add_f32_e32 v5, v7, v5
	ds_bpermute_b32 v6, v6, v5
	v_cndmask_b32_e64 v7, 0, 4, vcc
	v_add_lshl_u32 v7, v7, v3, 2
	v_cmp_gt_u32_e32 vcc, 62, v4
	s_waitcnt lgkmcnt(0)
	v_add_f32_e32 v5, v5, v6
	ds_bpermute_b32 v6, v7, v5
	v_cndmask_b32_e64 v7, 0, 2, vcc
	v_add_lshl_u32 v7, v7, v3, 2
	v_cmp_ne_u32_e32 vcc, 63, v4
	v_addc_co_u32_e32 v4, vcc, 0, v3, vcc
	s_waitcnt lgkmcnt(0)
	v_add_f32_e32 v5, v5, v6
	ds_bpermute_b32 v6, v7, v5
	v_lshlrev_b32_e32 v4, 2, v4
	v_cmp_eq_u32_e32 vcc, 0, v0
	s_waitcnt lgkmcnt(0)
	s_barrier
	v_add_f32_e32 v3, v5, v6
	ds_bpermute_b32 v4, v4, v3
	s_and_b64 exec, exec, vcc
	s_cbranch_execz .LBB147_7
; %bb.6:
	s_waitcnt lgkmcnt(0)
	v_add_f32_e32 v3, v3, v4
	v_lshlrev_b64 v[0:1], 1, v[1:2]
	v_cvt_f16_f32_e32 v3, v3
	v_mov_b32_e32 v2, s7
	v_add_co_u32_e32 v0, vcc, s6, v0
	v_addc_co_u32_e32 v1, vcc, v2, v1, vcc
	global_store_short v[0:1], v3, off
.LBB147_7:
	s_endpgm
	.section	.rodata,"a",@progbits
	.p2align	6, 0x0
	.amdhsa_kernel _ZL28rocblas_dot_batched_4_kernelIiLi32ELi4ELb0EfDF16_PKPKDF16_EviT5_lT_lS4_lS5_liPT4_
		.amdhsa_group_segment_fixed_size 0
		.amdhsa_private_segment_fixed_size 0
		.amdhsa_kernarg_size 88
		.amdhsa_user_sgpr_count 6
		.amdhsa_user_sgpr_private_segment_buffer 1
		.amdhsa_user_sgpr_dispatch_ptr 0
		.amdhsa_user_sgpr_queue_ptr 0
		.amdhsa_user_sgpr_kernarg_segment_ptr 1
		.amdhsa_user_sgpr_dispatch_id 0
		.amdhsa_user_sgpr_flat_scratch_init 0
		.amdhsa_user_sgpr_private_segment_size 0
		.amdhsa_uses_dynamic_stack 0
		.amdhsa_system_sgpr_private_segment_wavefront_offset 0
		.amdhsa_system_sgpr_workgroup_id_x 1
		.amdhsa_system_sgpr_workgroup_id_y 0
		.amdhsa_system_sgpr_workgroup_id_z 0
		.amdhsa_system_sgpr_workgroup_info 0
		.amdhsa_system_vgpr_workitem_id 1
		.amdhsa_next_free_vgpr 16
		.amdhsa_next_free_sgpr 18
		.amdhsa_reserve_vcc 1
		.amdhsa_reserve_flat_scratch 0
		.amdhsa_float_round_mode_32 0
		.amdhsa_float_round_mode_16_64 0
		.amdhsa_float_denorm_mode_32 3
		.amdhsa_float_denorm_mode_16_64 3
		.amdhsa_dx10_clamp 1
		.amdhsa_ieee_mode 1
		.amdhsa_fp16_overflow 0
		.amdhsa_exception_fp_ieee_invalid_op 0
		.amdhsa_exception_fp_denorm_src 0
		.amdhsa_exception_fp_ieee_div_zero 0
		.amdhsa_exception_fp_ieee_overflow 0
		.amdhsa_exception_fp_ieee_underflow 0
		.amdhsa_exception_fp_ieee_inexact 0
		.amdhsa_exception_int_div_zero 0
	.end_amdhsa_kernel
	.section	.text._ZL28rocblas_dot_batched_4_kernelIiLi32ELi4ELb0EfDF16_PKPKDF16_EviT5_lT_lS4_lS5_liPT4_,"axG",@progbits,_ZL28rocblas_dot_batched_4_kernelIiLi32ELi4ELb0EfDF16_PKPKDF16_EviT5_lT_lS4_lS5_liPT4_,comdat
.Lfunc_end147:
	.size	_ZL28rocblas_dot_batched_4_kernelIiLi32ELi4ELb0EfDF16_PKPKDF16_EviT5_lT_lS4_lS5_liPT4_, .Lfunc_end147-_ZL28rocblas_dot_batched_4_kernelIiLi32ELi4ELb0EfDF16_PKPKDF16_EviT5_lT_lS4_lS5_liPT4_
                                        ; -- End function
	.set _ZL28rocblas_dot_batched_4_kernelIiLi32ELi4ELb0EfDF16_PKPKDF16_EviT5_lT_lS4_lS5_liPT4_.num_vgpr, 16
	.set _ZL28rocblas_dot_batched_4_kernelIiLi32ELi4ELb0EfDF16_PKPKDF16_EviT5_lT_lS4_lS5_liPT4_.num_agpr, 0
	.set _ZL28rocblas_dot_batched_4_kernelIiLi32ELi4ELb0EfDF16_PKPKDF16_EviT5_lT_lS4_lS5_liPT4_.numbered_sgpr, 18
	.set _ZL28rocblas_dot_batched_4_kernelIiLi32ELi4ELb0EfDF16_PKPKDF16_EviT5_lT_lS4_lS5_liPT4_.num_named_barrier, 0
	.set _ZL28rocblas_dot_batched_4_kernelIiLi32ELi4ELb0EfDF16_PKPKDF16_EviT5_lT_lS4_lS5_liPT4_.private_seg_size, 0
	.set _ZL28rocblas_dot_batched_4_kernelIiLi32ELi4ELb0EfDF16_PKPKDF16_EviT5_lT_lS4_lS5_liPT4_.uses_vcc, 1
	.set _ZL28rocblas_dot_batched_4_kernelIiLi32ELi4ELb0EfDF16_PKPKDF16_EviT5_lT_lS4_lS5_liPT4_.uses_flat_scratch, 0
	.set _ZL28rocblas_dot_batched_4_kernelIiLi32ELi4ELb0EfDF16_PKPKDF16_EviT5_lT_lS4_lS5_liPT4_.has_dyn_sized_stack, 0
	.set _ZL28rocblas_dot_batched_4_kernelIiLi32ELi4ELb0EfDF16_PKPKDF16_EviT5_lT_lS4_lS5_liPT4_.has_recursion, 0
	.set _ZL28rocblas_dot_batched_4_kernelIiLi32ELi4ELb0EfDF16_PKPKDF16_EviT5_lT_lS4_lS5_liPT4_.has_indirect_call, 0
	.section	.AMDGPU.csdata,"",@progbits
; Kernel info:
; codeLenInByte = 600
; TotalNumSgprs: 22
; NumVgprs: 16
; ScratchSize: 0
; MemoryBound: 0
; FloatMode: 240
; IeeeMode: 1
; LDSByteSize: 0 bytes/workgroup (compile time only)
; SGPRBlocks: 2
; VGPRBlocks: 3
; NumSGPRsForWavesPerEU: 22
; NumVGPRsForWavesPerEU: 16
; Occupancy: 10
; WaveLimiterHint : 0
; COMPUTE_PGM_RSRC2:SCRATCH_EN: 0
; COMPUTE_PGM_RSRC2:USER_SGPR: 6
; COMPUTE_PGM_RSRC2:TRAP_HANDLER: 0
; COMPUTE_PGM_RSRC2:TGID_X_EN: 1
; COMPUTE_PGM_RSRC2:TGID_Y_EN: 0
; COMPUTE_PGM_RSRC2:TGID_Z_EN: 0
; COMPUTE_PGM_RSRC2:TIDIG_COMP_CNT: 1
	.section	.text._ZL28rocblas_dot_batched_4_kernelIiLi64ELi4ELb0EfDF16_PKPKDF16_EviT5_lT_lS4_lS5_liPT4_,"axG",@progbits,_ZL28rocblas_dot_batched_4_kernelIiLi64ELi4ELb0EfDF16_PKPKDF16_EviT5_lT_lS4_lS5_liPT4_,comdat
	.globl	_ZL28rocblas_dot_batched_4_kernelIiLi64ELi4ELb0EfDF16_PKPKDF16_EviT5_lT_lS4_lS5_liPT4_ ; -- Begin function _ZL28rocblas_dot_batched_4_kernelIiLi64ELi4ELb0EfDF16_PKPKDF16_EviT5_lT_lS4_lS5_liPT4_
	.p2align	8
	.type	_ZL28rocblas_dot_batched_4_kernelIiLi64ELi4ELb0EfDF16_PKPKDF16_EviT5_lT_lS4_lS5_liPT4_,@function
_ZL28rocblas_dot_batched_4_kernelIiLi64ELi4ELb0EfDF16_PKPKDF16_EviT5_lT_lS4_lS5_liPT4_: ; @_ZL28rocblas_dot_batched_4_kernelIiLi64ELi4ELb0EfDF16_PKPKDF16_EviT5_lT_lS4_lS5_liPT4_
; %bb.0:
	s_load_dword s0, s[4:5], 0x48
	v_lshl_add_u32 v1, s6, 2, v1
	s_waitcnt lgkmcnt(0)
	v_cmp_gt_u32_e32 vcc, s0, v1
	s_and_saveexec_b64 s[0:1], vcc
	s_cbranch_execz .LBB148_7
; %bb.1:
	s_load_dword s14, s[4:5], 0x0
	s_load_dwordx2 s[6:7], s[4:5], 0x50
	v_mov_b32_e32 v2, 0
	v_mov_b32_e32 v7, v2
	s_waitcnt lgkmcnt(0)
	v_cmp_gt_i32_e32 vcc, s14, v0
	s_and_saveexec_b64 s[12:13], vcc
	s_cbranch_execz .LBB148_5
; %bb.2:
	s_load_dwordx4 s[0:3], s[4:5], 0x8
	s_load_dwordx4 s[8:11], s[4:5], 0x28
	v_lshlrev_b64 v[3:4], 3, v[1:2]
	s_load_dword s16, s[4:5], 0x18
	s_waitcnt lgkmcnt(0)
	v_mov_b32_e32 v6, s1
	v_add_co_u32_e32 v5, vcc, s0, v3
	v_addc_co_u32_e32 v6, vcc, v6, v4, vcc
	global_load_dwordx2 v[5:6], v[5:6], off
	v_mov_b32_e32 v7, s9
	v_add_co_u32_e32 v3, vcc, s8, v3
	v_addc_co_u32_e32 v4, vcc, v7, v4, vcc
	global_load_dwordx2 v[8:9], v[3:4], off
	s_load_dword s0, s[4:5], 0x38
	v_mad_i64_i32 v[3:4], s[8:9], s16, v0, 0
	s_lshl_b64 s[18:19], s[2:3], 1
	v_mov_b32_e32 v12, s19
	s_waitcnt lgkmcnt(0)
	v_mad_i64_i32 v[10:11], s[2:3], s0, v0, 0
	v_lshlrev_b64 v[3:4], 1, v[3:4]
	s_lshl_b64 s[10:11], s[10:11], 1
	v_lshlrev_b64 v[10:11], 1, v[10:11]
	v_add_co_u32_e32 v3, vcc, s18, v3
	v_addc_co_u32_e32 v4, vcc, v4, v12, vcc
	v_mov_b32_e32 v13, s11
	v_add_co_u32_e32 v10, vcc, s10, v10
	v_addc_co_u32_e32 v11, vcc, v11, v13, vcc
	s_ashr_i32 s17, s16, 31
	s_ashr_i32 s1, s0, 31
	v_mov_b32_e32 v7, 0
	s_mov_b64 s[4:5], 0
	s_lshl_b64 s[2:3], s[16:17], 7
	s_lshl_b64 s[8:9], s[0:1], 7
	s_waitcnt vmcnt(1)
	v_add_co_u32_e32 v3, vcc, v5, v3
	v_addc_co_u32_e32 v4, vcc, v6, v4, vcc
	s_waitcnt vmcnt(0)
	v_add_co_u32_e32 v5, vcc, v8, v10
	v_addc_co_u32_e32 v6, vcc, v9, v11, vcc
	v_mov_b32_e32 v8, v0
.LBB148_3:                              ; =>This Inner Loop Header: Depth=1
	flat_load_ushort v9, v[3:4]
	flat_load_ushort v10, v[5:6]
	v_mov_b32_e32 v12, s9
	v_add_co_u32_e32 v5, vcc, s8, v5
	v_add_u32_e32 v8, 64, v8
	v_addc_co_u32_e32 v6, vcc, v6, v12, vcc
	v_mov_b32_e32 v11, s3
	v_add_co_u32_e64 v3, s[0:1], s2, v3
	v_cmp_le_i32_e32 vcc, s14, v8
	v_addc_co_u32_e64 v4, s[0:1], v4, v11, s[0:1]
	s_or_b64 s[4:5], vcc, s[4:5]
	s_waitcnt vmcnt(0) lgkmcnt(0)
	v_fma_mix_f32 v7, v9, v10, v7 op_sel_hi:[1,1,0]
	s_andn2_b64 exec, exec, s[4:5]
	s_cbranch_execnz .LBB148_3
; %bb.4:
	s_or_b64 exec, exec, s[4:5]
.LBB148_5:
	s_or_b64 exec, exec, s[12:13]
	v_mbcnt_lo_u32_b32 v3, -1, 0
	v_mbcnt_hi_u32_b32 v3, -1, v3
	v_mov_b32_e32 v4, 0x80
	v_lshl_or_b32 v4, v3, 2, v4
	ds_bpermute_b32 v4, v4, v7
	v_and_b32_e32 v5, 63, v3
	v_cmp_gt_u32_e32 vcc, 48, v5
	v_cndmask_b32_e64 v6, 0, 16, vcc
	v_add_lshl_u32 v6, v6, v3, 2
	s_waitcnt lgkmcnt(0)
	v_add_f32_e32 v4, v7, v4
	ds_bpermute_b32 v6, v6, v4
	v_cmp_gt_u32_e32 vcc, 56, v5
	v_cndmask_b32_e64 v7, 0, 8, vcc
	v_add_lshl_u32 v7, v7, v3, 2
	v_cmp_gt_u32_e32 vcc, 60, v5
	s_waitcnt lgkmcnt(0)
	v_add_f32_e32 v4, v4, v6
	ds_bpermute_b32 v6, v7, v4
	v_cndmask_b32_e64 v7, 0, 4, vcc
	v_add_lshl_u32 v7, v7, v3, 2
	v_cmp_gt_u32_e32 vcc, 62, v5
	s_waitcnt lgkmcnt(0)
	v_add_f32_e32 v4, v4, v6
	ds_bpermute_b32 v6, v7, v4
	v_cndmask_b32_e64 v7, 0, 2, vcc
	v_add_lshl_u32 v7, v7, v3, 2
	v_cmp_ne_u32_e32 vcc, 63, v5
	v_addc_co_u32_e32 v5, vcc, 0, v3, vcc
	s_waitcnt lgkmcnt(0)
	v_add_f32_e32 v4, v4, v6
	ds_bpermute_b32 v6, v7, v4
	v_cmp_eq_u32_e32 vcc, 0, v0
	s_waitcnt lgkmcnt(0)
	s_barrier
	v_add_f32_e32 v3, v4, v6
	v_lshlrev_b32_e32 v4, 2, v5
	ds_bpermute_b32 v4, v4, v3
	s_and_b64 exec, exec, vcc
	s_cbranch_execz .LBB148_7
; %bb.6:
	s_waitcnt lgkmcnt(0)
	v_add_f32_e32 v3, v3, v4
	v_lshlrev_b64 v[0:1], 1, v[1:2]
	v_cvt_f16_f32_e32 v3, v3
	v_mov_b32_e32 v2, s7
	v_add_co_u32_e32 v0, vcc, s6, v0
	v_addc_co_u32_e32 v1, vcc, v2, v1, vcc
	global_store_short v[0:1], v3, off
.LBB148_7:
	s_endpgm
	.section	.rodata,"a",@progbits
	.p2align	6, 0x0
	.amdhsa_kernel _ZL28rocblas_dot_batched_4_kernelIiLi64ELi4ELb0EfDF16_PKPKDF16_EviT5_lT_lS4_lS5_liPT4_
		.amdhsa_group_segment_fixed_size 0
		.amdhsa_private_segment_fixed_size 0
		.amdhsa_kernarg_size 88
		.amdhsa_user_sgpr_count 6
		.amdhsa_user_sgpr_private_segment_buffer 1
		.amdhsa_user_sgpr_dispatch_ptr 0
		.amdhsa_user_sgpr_queue_ptr 0
		.amdhsa_user_sgpr_kernarg_segment_ptr 1
		.amdhsa_user_sgpr_dispatch_id 0
		.amdhsa_user_sgpr_flat_scratch_init 0
		.amdhsa_user_sgpr_private_segment_size 0
		.amdhsa_uses_dynamic_stack 0
		.amdhsa_system_sgpr_private_segment_wavefront_offset 0
		.amdhsa_system_sgpr_workgroup_id_x 1
		.amdhsa_system_sgpr_workgroup_id_y 0
		.amdhsa_system_sgpr_workgroup_id_z 0
		.amdhsa_system_sgpr_workgroup_info 0
		.amdhsa_system_vgpr_workitem_id 1
		.amdhsa_next_free_vgpr 14
		.amdhsa_next_free_sgpr 20
		.amdhsa_reserve_vcc 1
		.amdhsa_reserve_flat_scratch 0
		.amdhsa_float_round_mode_32 0
		.amdhsa_float_round_mode_16_64 0
		.amdhsa_float_denorm_mode_32 3
		.amdhsa_float_denorm_mode_16_64 3
		.amdhsa_dx10_clamp 1
		.amdhsa_ieee_mode 1
		.amdhsa_fp16_overflow 0
		.amdhsa_exception_fp_ieee_invalid_op 0
		.amdhsa_exception_fp_denorm_src 0
		.amdhsa_exception_fp_ieee_div_zero 0
		.amdhsa_exception_fp_ieee_overflow 0
		.amdhsa_exception_fp_ieee_underflow 0
		.amdhsa_exception_fp_ieee_inexact 0
		.amdhsa_exception_int_div_zero 0
	.end_amdhsa_kernel
	.section	.text._ZL28rocblas_dot_batched_4_kernelIiLi64ELi4ELb0EfDF16_PKPKDF16_EviT5_lT_lS4_lS5_liPT4_,"axG",@progbits,_ZL28rocblas_dot_batched_4_kernelIiLi64ELi4ELb0EfDF16_PKPKDF16_EviT5_lT_lS4_lS5_liPT4_,comdat
.Lfunc_end148:
	.size	_ZL28rocblas_dot_batched_4_kernelIiLi64ELi4ELb0EfDF16_PKPKDF16_EviT5_lT_lS4_lS5_liPT4_, .Lfunc_end148-_ZL28rocblas_dot_batched_4_kernelIiLi64ELi4ELb0EfDF16_PKPKDF16_EviT5_lT_lS4_lS5_liPT4_
                                        ; -- End function
	.set _ZL28rocblas_dot_batched_4_kernelIiLi64ELi4ELb0EfDF16_PKPKDF16_EviT5_lT_lS4_lS5_liPT4_.num_vgpr, 14
	.set _ZL28rocblas_dot_batched_4_kernelIiLi64ELi4ELb0EfDF16_PKPKDF16_EviT5_lT_lS4_lS5_liPT4_.num_agpr, 0
	.set _ZL28rocblas_dot_batched_4_kernelIiLi64ELi4ELb0EfDF16_PKPKDF16_EviT5_lT_lS4_lS5_liPT4_.numbered_sgpr, 20
	.set _ZL28rocblas_dot_batched_4_kernelIiLi64ELi4ELb0EfDF16_PKPKDF16_EviT5_lT_lS4_lS5_liPT4_.num_named_barrier, 0
	.set _ZL28rocblas_dot_batched_4_kernelIiLi64ELi4ELb0EfDF16_PKPKDF16_EviT5_lT_lS4_lS5_liPT4_.private_seg_size, 0
	.set _ZL28rocblas_dot_batched_4_kernelIiLi64ELi4ELb0EfDF16_PKPKDF16_EviT5_lT_lS4_lS5_liPT4_.uses_vcc, 1
	.set _ZL28rocblas_dot_batched_4_kernelIiLi64ELi4ELb0EfDF16_PKPKDF16_EviT5_lT_lS4_lS5_liPT4_.uses_flat_scratch, 0
	.set _ZL28rocblas_dot_batched_4_kernelIiLi64ELi4ELb0EfDF16_PKPKDF16_EviT5_lT_lS4_lS5_liPT4_.has_dyn_sized_stack, 0
	.set _ZL28rocblas_dot_batched_4_kernelIiLi64ELi4ELb0EfDF16_PKPKDF16_EviT5_lT_lS4_lS5_liPT4_.has_recursion, 0
	.set _ZL28rocblas_dot_batched_4_kernelIiLi64ELi4ELb0EfDF16_PKPKDF16_EviT5_lT_lS4_lS5_liPT4_.has_indirect_call, 0
	.section	.AMDGPU.csdata,"",@progbits
; Kernel info:
; codeLenInByte = 640
; TotalNumSgprs: 24
; NumVgprs: 14
; ScratchSize: 0
; MemoryBound: 0
; FloatMode: 240
; IeeeMode: 1
; LDSByteSize: 0 bytes/workgroup (compile time only)
; SGPRBlocks: 2
; VGPRBlocks: 3
; NumSGPRsForWavesPerEU: 24
; NumVGPRsForWavesPerEU: 14
; Occupancy: 10
; WaveLimiterHint : 0
; COMPUTE_PGM_RSRC2:SCRATCH_EN: 0
; COMPUTE_PGM_RSRC2:USER_SGPR: 6
; COMPUTE_PGM_RSRC2:TRAP_HANDLER: 0
; COMPUTE_PGM_RSRC2:TGID_X_EN: 1
; COMPUTE_PGM_RSRC2:TGID_Y_EN: 0
; COMPUTE_PGM_RSRC2:TGID_Z_EN: 0
; COMPUTE_PGM_RSRC2:TIDIG_COMP_CNT: 1
	.section	.text._ZL26rocblas_dot_kernel_inc1by2ILb1ELi1024ELi32ELb0EDF16_PKPKDF16_fEviT4_llS4_lliPT5_PT3_,"axG",@progbits,_ZL26rocblas_dot_kernel_inc1by2ILb1ELi1024ELi32ELb0EDF16_PKPKDF16_fEviT4_llS4_lliPT5_PT3_,comdat
	.globl	_ZL26rocblas_dot_kernel_inc1by2ILb1ELi1024ELi32ELb0EDF16_PKPKDF16_fEviT4_llS4_lliPT5_PT3_ ; -- Begin function _ZL26rocblas_dot_kernel_inc1by2ILb1ELi1024ELi32ELb0EDF16_PKPKDF16_fEviT4_llS4_lliPT5_PT3_
	.p2align	8
	.type	_ZL26rocblas_dot_kernel_inc1by2ILb1ELi1024ELi32ELb0EDF16_PKPKDF16_fEviT4_llS4_lliPT5_PT3_,@function
_ZL26rocblas_dot_kernel_inc1by2ILb1ELi1024ELi32ELb0EDF16_PKPKDF16_fEviT4_llS4_lliPT5_PT3_: ; @_ZL26rocblas_dot_kernel_inc1by2ILb1ELi1024ELi32ELb0EDF16_PKPKDF16_fEviT4_llS4_lliPT5_PT3_
; %bb.0:
	s_load_dword s20, s[4:5], 0x0
	s_load_dwordx4 s[0:3], s[4:5], 0x8
	s_load_dwordx2 s[12:13], s[4:5], 0x48
	s_load_dwordx4 s[8:11], s[4:5], 0x20
	s_mov_b32 s6, s7
	s_mov_b32 s7, 0
	s_lshl_b64 s[14:15], s[6:7], 3
	s_waitcnt lgkmcnt(0)
	s_add_u32 s0, s0, s14
	s_addc_u32 s1, s1, s15
	s_load_dwordx2 s[4:5], s[0:1], 0x0
	s_add_u32 s0, s8, s14
	s_addc_u32 s1, s9, s15
	s_load_dwordx2 s[14:15], s[0:1], 0x0
	v_lshlrev_b32_e32 v6, 1, v0
	s_add_i32 s8, s20, -1
	v_cmp_gt_i32_e32 vcc, s8, v6
	v_mov_b32_e32 v5, 0
	s_and_saveexec_b64 s[16:17], vcc
	s_cbranch_execz .LBB149_4
; %bb.1:
	s_lshl_b64 s[0:1], s[10:11], 1
	s_waitcnt lgkmcnt(0)
	s_add_u32 s0, s14, s0
	v_lshlrev_b32_e32 v3, 2, v0
	s_addc_u32 s1, s15, s1
	v_mov_b32_e32 v2, s1
	v_add_co_u32_e32 v1, vcc, s0, v3
	s_lshl_b64 s[0:1], s[2:3], 1
	s_add_u32 s0, s4, s0
	v_addc_co_u32_e32 v2, vcc, 0, v2, vcc
	s_addc_u32 s1, s5, s1
	v_mov_b32_e32 v4, s1
	v_add_co_u32_e32 v3, vcc, s0, v3
	v_mov_b32_e32 v5, 0
	v_addc_co_u32_e32 v4, vcc, 0, v4, vcc
	s_mov_b64 s[18:19], 0
	s_mov_b32 s9, s7
.LBB149_2:                              ; =>This Inner Loop Header: Depth=1
	flat_load_dword v7, v[1:2]
	flat_load_dword v8, v[3:4]
	s_add_i32 s21, s9, 1
	v_add_u32_e32 v6, 0x800, v6
	s_cmp_gt_u32 s9, 30
	v_add_co_u32_e32 v1, vcc, 0x1000, v1
	v_cmp_le_i32_e64 s[0:1], s8, v6
	s_cselect_b64 s[22:23], -1, 0
	v_addc_co_u32_e32 v2, vcc, 0, v2, vcc
	s_or_b64 s[0:1], s[22:23], s[0:1]
	v_add_co_u32_e32 v3, vcc, 0x1000, v3
	s_and_b64 s[0:1], exec, s[0:1]
	s_mov_b32 s9, s21
	v_addc_co_u32_e32 v4, vcc, 0, v4, vcc
	s_or_b64 s[18:19], s[0:1], s[18:19]
	s_waitcnt vmcnt(0) lgkmcnt(0)
	v_dot2_f32_f16 v5, v7, v8, v5
	s_andn2_b64 exec, exec, s[18:19]
	s_cbranch_execnz .LBB149_2
; %bb.3:
	s_or_b64 exec, exec, s[18:19]
.LBB149_4:
	s_or_b64 exec, exec, s[16:17]
	s_bitcmp1_b32 s20, 0
	s_cselect_b64 s[0:1], -1, 0
	v_cmp_eq_u32_e32 vcc, s8, v6
	s_and_b64 s[16:17], s[0:1], vcc
	s_and_saveexec_b64 s[0:1], s[16:17]
	s_cbranch_execz .LBB149_6
; %bb.5:
	s_lshl_b64 s[2:3], s[2:3], 1
	s_waitcnt lgkmcnt(0)
	s_add_u32 s16, s4, s2
	s_addc_u32 s17, s5, s3
	s_lshl_b64 s[2:3], s[10:11], 1
	s_add_u32 s4, s14, s2
	s_mov_b32 s9, 0
	s_addc_u32 s5, s15, s3
	s_lshl_b64 s[2:3], s[8:9], 1
	s_add_u32 s4, s4, s2
	s_addc_u32 s5, s5, s3
	v_mov_b32_e32 v1, s4
	v_mov_b32_e32 v2, s5
	s_add_u32 s2, s16, s2
	flat_load_ushort v3, v[1:2]
	s_addc_u32 s3, s17, s3
	v_mov_b32_e32 v1, s2
	v_mov_b32_e32 v2, s3
	flat_load_ushort v1, v[1:2]
	s_waitcnt vmcnt(0) lgkmcnt(0)
	v_fma_mix_f32 v5, v3, v1, v5 op_sel_hi:[1,1,0]
.LBB149_6:
	s_or_b64 exec, exec, s[0:1]
	v_and_b32_e32 v4, 63, v0
	v_cmp_gt_u32_e32 vcc, 64, v0
	v_lshlrev_b32_e32 v1, 2, v4
	s_and_saveexec_b64 s[0:1], vcc
; %bb.7:
	v_mov_b32_e32 v2, 0
	ds_write_b32 v1, v2
; %bb.8:
	s_or_b64 exec, exec, s[0:1]
	v_mbcnt_lo_u32_b32 v2, -1, 0
	v_mbcnt_hi_u32_b32 v6, -1, v2
	v_mov_b32_e32 v2, 0x80
	v_lshl_or_b32 v2, v6, 2, v2
	ds_bpermute_b32 v2, v2, v5
	v_and_b32_e32 v7, 63, v6
	v_cmp_gt_u32_e64 s[0:1], 48, v7
	v_cndmask_b32_e64 v3, 0, 16, s[0:1]
	v_cmp_gt_u32_e64 s[0:1], 56, v7
	s_waitcnt lgkmcnt(0)
	v_add_f32_e32 v5, v5, v2
	v_add_lshl_u32 v2, v3, v6, 2
	ds_bpermute_b32 v3, v2, v5
	v_cndmask_b32_e64 v2, 0, 8, s[0:1]
	v_add_lshl_u32 v2, v2, v6, 2
	v_cmp_gt_u32_e64 s[0:1], 60, v7
	s_waitcnt lgkmcnt(0)
	v_add_f32_e32 v5, v5, v3
	ds_bpermute_b32 v8, v2, v5
	v_cndmask_b32_e64 v3, 0, 4, s[0:1]
	v_add_lshl_u32 v3, v3, v6, 2
	v_cmp_gt_u32_e64 s[0:1], 62, v7
	s_waitcnt lgkmcnt(0)
	s_barrier
	v_add_f32_e32 v8, v5, v8
	ds_bpermute_b32 v9, v3, v8
	v_cndmask_b32_e64 v5, 0, 2, s[0:1]
	v_add_lshl_u32 v5, v5, v6, 2
	v_cmp_ne_u32_e64 s[0:1], 63, v7
	v_addc_co_u32_e64 v6, s[0:1], 0, v6, s[0:1]
	s_waitcnt lgkmcnt(0)
	v_add_f32_e32 v8, v8, v9
	ds_bpermute_b32 v9, v5, v8
	v_lshlrev_b32_e32 v6, 2, v6
	v_cmp_eq_u32_e64 s[0:1], 0, v4
	s_waitcnt lgkmcnt(0)
	v_add_f32_e32 v7, v8, v9
	ds_bpermute_b32 v8, v6, v7
	s_and_saveexec_b64 s[2:3], s[0:1]
	s_cbranch_execz .LBB149_10
; %bb.9:
	s_waitcnt lgkmcnt(0)
	v_add_f32_e32 v4, v7, v8
	v_lshrrev_b32_e32 v7, 4, v0
	v_and_b32_e32 v7, 60, v7
	ds_write_b32 v7, v4
.LBB149_10:
	s_or_b64 exec, exec, s[2:3]
	v_cmp_gt_u32_e64 s[0:1], 16, v0
	v_mov_b32_e32 v4, 0
	s_waitcnt lgkmcnt(0)
	s_barrier
	s_and_saveexec_b64 s[2:3], s[0:1]
	s_cbranch_execnz .LBB149_14
; %bb.11:
	s_or_b64 exec, exec, s[2:3]
	s_and_saveexec_b64 s[0:1], vcc
	s_cbranch_execnz .LBB149_15
.LBB149_12:
	s_or_b64 exec, exec, s[0:1]
	v_cmp_eq_u32_e32 vcc, 0, v0
	s_and_saveexec_b64 s[0:1], vcc
	s_cbranch_execnz .LBB149_16
.LBB149_13:
	s_endpgm
.LBB149_14:
	ds_read_b32 v4, v1
	s_or_b64 exec, exec, s[2:3]
	s_and_saveexec_b64 s[0:1], vcc
	s_cbranch_execz .LBB149_12
.LBB149_15:
	s_waitcnt lgkmcnt(0)
	ds_bpermute_b32 v1, v2, v4
	s_waitcnt lgkmcnt(0)
	v_add_f32_e32 v1, v4, v1
	ds_bpermute_b32 v2, v3, v1
	s_waitcnt lgkmcnt(0)
	v_add_f32_e32 v1, v1, v2
	;; [unrolled: 3-line block ×4, first 2 shown]
	s_or_b64 exec, exec, s[0:1]
	v_cmp_eq_u32_e32 vcc, 0, v0
	s_and_saveexec_b64 s[0:1], vcc
	s_cbranch_execz .LBB149_13
.LBB149_16:
	s_waitcnt lgkmcnt(0)
	v_cvt_f16_f32_e32 v0, v4
	s_lshl_b64 s[0:1], s[6:7], 1
	s_add_u32 s0, s12, s0
	s_addc_u32 s1, s13, s1
	v_mov_b32_e32 v1, 0
	global_store_short v1, v0, s[0:1]
	s_endpgm
	.section	.rodata,"a",@progbits
	.p2align	6, 0x0
	.amdhsa_kernel _ZL26rocblas_dot_kernel_inc1by2ILb1ELi1024ELi32ELb0EDF16_PKPKDF16_fEviT4_llS4_lliPT5_PT3_
		.amdhsa_group_segment_fixed_size 256
		.amdhsa_private_segment_fixed_size 0
		.amdhsa_kernarg_size 80
		.amdhsa_user_sgpr_count 6
		.amdhsa_user_sgpr_private_segment_buffer 1
		.amdhsa_user_sgpr_dispatch_ptr 0
		.amdhsa_user_sgpr_queue_ptr 0
		.amdhsa_user_sgpr_kernarg_segment_ptr 1
		.amdhsa_user_sgpr_dispatch_id 0
		.amdhsa_user_sgpr_flat_scratch_init 0
		.amdhsa_user_sgpr_private_segment_size 0
		.amdhsa_uses_dynamic_stack 0
		.amdhsa_system_sgpr_private_segment_wavefront_offset 0
		.amdhsa_system_sgpr_workgroup_id_x 1
		.amdhsa_system_sgpr_workgroup_id_y 0
		.amdhsa_system_sgpr_workgroup_id_z 1
		.amdhsa_system_sgpr_workgroup_info 0
		.amdhsa_system_vgpr_workitem_id 0
		.amdhsa_next_free_vgpr 10
		.amdhsa_next_free_sgpr 24
		.amdhsa_reserve_vcc 1
		.amdhsa_reserve_flat_scratch 0
		.amdhsa_float_round_mode_32 0
		.amdhsa_float_round_mode_16_64 0
		.amdhsa_float_denorm_mode_32 3
		.amdhsa_float_denorm_mode_16_64 3
		.amdhsa_dx10_clamp 1
		.amdhsa_ieee_mode 1
		.amdhsa_fp16_overflow 0
		.amdhsa_exception_fp_ieee_invalid_op 0
		.amdhsa_exception_fp_denorm_src 0
		.amdhsa_exception_fp_ieee_div_zero 0
		.amdhsa_exception_fp_ieee_overflow 0
		.amdhsa_exception_fp_ieee_underflow 0
		.amdhsa_exception_fp_ieee_inexact 0
		.amdhsa_exception_int_div_zero 0
	.end_amdhsa_kernel
	.section	.text._ZL26rocblas_dot_kernel_inc1by2ILb1ELi1024ELi32ELb0EDF16_PKPKDF16_fEviT4_llS4_lliPT5_PT3_,"axG",@progbits,_ZL26rocblas_dot_kernel_inc1by2ILb1ELi1024ELi32ELb0EDF16_PKPKDF16_fEviT4_llS4_lliPT5_PT3_,comdat
.Lfunc_end149:
	.size	_ZL26rocblas_dot_kernel_inc1by2ILb1ELi1024ELi32ELb0EDF16_PKPKDF16_fEviT4_llS4_lliPT5_PT3_, .Lfunc_end149-_ZL26rocblas_dot_kernel_inc1by2ILb1ELi1024ELi32ELb0EDF16_PKPKDF16_fEviT4_llS4_lliPT5_PT3_
                                        ; -- End function
	.set _ZL26rocblas_dot_kernel_inc1by2ILb1ELi1024ELi32ELb0EDF16_PKPKDF16_fEviT4_llS4_lliPT5_PT3_.num_vgpr, 10
	.set _ZL26rocblas_dot_kernel_inc1by2ILb1ELi1024ELi32ELb0EDF16_PKPKDF16_fEviT4_llS4_lliPT5_PT3_.num_agpr, 0
	.set _ZL26rocblas_dot_kernel_inc1by2ILb1ELi1024ELi32ELb0EDF16_PKPKDF16_fEviT4_llS4_lliPT5_PT3_.numbered_sgpr, 24
	.set _ZL26rocblas_dot_kernel_inc1by2ILb1ELi1024ELi32ELb0EDF16_PKPKDF16_fEviT4_llS4_lliPT5_PT3_.num_named_barrier, 0
	.set _ZL26rocblas_dot_kernel_inc1by2ILb1ELi1024ELi32ELb0EDF16_PKPKDF16_fEviT4_llS4_lliPT5_PT3_.private_seg_size, 0
	.set _ZL26rocblas_dot_kernel_inc1by2ILb1ELi1024ELi32ELb0EDF16_PKPKDF16_fEviT4_llS4_lliPT5_PT3_.uses_vcc, 1
	.set _ZL26rocblas_dot_kernel_inc1by2ILb1ELi1024ELi32ELb0EDF16_PKPKDF16_fEviT4_llS4_lliPT5_PT3_.uses_flat_scratch, 0
	.set _ZL26rocblas_dot_kernel_inc1by2ILb1ELi1024ELi32ELb0EDF16_PKPKDF16_fEviT4_llS4_lliPT5_PT3_.has_dyn_sized_stack, 0
	.set _ZL26rocblas_dot_kernel_inc1by2ILb1ELi1024ELi32ELb0EDF16_PKPKDF16_fEviT4_llS4_lliPT5_PT3_.has_recursion, 0
	.set _ZL26rocblas_dot_kernel_inc1by2ILb1ELi1024ELi32ELb0EDF16_PKPKDF16_fEviT4_llS4_lliPT5_PT3_.has_indirect_call, 0
	.section	.AMDGPU.csdata,"",@progbits
; Kernel info:
; codeLenInByte = 928
; TotalNumSgprs: 28
; NumVgprs: 10
; ScratchSize: 0
; MemoryBound: 0
; FloatMode: 240
; IeeeMode: 1
; LDSByteSize: 256 bytes/workgroup (compile time only)
; SGPRBlocks: 3
; VGPRBlocks: 2
; NumSGPRsForWavesPerEU: 28
; NumVGPRsForWavesPerEU: 10
; Occupancy: 10
; WaveLimiterHint : 1
; COMPUTE_PGM_RSRC2:SCRATCH_EN: 0
; COMPUTE_PGM_RSRC2:USER_SGPR: 6
; COMPUTE_PGM_RSRC2:TRAP_HANDLER: 0
; COMPUTE_PGM_RSRC2:TGID_X_EN: 1
; COMPUTE_PGM_RSRC2:TGID_Y_EN: 0
; COMPUTE_PGM_RSRC2:TGID_Z_EN: 1
; COMPUTE_PGM_RSRC2:TIDIG_COMP_CNT: 0
	.section	.text._ZL18rocblas_dot_kernelIiLb1ELi1024ELi32ELb0EDF16_PKPKDF16_fEviT5_lT_lS4_lS5_liPT6_PT4_,"axG",@progbits,_ZL18rocblas_dot_kernelIiLb1ELi1024ELi32ELb0EDF16_PKPKDF16_fEviT5_lT_lS4_lS5_liPT6_PT4_,comdat
	.globl	_ZL18rocblas_dot_kernelIiLb1ELi1024ELi32ELb0EDF16_PKPKDF16_fEviT5_lT_lS4_lS5_liPT6_PT4_ ; -- Begin function _ZL18rocblas_dot_kernelIiLb1ELi1024ELi32ELb0EDF16_PKPKDF16_fEviT5_lT_lS4_lS5_liPT6_PT4_
	.p2align	8
	.type	_ZL18rocblas_dot_kernelIiLb1ELi1024ELi32ELb0EDF16_PKPKDF16_fEviT5_lT_lS4_lS5_liPT6_PT4_,@function
_ZL18rocblas_dot_kernelIiLb1ELi1024ELi32ELb0EDF16_PKPKDF16_fEviT5_lT_lS4_lS5_liPT6_PT4_: ; @_ZL18rocblas_dot_kernelIiLb1ELi1024ELi32ELb0EDF16_PKPKDF16_fEviT5_lT_lS4_lS5_liPT6_PT4_
; %bb.0:
	s_load_dword s14, s[4:5], 0x0
	s_load_dwordx2 s[8:9], s[4:5], 0x58
	s_mov_b32 s6, s7
	s_mov_b32 s7, 0
	v_mov_b32_e32 v5, 0
	s_waitcnt lgkmcnt(0)
	v_cmp_gt_i32_e32 vcc, s14, v0
	s_and_saveexec_b64 s[10:11], vcc
	s_cbranch_execz .LBB150_4
; %bb.1:
	s_load_dwordx4 s[16:19], s[4:5], 0x8
	s_load_dwordx4 s[0:3], s[4:5], 0x28
	s_load_dword s22, s[4:5], 0x18
	s_lshl_b64 s[12:13], s[6:7], 3
	s_waitcnt lgkmcnt(0)
	s_add_u32 s16, s16, s12
	s_addc_u32 s17, s17, s13
	s_load_dwordx2 s[20:21], s[16:17], 0x0
	s_load_dword s23, s[4:5], 0x38
	s_load_dword s15, s[4:5], 0x60
	v_mad_i64_i32 v[1:2], s[4:5], s22, v0, 0
	s_add_u32 s0, s0, s12
	s_addc_u32 s1, s1, s13
	s_waitcnt lgkmcnt(0)
	s_lshl_b32 s15, s15, 10
	s_lshl_b64 s[4:5], s[18:19], 1
	v_lshlrev_b64 v[1:2], 1, v[1:2]
	s_add_u32 s4, s20, s4
	s_addc_u32 s5, s21, s5
	s_load_dwordx2 s[0:1], s[0:1], 0x0
	v_mov_b32_e32 v3, s5
	v_add_co_u32_e32 v1, vcc, s4, v1
	v_addc_co_u32_e32 v2, vcc, v3, v2, vcc
	v_mad_i64_i32 v[3:4], s[4:5], s23, v0, 0
	s_mul_hi_i32 s5, s22, s15
	s_mul_i32 s4, s22, s15
	s_lshl_b64 s[4:5], s[4:5], 1
	s_lshl_b64 s[2:3], s[2:3], 1
	v_lshlrev_b64 v[3:4], 1, v[3:4]
	s_waitcnt lgkmcnt(0)
	s_add_u32 s0, s0, s2
	s_addc_u32 s1, s1, s3
	v_mov_b32_e32 v5, s1
	v_add_co_u32_e32 v3, vcc, s0, v3
	s_mul_hi_i32 s1, s23, s15
	s_mul_i32 s0, s23, s15
	s_lshl_b64 s[2:3], s[0:1], 1
	v_or_b32_e32 v6, s15, v0
	v_addc_co_u32_e32 v4, vcc, v5, v4, vcc
	v_mov_b32_e32 v5, 0
	s_mov_b64 s[12:13], 0
	v_mov_b32_e32 v7, s5
	v_mov_b32_e32 v8, s3
	s_mov_b32 s3, s7
.LBB150_2:                              ; =>This Inner Loop Header: Depth=1
	flat_load_ushort v9, v[3:4]
	flat_load_ushort v10, v[1:2]
	v_add_co_u32_e64 v1, s[0:1], s4, v1
	v_addc_co_u32_e64 v2, s[0:1], v2, v7, s[0:1]
	s_add_i32 s5, s3, 1
	v_add_co_u32_e64 v3, s[0:1], s2, v3
	v_addc_co_u32_e64 v4, s[0:1], v4, v8, s[0:1]
	s_cmp_gt_u32 s3, 30
	v_cmp_le_i32_e32 vcc, s14, v6
	s_cselect_b64 s[0:1], -1, 0
	s_or_b64 s[0:1], s[0:1], vcc
	s_and_b64 s[0:1], exec, s[0:1]
	v_add_u32_e32 v6, s15, v6
	s_mov_b32 s3, s5
	s_or_b64 s[12:13], s[0:1], s[12:13]
	s_waitcnt vmcnt(0) lgkmcnt(0)
	v_fma_mix_f32 v5, v9, v10, v5 op_sel_hi:[1,1,0]
	s_andn2_b64 exec, exec, s[12:13]
	s_cbranch_execnz .LBB150_2
; %bb.3:
	s_or_b64 exec, exec, s[12:13]
.LBB150_4:
	s_or_b64 exec, exec, s[10:11]
	v_and_b32_e32 v4, 63, v0
	v_cmp_gt_u32_e32 vcc, 64, v0
	v_lshlrev_b32_e32 v1, 2, v4
	s_and_saveexec_b64 s[0:1], vcc
; %bb.5:
	v_mov_b32_e32 v2, 0
	ds_write_b32 v1, v2
; %bb.6:
	s_or_b64 exec, exec, s[0:1]
	v_mbcnt_lo_u32_b32 v2, -1, 0
	v_mbcnt_hi_u32_b32 v6, -1, v2
	v_mov_b32_e32 v2, 0x80
	v_lshl_or_b32 v2, v6, 2, v2
	ds_bpermute_b32 v2, v2, v5
	v_and_b32_e32 v7, 63, v6
	v_cmp_gt_u32_e64 s[0:1], 48, v7
	v_cndmask_b32_e64 v3, 0, 16, s[0:1]
	v_cmp_gt_u32_e64 s[0:1], 56, v7
	s_waitcnt lgkmcnt(0)
	v_add_f32_e32 v5, v5, v2
	v_add_lshl_u32 v2, v3, v6, 2
	ds_bpermute_b32 v3, v2, v5
	v_cndmask_b32_e64 v2, 0, 8, s[0:1]
	v_add_lshl_u32 v2, v2, v6, 2
	v_cmp_gt_u32_e64 s[0:1], 60, v7
	s_waitcnt lgkmcnt(0)
	v_add_f32_e32 v5, v5, v3
	ds_bpermute_b32 v8, v2, v5
	v_cndmask_b32_e64 v3, 0, 4, s[0:1]
	v_add_lshl_u32 v3, v3, v6, 2
	v_cmp_gt_u32_e64 s[0:1], 62, v7
	s_waitcnt lgkmcnt(0)
	s_barrier
	v_add_f32_e32 v8, v5, v8
	ds_bpermute_b32 v9, v3, v8
	v_cndmask_b32_e64 v5, 0, 2, s[0:1]
	v_add_lshl_u32 v5, v5, v6, 2
	v_cmp_ne_u32_e64 s[0:1], 63, v7
	v_addc_co_u32_e64 v6, s[0:1], 0, v6, s[0:1]
	s_waitcnt lgkmcnt(0)
	v_add_f32_e32 v8, v8, v9
	ds_bpermute_b32 v9, v5, v8
	v_lshlrev_b32_e32 v6, 2, v6
	v_cmp_eq_u32_e64 s[0:1], 0, v4
	s_waitcnt lgkmcnt(0)
	v_add_f32_e32 v7, v8, v9
	ds_bpermute_b32 v8, v6, v7
	s_and_saveexec_b64 s[2:3], s[0:1]
	s_cbranch_execz .LBB150_8
; %bb.7:
	s_waitcnt lgkmcnt(0)
	v_add_f32_e32 v4, v7, v8
	v_lshrrev_b32_e32 v7, 4, v0
	v_and_b32_e32 v7, 60, v7
	ds_write_b32 v7, v4
.LBB150_8:
	s_or_b64 exec, exec, s[2:3]
	v_cmp_gt_u32_e64 s[0:1], 16, v0
	v_mov_b32_e32 v4, 0
	s_waitcnt lgkmcnt(0)
	s_barrier
	s_and_saveexec_b64 s[2:3], s[0:1]
	s_cbranch_execnz .LBB150_12
; %bb.9:
	s_or_b64 exec, exec, s[2:3]
	s_and_saveexec_b64 s[0:1], vcc
	s_cbranch_execnz .LBB150_13
.LBB150_10:
	s_or_b64 exec, exec, s[0:1]
	v_cmp_eq_u32_e32 vcc, 0, v0
	s_and_saveexec_b64 s[0:1], vcc
	s_cbranch_execnz .LBB150_14
.LBB150_11:
	s_endpgm
.LBB150_12:
	ds_read_b32 v4, v1
	s_or_b64 exec, exec, s[2:3]
	s_and_saveexec_b64 s[0:1], vcc
	s_cbranch_execz .LBB150_10
.LBB150_13:
	s_waitcnt lgkmcnt(0)
	ds_bpermute_b32 v1, v2, v4
	s_waitcnt lgkmcnt(0)
	v_add_f32_e32 v1, v4, v1
	ds_bpermute_b32 v2, v3, v1
	s_waitcnt lgkmcnt(0)
	v_add_f32_e32 v1, v1, v2
	;; [unrolled: 3-line block ×4, first 2 shown]
	s_or_b64 exec, exec, s[0:1]
	v_cmp_eq_u32_e32 vcc, 0, v0
	s_and_saveexec_b64 s[0:1], vcc
	s_cbranch_execz .LBB150_11
.LBB150_14:
	s_waitcnt lgkmcnt(0)
	v_cvt_f16_f32_e32 v0, v4
	s_lshl_b64 s[0:1], s[6:7], 1
	s_add_u32 s0, s8, s0
	s_addc_u32 s1, s9, s1
	v_mov_b32_e32 v1, 0
	global_store_short v1, v0, s[0:1]
	s_endpgm
	.section	.rodata,"a",@progbits
	.p2align	6, 0x0
	.amdhsa_kernel _ZL18rocblas_dot_kernelIiLb1ELi1024ELi32ELb0EDF16_PKPKDF16_fEviT5_lT_lS4_lS5_liPT6_PT4_
		.amdhsa_group_segment_fixed_size 256
		.amdhsa_private_segment_fixed_size 0
		.amdhsa_kernarg_size 352
		.amdhsa_user_sgpr_count 6
		.amdhsa_user_sgpr_private_segment_buffer 1
		.amdhsa_user_sgpr_dispatch_ptr 0
		.amdhsa_user_sgpr_queue_ptr 0
		.amdhsa_user_sgpr_kernarg_segment_ptr 1
		.amdhsa_user_sgpr_dispatch_id 0
		.amdhsa_user_sgpr_flat_scratch_init 0
		.amdhsa_user_sgpr_private_segment_size 0
		.amdhsa_uses_dynamic_stack 0
		.amdhsa_system_sgpr_private_segment_wavefront_offset 0
		.amdhsa_system_sgpr_workgroup_id_x 1
		.amdhsa_system_sgpr_workgroup_id_y 0
		.amdhsa_system_sgpr_workgroup_id_z 1
		.amdhsa_system_sgpr_workgroup_info 0
		.amdhsa_system_vgpr_workitem_id 0
		.amdhsa_next_free_vgpr 11
		.amdhsa_next_free_sgpr 24
		.amdhsa_reserve_vcc 1
		.amdhsa_reserve_flat_scratch 0
		.amdhsa_float_round_mode_32 0
		.amdhsa_float_round_mode_16_64 0
		.amdhsa_float_denorm_mode_32 3
		.amdhsa_float_denorm_mode_16_64 3
		.amdhsa_dx10_clamp 1
		.amdhsa_ieee_mode 1
		.amdhsa_fp16_overflow 0
		.amdhsa_exception_fp_ieee_invalid_op 0
		.amdhsa_exception_fp_denorm_src 0
		.amdhsa_exception_fp_ieee_div_zero 0
		.amdhsa_exception_fp_ieee_overflow 0
		.amdhsa_exception_fp_ieee_underflow 0
		.amdhsa_exception_fp_ieee_inexact 0
		.amdhsa_exception_int_div_zero 0
	.end_amdhsa_kernel
	.section	.text._ZL18rocblas_dot_kernelIiLb1ELi1024ELi32ELb0EDF16_PKPKDF16_fEviT5_lT_lS4_lS5_liPT6_PT4_,"axG",@progbits,_ZL18rocblas_dot_kernelIiLb1ELi1024ELi32ELb0EDF16_PKPKDF16_fEviT5_lT_lS4_lS5_liPT6_PT4_,comdat
.Lfunc_end150:
	.size	_ZL18rocblas_dot_kernelIiLb1ELi1024ELi32ELb0EDF16_PKPKDF16_fEviT5_lT_lS4_lS5_liPT6_PT4_, .Lfunc_end150-_ZL18rocblas_dot_kernelIiLb1ELi1024ELi32ELb0EDF16_PKPKDF16_fEviT5_lT_lS4_lS5_liPT6_PT4_
                                        ; -- End function
	.set _ZL18rocblas_dot_kernelIiLb1ELi1024ELi32ELb0EDF16_PKPKDF16_fEviT5_lT_lS4_lS5_liPT6_PT4_.num_vgpr, 11
	.set _ZL18rocblas_dot_kernelIiLb1ELi1024ELi32ELb0EDF16_PKPKDF16_fEviT5_lT_lS4_lS5_liPT6_PT4_.num_agpr, 0
	.set _ZL18rocblas_dot_kernelIiLb1ELi1024ELi32ELb0EDF16_PKPKDF16_fEviT5_lT_lS4_lS5_liPT6_PT4_.numbered_sgpr, 24
	.set _ZL18rocblas_dot_kernelIiLb1ELi1024ELi32ELb0EDF16_PKPKDF16_fEviT5_lT_lS4_lS5_liPT6_PT4_.num_named_barrier, 0
	.set _ZL18rocblas_dot_kernelIiLb1ELi1024ELi32ELb0EDF16_PKPKDF16_fEviT5_lT_lS4_lS5_liPT6_PT4_.private_seg_size, 0
	.set _ZL18rocblas_dot_kernelIiLb1ELi1024ELi32ELb0EDF16_PKPKDF16_fEviT5_lT_lS4_lS5_liPT6_PT4_.uses_vcc, 1
	.set _ZL18rocblas_dot_kernelIiLb1ELi1024ELi32ELb0EDF16_PKPKDF16_fEviT5_lT_lS4_lS5_liPT6_PT4_.uses_flat_scratch, 0
	.set _ZL18rocblas_dot_kernelIiLb1ELi1024ELi32ELb0EDF16_PKPKDF16_fEviT5_lT_lS4_lS5_liPT6_PT4_.has_dyn_sized_stack, 0
	.set _ZL18rocblas_dot_kernelIiLb1ELi1024ELi32ELb0EDF16_PKPKDF16_fEviT5_lT_lS4_lS5_liPT6_PT4_.has_recursion, 0
	.set _ZL18rocblas_dot_kernelIiLb1ELi1024ELi32ELb0EDF16_PKPKDF16_fEviT5_lT_lS4_lS5_liPT6_PT4_.has_indirect_call, 0
	.section	.AMDGPU.csdata,"",@progbits
; Kernel info:
; codeLenInByte = 896
; TotalNumSgprs: 28
; NumVgprs: 11
; ScratchSize: 0
; MemoryBound: 0
; FloatMode: 240
; IeeeMode: 1
; LDSByteSize: 256 bytes/workgroup (compile time only)
; SGPRBlocks: 3
; VGPRBlocks: 2
; NumSGPRsForWavesPerEU: 28
; NumVGPRsForWavesPerEU: 11
; Occupancy: 10
; WaveLimiterHint : 0
; COMPUTE_PGM_RSRC2:SCRATCH_EN: 0
; COMPUTE_PGM_RSRC2:USER_SGPR: 6
; COMPUTE_PGM_RSRC2:TRAP_HANDLER: 0
; COMPUTE_PGM_RSRC2:TGID_X_EN: 1
; COMPUTE_PGM_RSRC2:TGID_Y_EN: 0
; COMPUTE_PGM_RSRC2:TGID_Z_EN: 1
; COMPUTE_PGM_RSRC2:TIDIG_COMP_CNT: 0
	.section	.text._ZL24rocblas_dot_kernel_magsqIiLb1ELi1024ELi32ELb0EDF16_PKPKDF16_fEviT5_lT_liPT6_PT4_,"axG",@progbits,_ZL24rocblas_dot_kernel_magsqIiLb1ELi1024ELi32ELb0EDF16_PKPKDF16_fEviT5_lT_liPT6_PT4_,comdat
	.globl	_ZL24rocblas_dot_kernel_magsqIiLb1ELi1024ELi32ELb0EDF16_PKPKDF16_fEviT5_lT_liPT6_PT4_ ; -- Begin function _ZL24rocblas_dot_kernel_magsqIiLb1ELi1024ELi32ELb0EDF16_PKPKDF16_fEviT5_lT_liPT6_PT4_
	.p2align	8
	.type	_ZL24rocblas_dot_kernel_magsqIiLb1ELi1024ELi32ELb0EDF16_PKPKDF16_fEviT5_lT_liPT6_PT4_,@function
_ZL24rocblas_dot_kernel_magsqIiLb1ELi1024ELi32ELb0EDF16_PKPKDF16_fEviT5_lT_liPT6_PT4_: ; @_ZL24rocblas_dot_kernel_magsqIiLb1ELi1024ELi32ELb0EDF16_PKPKDF16_fEviT5_lT_liPT6_PT4_
; %bb.0:
	s_mov_b32 s2, s7
	s_load_dword s12, s[4:5], 0x0
	s_load_dwordx2 s[6:7], s[4:5], 0x38
	s_mov_b32 s3, 0
	v_mov_b32_e32 v3, 0
	s_waitcnt lgkmcnt(0)
	v_cmp_gt_i32_e32 vcc, s12, v0
	s_and_saveexec_b64 s[8:9], vcc
	s_cbranch_execz .LBB151_4
; %bb.1:
	s_load_dwordx4 s[16:19], s[4:5], 0x8
	s_lshl_b64 s[0:1], s[2:3], 3
	s_load_dword s10, s[4:5], 0x18
	s_load_dword s11, s[4:5], 0x40
	s_waitcnt lgkmcnt(0)
	s_add_u32 s0, s16, s0
	s_addc_u32 s1, s17, s1
	s_load_dwordx2 s[0:1], s[0:1], 0x0
	v_mad_i64_i32 v[1:2], s[4:5], s10, v0, 0
	s_lshl_b32 s13, s11, 10
	s_lshl_b64 s[4:5], s[18:19], 1
	v_lshlrev_b64 v[1:2], 1, v[1:2]
	s_waitcnt lgkmcnt(0)
	s_add_u32 s0, s0, s4
	s_addc_u32 s1, s1, s5
	v_mov_b32_e32 v3, s1
	v_add_co_u32_e32 v1, vcc, s0, v1
	s_mul_hi_i32 s1, s10, s13
	s_mul_i32 s0, s10, s13
	s_lshl_b64 s[4:5], s[0:1], 1
	v_or_b32_e32 v4, s13, v0
	v_addc_co_u32_e32 v2, vcc, v3, v2, vcc
	v_mov_b32_e32 v3, 0
	s_mov_b64 s[10:11], 0
	v_mov_b32_e32 v5, s5
	s_mov_b32 s5, s3
.LBB151_2:                              ; =>This Inner Loop Header: Depth=1
	flat_load_ushort v6, v[1:2]
	s_add_i32 s14, s5, 1
	v_add_co_u32_e64 v1, s[0:1], s4, v1
	v_addc_co_u32_e64 v2, s[0:1], v2, v5, s[0:1]
	s_cmp_gt_u32 s5, 30
	v_cmp_le_i32_e32 vcc, s12, v4
	s_cselect_b64 s[0:1], -1, 0
	s_or_b64 s[0:1], s[0:1], vcc
	s_and_b64 s[0:1], exec, s[0:1]
	v_add_u32_e32 v4, s13, v4
	s_mov_b32 s5, s14
	s_or_b64 s[10:11], s[0:1], s[10:11]
	s_waitcnt vmcnt(0) lgkmcnt(0)
	v_fma_mix_f32 v3, v6, v6, v3 op_sel_hi:[1,1,0]
	s_andn2_b64 exec, exec, s[10:11]
	s_cbranch_execnz .LBB151_2
; %bb.3:
	s_or_b64 exec, exec, s[10:11]
.LBB151_4:
	s_or_b64 exec, exec, s[8:9]
	v_and_b32_e32 v4, 63, v0
	v_cmp_gt_u32_e32 vcc, 64, v0
	v_lshlrev_b32_e32 v1, 2, v4
	s_and_saveexec_b64 s[0:1], vcc
; %bb.5:
	v_mov_b32_e32 v2, 0
	ds_write_b32 v1, v2
; %bb.6:
	s_or_b64 exec, exec, s[0:1]
	v_mbcnt_lo_u32_b32 v2, -1, 0
	v_mbcnt_hi_u32_b32 v6, -1, v2
	v_mov_b32_e32 v2, 0x80
	v_lshl_or_b32 v2, v6, 2, v2
	ds_bpermute_b32 v2, v2, v3
	v_and_b32_e32 v7, 63, v6
	v_cmp_gt_u32_e64 s[0:1], 48, v7
	v_cndmask_b32_e64 v5, 0, 16, s[0:1]
	v_cmp_gt_u32_e64 s[0:1], 56, v7
	s_waitcnt lgkmcnt(0)
	v_add_f32_e32 v3, v3, v2
	v_add_lshl_u32 v2, v5, v6, 2
	ds_bpermute_b32 v5, v2, v3
	v_cndmask_b32_e64 v2, 0, 8, s[0:1]
	v_add_lshl_u32 v2, v2, v6, 2
	v_cmp_gt_u32_e64 s[0:1], 60, v7
	s_waitcnt lgkmcnt(0)
	v_add_f32_e32 v5, v3, v5
	ds_bpermute_b32 v8, v2, v5
	v_cndmask_b32_e64 v3, 0, 4, s[0:1]
	v_add_lshl_u32 v3, v3, v6, 2
	v_cmp_gt_u32_e64 s[0:1], 62, v7
	s_waitcnt lgkmcnt(0)
	s_barrier
	v_add_f32_e32 v8, v5, v8
	ds_bpermute_b32 v9, v3, v8
	v_cndmask_b32_e64 v5, 0, 2, s[0:1]
	v_add_lshl_u32 v5, v5, v6, 2
	v_cmp_ne_u32_e64 s[0:1], 63, v7
	v_addc_co_u32_e64 v6, s[0:1], 0, v6, s[0:1]
	s_waitcnt lgkmcnt(0)
	v_add_f32_e32 v8, v8, v9
	ds_bpermute_b32 v9, v5, v8
	v_lshlrev_b32_e32 v6, 2, v6
	v_cmp_eq_u32_e64 s[0:1], 0, v4
	s_waitcnt lgkmcnt(0)
	v_add_f32_e32 v7, v8, v9
	ds_bpermute_b32 v8, v6, v7
	s_and_saveexec_b64 s[4:5], s[0:1]
	s_cbranch_execz .LBB151_8
; %bb.7:
	s_waitcnt lgkmcnt(0)
	v_add_f32_e32 v4, v7, v8
	v_lshrrev_b32_e32 v7, 4, v0
	v_and_b32_e32 v7, 60, v7
	ds_write_b32 v7, v4
.LBB151_8:
	s_or_b64 exec, exec, s[4:5]
	v_cmp_gt_u32_e64 s[0:1], 16, v0
	v_mov_b32_e32 v4, 0
	s_waitcnt lgkmcnt(0)
	s_barrier
	s_and_saveexec_b64 s[4:5], s[0:1]
	s_cbranch_execnz .LBB151_12
; %bb.9:
	s_or_b64 exec, exec, s[4:5]
	s_and_saveexec_b64 s[0:1], vcc
	s_cbranch_execnz .LBB151_13
.LBB151_10:
	s_or_b64 exec, exec, s[0:1]
	v_cmp_eq_u32_e32 vcc, 0, v0
	s_and_saveexec_b64 s[0:1], vcc
	s_cbranch_execnz .LBB151_14
.LBB151_11:
	s_endpgm
.LBB151_12:
	ds_read_b32 v4, v1
	s_or_b64 exec, exec, s[4:5]
	s_and_saveexec_b64 s[0:1], vcc
	s_cbranch_execz .LBB151_10
.LBB151_13:
	s_waitcnt lgkmcnt(0)
	ds_bpermute_b32 v1, v2, v4
	s_waitcnt lgkmcnt(0)
	v_add_f32_e32 v1, v4, v1
	ds_bpermute_b32 v2, v3, v1
	s_waitcnt lgkmcnt(0)
	v_add_f32_e32 v1, v1, v2
	;; [unrolled: 3-line block ×4, first 2 shown]
	s_or_b64 exec, exec, s[0:1]
	v_cmp_eq_u32_e32 vcc, 0, v0
	s_and_saveexec_b64 s[0:1], vcc
	s_cbranch_execz .LBB151_11
.LBB151_14:
	s_waitcnt lgkmcnt(0)
	v_cvt_f16_f32_e32 v0, v4
	s_lshl_b64 s[0:1], s[2:3], 1
	s_add_u32 s0, s6, s0
	s_addc_u32 s1, s7, s1
	v_mov_b32_e32 v1, 0
	global_store_short v1, v0, s[0:1]
	s_endpgm
	.section	.rodata,"a",@progbits
	.p2align	6, 0x0
	.amdhsa_kernel _ZL24rocblas_dot_kernel_magsqIiLb1ELi1024ELi32ELb0EDF16_PKPKDF16_fEviT5_lT_liPT6_PT4_
		.amdhsa_group_segment_fixed_size 256
		.amdhsa_private_segment_fixed_size 0
		.amdhsa_kernarg_size 320
		.amdhsa_user_sgpr_count 6
		.amdhsa_user_sgpr_private_segment_buffer 1
		.amdhsa_user_sgpr_dispatch_ptr 0
		.amdhsa_user_sgpr_queue_ptr 0
		.amdhsa_user_sgpr_kernarg_segment_ptr 1
		.amdhsa_user_sgpr_dispatch_id 0
		.amdhsa_user_sgpr_flat_scratch_init 0
		.amdhsa_user_sgpr_private_segment_size 0
		.amdhsa_uses_dynamic_stack 0
		.amdhsa_system_sgpr_private_segment_wavefront_offset 0
		.amdhsa_system_sgpr_workgroup_id_x 1
		.amdhsa_system_sgpr_workgroup_id_y 0
		.amdhsa_system_sgpr_workgroup_id_z 1
		.amdhsa_system_sgpr_workgroup_info 0
		.amdhsa_system_vgpr_workitem_id 0
		.amdhsa_next_free_vgpr 10
		.amdhsa_next_free_sgpr 20
		.amdhsa_reserve_vcc 1
		.amdhsa_reserve_flat_scratch 0
		.amdhsa_float_round_mode_32 0
		.amdhsa_float_round_mode_16_64 0
		.amdhsa_float_denorm_mode_32 3
		.amdhsa_float_denorm_mode_16_64 3
		.amdhsa_dx10_clamp 1
		.amdhsa_ieee_mode 1
		.amdhsa_fp16_overflow 0
		.amdhsa_exception_fp_ieee_invalid_op 0
		.amdhsa_exception_fp_denorm_src 0
		.amdhsa_exception_fp_ieee_div_zero 0
		.amdhsa_exception_fp_ieee_overflow 0
		.amdhsa_exception_fp_ieee_underflow 0
		.amdhsa_exception_fp_ieee_inexact 0
		.amdhsa_exception_int_div_zero 0
	.end_amdhsa_kernel
	.section	.text._ZL24rocblas_dot_kernel_magsqIiLb1ELi1024ELi32ELb0EDF16_PKPKDF16_fEviT5_lT_liPT6_PT4_,"axG",@progbits,_ZL24rocblas_dot_kernel_magsqIiLb1ELi1024ELi32ELb0EDF16_PKPKDF16_fEviT5_lT_liPT6_PT4_,comdat
.Lfunc_end151:
	.size	_ZL24rocblas_dot_kernel_magsqIiLb1ELi1024ELi32ELb0EDF16_PKPKDF16_fEviT5_lT_liPT6_PT4_, .Lfunc_end151-_ZL24rocblas_dot_kernel_magsqIiLb1ELi1024ELi32ELb0EDF16_PKPKDF16_fEviT5_lT_liPT6_PT4_
                                        ; -- End function
	.set _ZL24rocblas_dot_kernel_magsqIiLb1ELi1024ELi32ELb0EDF16_PKPKDF16_fEviT5_lT_liPT6_PT4_.num_vgpr, 10
	.set _ZL24rocblas_dot_kernel_magsqIiLb1ELi1024ELi32ELb0EDF16_PKPKDF16_fEviT5_lT_liPT6_PT4_.num_agpr, 0
	.set _ZL24rocblas_dot_kernel_magsqIiLb1ELi1024ELi32ELb0EDF16_PKPKDF16_fEviT5_lT_liPT6_PT4_.numbered_sgpr, 20
	.set _ZL24rocblas_dot_kernel_magsqIiLb1ELi1024ELi32ELb0EDF16_PKPKDF16_fEviT5_lT_liPT6_PT4_.num_named_barrier, 0
	.set _ZL24rocblas_dot_kernel_magsqIiLb1ELi1024ELi32ELb0EDF16_PKPKDF16_fEviT5_lT_liPT6_PT4_.private_seg_size, 0
	.set _ZL24rocblas_dot_kernel_magsqIiLb1ELi1024ELi32ELb0EDF16_PKPKDF16_fEviT5_lT_liPT6_PT4_.uses_vcc, 1
	.set _ZL24rocblas_dot_kernel_magsqIiLb1ELi1024ELi32ELb0EDF16_PKPKDF16_fEviT5_lT_liPT6_PT4_.uses_flat_scratch, 0
	.set _ZL24rocblas_dot_kernel_magsqIiLb1ELi1024ELi32ELb0EDF16_PKPKDF16_fEviT5_lT_liPT6_PT4_.has_dyn_sized_stack, 0
	.set _ZL24rocblas_dot_kernel_magsqIiLb1ELi1024ELi32ELb0EDF16_PKPKDF16_fEviT5_lT_liPT6_PT4_.has_recursion, 0
	.set _ZL24rocblas_dot_kernel_magsqIiLb1ELi1024ELi32ELb0EDF16_PKPKDF16_fEviT5_lT_liPT6_PT4_.has_indirect_call, 0
	.section	.AMDGPU.csdata,"",@progbits
; Kernel info:
; codeLenInByte = 780
; TotalNumSgprs: 24
; NumVgprs: 10
; ScratchSize: 0
; MemoryBound: 0
; FloatMode: 240
; IeeeMode: 1
; LDSByteSize: 256 bytes/workgroup (compile time only)
; SGPRBlocks: 2
; VGPRBlocks: 2
; NumSGPRsForWavesPerEU: 24
; NumVGPRsForWavesPerEU: 10
; Occupancy: 10
; WaveLimiterHint : 0
; COMPUTE_PGM_RSRC2:SCRATCH_EN: 0
; COMPUTE_PGM_RSRC2:USER_SGPR: 6
; COMPUTE_PGM_RSRC2:TRAP_HANDLER: 0
; COMPUTE_PGM_RSRC2:TGID_X_EN: 1
; COMPUTE_PGM_RSRC2:TGID_Y_EN: 0
; COMPUTE_PGM_RSRC2:TGID_Z_EN: 1
; COMPUTE_PGM_RSRC2:TIDIG_COMP_CNT: 0
	.section	.text._ZL38rocblas_dot_kernel_gfx942_float_doubleIiLi1024EDF16_PKPKDF16_fEviT2_lT_lS4_lS5_lPT3_PT1_,"axG",@progbits,_ZL38rocblas_dot_kernel_gfx942_float_doubleIiLi1024EDF16_PKPKDF16_fEviT2_lT_lS4_lS5_lPT3_PT1_,comdat
	.globl	_ZL38rocblas_dot_kernel_gfx942_float_doubleIiLi1024EDF16_PKPKDF16_fEviT2_lT_lS4_lS5_lPT3_PT1_ ; -- Begin function _ZL38rocblas_dot_kernel_gfx942_float_doubleIiLi1024EDF16_PKPKDF16_fEviT2_lT_lS4_lS5_lPT3_PT1_
	.p2align	8
	.type	_ZL38rocblas_dot_kernel_gfx942_float_doubleIiLi1024EDF16_PKPKDF16_fEviT2_lT_lS4_lS5_lPT3_PT1_,@function
_ZL38rocblas_dot_kernel_gfx942_float_doubleIiLi1024EDF16_PKPKDF16_fEviT2_lT_lS4_lS5_lPT3_PT1_: ; @_ZL38rocblas_dot_kernel_gfx942_float_doubleIiLi1024EDF16_PKPKDF16_fEviT2_lT_lS4_lS5_lPT3_PT1_
; %bb.0:
	s_endpgm
	.section	.rodata,"a",@progbits
	.p2align	6, 0x0
	.amdhsa_kernel _ZL38rocblas_dot_kernel_gfx942_float_doubleIiLi1024EDF16_PKPKDF16_fEviT2_lT_lS4_lS5_lPT3_PT1_
		.amdhsa_group_segment_fixed_size 0
		.amdhsa_private_segment_fixed_size 0
		.amdhsa_kernarg_size 88
		.amdhsa_user_sgpr_count 6
		.amdhsa_user_sgpr_private_segment_buffer 1
		.amdhsa_user_sgpr_dispatch_ptr 0
		.amdhsa_user_sgpr_queue_ptr 0
		.amdhsa_user_sgpr_kernarg_segment_ptr 1
		.amdhsa_user_sgpr_dispatch_id 0
		.amdhsa_user_sgpr_flat_scratch_init 0
		.amdhsa_user_sgpr_private_segment_size 0
		.amdhsa_uses_dynamic_stack 0
		.amdhsa_system_sgpr_private_segment_wavefront_offset 0
		.amdhsa_system_sgpr_workgroup_id_x 1
		.amdhsa_system_sgpr_workgroup_id_y 0
		.amdhsa_system_sgpr_workgroup_id_z 0
		.amdhsa_system_sgpr_workgroup_info 0
		.amdhsa_system_vgpr_workitem_id 0
		.amdhsa_next_free_vgpr 1
		.amdhsa_next_free_sgpr 0
		.amdhsa_reserve_vcc 0
		.amdhsa_reserve_flat_scratch 0
		.amdhsa_float_round_mode_32 0
		.amdhsa_float_round_mode_16_64 0
		.amdhsa_float_denorm_mode_32 3
		.amdhsa_float_denorm_mode_16_64 3
		.amdhsa_dx10_clamp 1
		.amdhsa_ieee_mode 1
		.amdhsa_fp16_overflow 0
		.amdhsa_exception_fp_ieee_invalid_op 0
		.amdhsa_exception_fp_denorm_src 0
		.amdhsa_exception_fp_ieee_div_zero 0
		.amdhsa_exception_fp_ieee_overflow 0
		.amdhsa_exception_fp_ieee_underflow 0
		.amdhsa_exception_fp_ieee_inexact 0
		.amdhsa_exception_int_div_zero 0
	.end_amdhsa_kernel
	.section	.text._ZL38rocblas_dot_kernel_gfx942_float_doubleIiLi1024EDF16_PKPKDF16_fEviT2_lT_lS4_lS5_lPT3_PT1_,"axG",@progbits,_ZL38rocblas_dot_kernel_gfx942_float_doubleIiLi1024EDF16_PKPKDF16_fEviT2_lT_lS4_lS5_lPT3_PT1_,comdat
.Lfunc_end152:
	.size	_ZL38rocblas_dot_kernel_gfx942_float_doubleIiLi1024EDF16_PKPKDF16_fEviT2_lT_lS4_lS5_lPT3_PT1_, .Lfunc_end152-_ZL38rocblas_dot_kernel_gfx942_float_doubleIiLi1024EDF16_PKPKDF16_fEviT2_lT_lS4_lS5_lPT3_PT1_
                                        ; -- End function
	.set _ZL38rocblas_dot_kernel_gfx942_float_doubleIiLi1024EDF16_PKPKDF16_fEviT2_lT_lS4_lS5_lPT3_PT1_.num_vgpr, 0
	.set _ZL38rocblas_dot_kernel_gfx942_float_doubleIiLi1024EDF16_PKPKDF16_fEviT2_lT_lS4_lS5_lPT3_PT1_.num_agpr, 0
	.set _ZL38rocblas_dot_kernel_gfx942_float_doubleIiLi1024EDF16_PKPKDF16_fEviT2_lT_lS4_lS5_lPT3_PT1_.numbered_sgpr, 0
	.set _ZL38rocblas_dot_kernel_gfx942_float_doubleIiLi1024EDF16_PKPKDF16_fEviT2_lT_lS4_lS5_lPT3_PT1_.num_named_barrier, 0
	.set _ZL38rocblas_dot_kernel_gfx942_float_doubleIiLi1024EDF16_PKPKDF16_fEviT2_lT_lS4_lS5_lPT3_PT1_.private_seg_size, 0
	.set _ZL38rocblas_dot_kernel_gfx942_float_doubleIiLi1024EDF16_PKPKDF16_fEviT2_lT_lS4_lS5_lPT3_PT1_.uses_vcc, 0
	.set _ZL38rocblas_dot_kernel_gfx942_float_doubleIiLi1024EDF16_PKPKDF16_fEviT2_lT_lS4_lS5_lPT3_PT1_.uses_flat_scratch, 0
	.set _ZL38rocblas_dot_kernel_gfx942_float_doubleIiLi1024EDF16_PKPKDF16_fEviT2_lT_lS4_lS5_lPT3_PT1_.has_dyn_sized_stack, 0
	.set _ZL38rocblas_dot_kernel_gfx942_float_doubleIiLi1024EDF16_PKPKDF16_fEviT2_lT_lS4_lS5_lPT3_PT1_.has_recursion, 0
	.set _ZL38rocblas_dot_kernel_gfx942_float_doubleIiLi1024EDF16_PKPKDF16_fEviT2_lT_lS4_lS5_lPT3_PT1_.has_indirect_call, 0
	.section	.AMDGPU.csdata,"",@progbits
; Kernel info:
; codeLenInByte = 4
; TotalNumSgprs: 4
; NumVgprs: 0
; ScratchSize: 0
; MemoryBound: 0
; FloatMode: 240
; IeeeMode: 1
; LDSByteSize: 0 bytes/workgroup (compile time only)
; SGPRBlocks: 0
; VGPRBlocks: 0
; NumSGPRsForWavesPerEU: 4
; NumVGPRsForWavesPerEU: 1
; Occupancy: 10
; WaveLimiterHint : 0
; COMPUTE_PGM_RSRC2:SCRATCH_EN: 0
; COMPUTE_PGM_RSRC2:USER_SGPR: 6
; COMPUTE_PGM_RSRC2:TRAP_HANDLER: 0
; COMPUTE_PGM_RSRC2:TGID_X_EN: 1
; COMPUTE_PGM_RSRC2:TGID_Y_EN: 0
; COMPUTE_PGM_RSRC2:TGID_Z_EN: 0
; COMPUTE_PGM_RSRC2:TIDIG_COMP_CNT: 0
	.section	.text._ZL23rocblas_dot_kernel_inc1ILb0ELi512ELi8ELb0EDF16_PKPKDF16_fEviT4_llS4_lliPT5_PT3_,"axG",@progbits,_ZL23rocblas_dot_kernel_inc1ILb0ELi512ELi8ELb0EDF16_PKPKDF16_fEviT4_llS4_lliPT5_PT3_,comdat
	.globl	_ZL23rocblas_dot_kernel_inc1ILb0ELi512ELi8ELb0EDF16_PKPKDF16_fEviT4_llS4_lliPT5_PT3_ ; -- Begin function _ZL23rocblas_dot_kernel_inc1ILb0ELi512ELi8ELb0EDF16_PKPKDF16_fEviT4_llS4_lliPT5_PT3_
	.p2align	8
	.type	_ZL23rocblas_dot_kernel_inc1ILb0ELi512ELi8ELb0EDF16_PKPKDF16_fEviT4_llS4_lliPT5_PT3_,@function
_ZL23rocblas_dot_kernel_inc1ILb0ELi512ELi8ELb0EDF16_PKPKDF16_fEviT4_llS4_lliPT5_PT3_: ; @_ZL23rocblas_dot_kernel_inc1ILb0ELi512ELi8ELb0EDF16_PKPKDF16_fEviT4_llS4_lliPT5_PT3_
; %bb.0:
	s_mov_b32 s2, s7
	s_load_dword s18, s[4:5], 0x50
	s_load_dword s7, s[4:5], 0x0
	s_load_dwordx4 s[8:11], s[4:5], 0x40
	v_lshl_or_b32 v3, s6, 9, v0
	s_mov_b32 s3, 0
	v_mov_b32_e32 v5, 0
	s_waitcnt lgkmcnt(0)
	v_cmp_gt_i32_e32 vcc, s7, v3
	s_and_saveexec_b64 s[12:13], vcc
	s_cbranch_execz .LBB153_4
; %bb.1:
	s_load_dwordx4 s[20:23], s[4:5], 0x8
	s_load_dwordx4 s[24:27], s[4:5], 0x20
	s_lshl_b64 s[0:1], s[2:3], 3
	v_ashrrev_i32_e32 v4, 31, v3
	v_lshlrev_b64 v[1:2], 1, v[3:4]
	s_waitcnt lgkmcnt(0)
	s_add_u32 s4, s20, s0
	s_addc_u32 s5, s21, s1
	s_load_dwordx2 s[4:5], s[4:5], 0x0
	s_lshl_b64 s[14:15], s[22:23], 1
	v_mov_b32_e32 v5, 0
	s_waitcnt lgkmcnt(0)
	s_add_u32 s19, s4, s14
	s_addc_u32 s14, s5, s15
	s_add_u32 s0, s24, s0
	s_addc_u32 s1, s25, s1
	s_load_dwordx2 s[0:1], s[0:1], 0x0
	v_mov_b32_e32 v4, s14
	s_lshl_b64 s[14:15], s[26:27], 1
	s_mov_b64 s[4:5], 0
	s_waitcnt lgkmcnt(0)
	s_add_u32 s20, s0, s14
	s_addc_u32 s0, s1, s15
	s_lshl_b32 s14, s18, 9
	s_ashr_i32 s15, s14, 31
	s_lshl_b64 s[16:17], s[14:15], 1
	v_add_u32_e32 v3, s14, v3
	v_mov_b32_e32 v6, s0
	v_mov_b32_e32 v7, s17
	s_mov_b32 s15, s3
.LBB153_2:                              ; =>This Inner Loop Header: Depth=1
	v_add_co_u32_e32 v8, vcc, s20, v1
	v_addc_co_u32_e32 v9, vcc, v6, v2, vcc
	v_add_co_u32_e32 v10, vcc, s19, v1
	v_addc_co_u32_e32 v11, vcc, v4, v2, vcc
	flat_load_ushort v12, v[8:9]
	flat_load_ushort v13, v[10:11]
	s_add_i32 s17, s15, 1
	v_add_co_u32_e64 v1, s[0:1], s16, v1
	v_addc_co_u32_e64 v2, s[0:1], v2, v7, s[0:1]
	s_cmp_gt_u32 s15, 6
	v_cmp_le_i32_e32 vcc, s7, v3
	s_cselect_b64 s[0:1], -1, 0
	s_or_b64 s[0:1], s[0:1], vcc
	s_and_b64 s[0:1], exec, s[0:1]
	v_add_u32_e32 v3, s14, v3
	s_mov_b32 s15, s17
	s_or_b64 s[4:5], s[0:1], s[4:5]
	s_waitcnt vmcnt(0) lgkmcnt(0)
	v_fma_mix_f32 v5, v12, v13, v5 op_sel_hi:[1,1,0]
	s_andn2_b64 exec, exec, s[4:5]
	s_cbranch_execnz .LBB153_2
; %bb.3:
	s_or_b64 exec, exec, s[4:5]
.LBB153_4:
	s_or_b64 exec, exec, s[12:13]
	v_and_b32_e32 v2, 63, v0
	v_cmp_gt_u32_e32 vcc, 64, v0
	v_lshlrev_b32_e32 v1, 2, v2
	s_and_saveexec_b64 s[0:1], vcc
; %bb.5:
	v_mov_b32_e32 v3, 0
	ds_write_b32 v1, v3
; %bb.6:
	s_or_b64 exec, exec, s[0:1]
	v_mbcnt_lo_u32_b32 v3, -1, 0
	v_mbcnt_hi_u32_b32 v6, -1, v3
	v_mov_b32_e32 v3, 0x80
	v_lshl_or_b32 v3, v6, 2, v3
	ds_bpermute_b32 v3, v3, v5
	v_and_b32_e32 v7, 63, v6
	v_cmp_gt_u32_e64 s[0:1], 48, v7
	v_cndmask_b32_e64 v4, 0, 16, s[0:1]
	v_add_lshl_u32 v4, v4, v6, 2
	s_waitcnt lgkmcnt(0)
	v_add_f32_e32 v3, v5, v3
	ds_bpermute_b32 v4, v4, v3
	v_cmp_gt_u32_e64 s[0:1], 56, v7
	v_cndmask_b32_e64 v5, 0, 8, s[0:1]
	v_add_lshl_u32 v5, v5, v6, 2
	v_cmp_gt_u32_e64 s[0:1], 60, v7
	s_waitcnt lgkmcnt(0)
	v_add_f32_e32 v4, v3, v4
	ds_bpermute_b32 v5, v5, v4
	v_cndmask_b32_e64 v3, 0, 4, s[0:1]
	v_add_lshl_u32 v3, v3, v6, 2
	v_cmp_gt_u32_e64 s[0:1], 62, v7
	s_waitcnt lgkmcnt(0)
	v_add_f32_e32 v5, v4, v5
	ds_bpermute_b32 v8, v3, v5
	v_cndmask_b32_e64 v4, 0, 2, s[0:1]
	v_add_lshl_u32 v4, v4, v6, 2
	v_cmp_ne_u32_e64 s[0:1], 63, v7
	v_addc_co_u32_e64 v7, s[0:1], 0, v6, s[0:1]
	s_waitcnt lgkmcnt(0)
	v_add_f32_e32 v5, v5, v8
	ds_bpermute_b32 v8, v4, v5
	v_cmp_eq_u32_e64 s[0:1], 0, v2
	s_waitcnt lgkmcnt(0)
	s_barrier
	v_add_f32_e32 v6, v5, v8
	v_lshlrev_b32_e32 v5, 2, v7
	ds_bpermute_b32 v7, v5, v6
	s_and_saveexec_b64 s[4:5], s[0:1]
	s_cbranch_execz .LBB153_8
; %bb.7:
	s_waitcnt lgkmcnt(0)
	v_add_f32_e32 v2, v6, v7
	v_lshrrev_b32_e32 v6, 4, v0
	v_and_b32_e32 v6, 28, v6
	ds_write_b32 v6, v2
.LBB153_8:
	s_or_b64 exec, exec, s[4:5]
	v_cmp_gt_u32_e64 s[0:1], 8, v0
	v_mov_b32_e32 v2, 0
	s_waitcnt lgkmcnt(0)
	s_barrier
	s_and_saveexec_b64 s[4:5], s[0:1]
	s_cbranch_execnz .LBB153_12
; %bb.9:
	s_or_b64 exec, exec, s[4:5]
	s_and_saveexec_b64 s[0:1], vcc
	s_cbranch_execnz .LBB153_13
.LBB153_10:
	s_or_b64 exec, exec, s[0:1]
	v_cmp_eq_u32_e32 vcc, 0, v0
	s_and_saveexec_b64 s[0:1], vcc
	s_cbranch_execnz .LBB153_14
.LBB153_11:
	s_endpgm
.LBB153_12:
	ds_read_b32 v2, v1
	s_or_b64 exec, exec, s[4:5]
	s_and_saveexec_b64 s[0:1], vcc
	s_cbranch_execz .LBB153_10
.LBB153_13:
	s_waitcnt lgkmcnt(0)
	ds_bpermute_b32 v1, v3, v2
	s_waitcnt lgkmcnt(0)
	v_add_f32_e32 v1, v2, v1
	ds_bpermute_b32 v2, v4, v1
	s_waitcnt lgkmcnt(0)
	v_add_f32_e32 v1, v1, v2
	;; [unrolled: 3-line block ×3, first 2 shown]
	s_or_b64 exec, exec, s[0:1]
	v_cmp_eq_u32_e32 vcc, 0, v0
	s_and_saveexec_b64 s[0:1], vcc
	s_cbranch_execz .LBB153_11
.LBB153_14:
	s_cmp_lg_u32 s18, 1
	s_mov_b64 s[0:1], -1
	s_cbranch_scc0 .LBB153_16
; %bb.15:
	s_mul_hi_u32 s1, s18, s2
	s_mul_i32 s0, s18, s2
	s_lshl_b64 s[0:1], s[0:1], 2
	s_mov_b32 s7, 0
	s_add_u32 s4, s8, s0
	s_addc_u32 s5, s9, s1
	s_lshl_b64 s[0:1], s[6:7], 2
	s_add_u32 s0, s4, s0
	s_addc_u32 s1, s5, s1
	v_mov_b32_e32 v0, 0
	s_waitcnt lgkmcnt(0)
	global_store_dword v0, v2, s[0:1]
	s_mov_b64 s[0:1], 0
.LBB153_16:
	s_andn2_b64 vcc, exec, s[0:1]
	s_cbranch_vccnz .LBB153_11
; %bb.17:
	s_waitcnt lgkmcnt(0)
	v_cvt_f16_f32_e32 v0, v2
	s_lshl_b64 s[0:1], s[2:3], 1
	s_add_u32 s0, s10, s0
	s_addc_u32 s1, s11, s1
	v_mov_b32_e32 v1, 0
	global_store_short v1, v0, s[0:1]
	s_endpgm
	.section	.rodata,"a",@progbits
	.p2align	6, 0x0
	.amdhsa_kernel _ZL23rocblas_dot_kernel_inc1ILb0ELi512ELi8ELb0EDF16_PKPKDF16_fEviT4_llS4_lliPT5_PT3_
		.amdhsa_group_segment_fixed_size 256
		.amdhsa_private_segment_fixed_size 0
		.amdhsa_kernarg_size 336
		.amdhsa_user_sgpr_count 6
		.amdhsa_user_sgpr_private_segment_buffer 1
		.amdhsa_user_sgpr_dispatch_ptr 0
		.amdhsa_user_sgpr_queue_ptr 0
		.amdhsa_user_sgpr_kernarg_segment_ptr 1
		.amdhsa_user_sgpr_dispatch_id 0
		.amdhsa_user_sgpr_flat_scratch_init 0
		.amdhsa_user_sgpr_private_segment_size 0
		.amdhsa_uses_dynamic_stack 0
		.amdhsa_system_sgpr_private_segment_wavefront_offset 0
		.amdhsa_system_sgpr_workgroup_id_x 1
		.amdhsa_system_sgpr_workgroup_id_y 0
		.amdhsa_system_sgpr_workgroup_id_z 1
		.amdhsa_system_sgpr_workgroup_info 0
		.amdhsa_system_vgpr_workitem_id 0
		.amdhsa_next_free_vgpr 14
		.amdhsa_next_free_sgpr 28
		.amdhsa_reserve_vcc 1
		.amdhsa_reserve_flat_scratch 0
		.amdhsa_float_round_mode_32 0
		.amdhsa_float_round_mode_16_64 0
		.amdhsa_float_denorm_mode_32 3
		.amdhsa_float_denorm_mode_16_64 3
		.amdhsa_dx10_clamp 1
		.amdhsa_ieee_mode 1
		.amdhsa_fp16_overflow 0
		.amdhsa_exception_fp_ieee_invalid_op 0
		.amdhsa_exception_fp_denorm_src 0
		.amdhsa_exception_fp_ieee_div_zero 0
		.amdhsa_exception_fp_ieee_overflow 0
		.amdhsa_exception_fp_ieee_underflow 0
		.amdhsa_exception_fp_ieee_inexact 0
		.amdhsa_exception_int_div_zero 0
	.end_amdhsa_kernel
	.section	.text._ZL23rocblas_dot_kernel_inc1ILb0ELi512ELi8ELb0EDF16_PKPKDF16_fEviT4_llS4_lliPT5_PT3_,"axG",@progbits,_ZL23rocblas_dot_kernel_inc1ILb0ELi512ELi8ELb0EDF16_PKPKDF16_fEviT4_llS4_lliPT5_PT3_,comdat
.Lfunc_end153:
	.size	_ZL23rocblas_dot_kernel_inc1ILb0ELi512ELi8ELb0EDF16_PKPKDF16_fEviT4_llS4_lliPT5_PT3_, .Lfunc_end153-_ZL23rocblas_dot_kernel_inc1ILb0ELi512ELi8ELb0EDF16_PKPKDF16_fEviT4_llS4_lliPT5_PT3_
                                        ; -- End function
	.set _ZL23rocblas_dot_kernel_inc1ILb0ELi512ELi8ELb0EDF16_PKPKDF16_fEviT4_llS4_lliPT5_PT3_.num_vgpr, 14
	.set _ZL23rocblas_dot_kernel_inc1ILb0ELi512ELi8ELb0EDF16_PKPKDF16_fEviT4_llS4_lliPT5_PT3_.num_agpr, 0
	.set _ZL23rocblas_dot_kernel_inc1ILb0ELi512ELi8ELb0EDF16_PKPKDF16_fEviT4_llS4_lliPT5_PT3_.numbered_sgpr, 28
	.set _ZL23rocblas_dot_kernel_inc1ILb0ELi512ELi8ELb0EDF16_PKPKDF16_fEviT4_llS4_lliPT5_PT3_.num_named_barrier, 0
	.set _ZL23rocblas_dot_kernel_inc1ILb0ELi512ELi8ELb0EDF16_PKPKDF16_fEviT4_llS4_lliPT5_PT3_.private_seg_size, 0
	.set _ZL23rocblas_dot_kernel_inc1ILb0ELi512ELi8ELb0EDF16_PKPKDF16_fEviT4_llS4_lliPT5_PT3_.uses_vcc, 1
	.set _ZL23rocblas_dot_kernel_inc1ILb0ELi512ELi8ELb0EDF16_PKPKDF16_fEviT4_llS4_lliPT5_PT3_.uses_flat_scratch, 0
	.set _ZL23rocblas_dot_kernel_inc1ILb0ELi512ELi8ELb0EDF16_PKPKDF16_fEviT4_llS4_lliPT5_PT3_.has_dyn_sized_stack, 0
	.set _ZL23rocblas_dot_kernel_inc1ILb0ELi512ELi8ELb0EDF16_PKPKDF16_fEviT4_llS4_lliPT5_PT3_.has_recursion, 0
	.set _ZL23rocblas_dot_kernel_inc1ILb0ELi512ELi8ELb0EDF16_PKPKDF16_fEviT4_llS4_lliPT5_PT3_.has_indirect_call, 0
	.section	.AMDGPU.csdata,"",@progbits
; Kernel info:
; codeLenInByte = 892
; TotalNumSgprs: 32
; NumVgprs: 14
; ScratchSize: 0
; MemoryBound: 0
; FloatMode: 240
; IeeeMode: 1
; LDSByteSize: 256 bytes/workgroup (compile time only)
; SGPRBlocks: 3
; VGPRBlocks: 3
; NumSGPRsForWavesPerEU: 32
; NumVGPRsForWavesPerEU: 14
; Occupancy: 10
; WaveLimiterHint : 1
; COMPUTE_PGM_RSRC2:SCRATCH_EN: 0
; COMPUTE_PGM_RSRC2:USER_SGPR: 6
; COMPUTE_PGM_RSRC2:TRAP_HANDLER: 0
; COMPUTE_PGM_RSRC2:TGID_X_EN: 1
; COMPUTE_PGM_RSRC2:TGID_Y_EN: 0
; COMPUTE_PGM_RSRC2:TGID_Z_EN: 1
; COMPUTE_PGM_RSRC2:TIDIG_COMP_CNT: 0
	.section	.text._ZL18rocblas_dot_kernelIiLb0ELi512ELi8ELb0EDF16_PKPKDF16_fEviT5_lT_lS4_lS5_liPT6_PT4_,"axG",@progbits,_ZL18rocblas_dot_kernelIiLb0ELi512ELi8ELb0EDF16_PKPKDF16_fEviT5_lT_lS4_lS5_liPT6_PT4_,comdat
	.globl	_ZL18rocblas_dot_kernelIiLb0ELi512ELi8ELb0EDF16_PKPKDF16_fEviT5_lT_lS4_lS5_liPT6_PT4_ ; -- Begin function _ZL18rocblas_dot_kernelIiLb0ELi512ELi8ELb0EDF16_PKPKDF16_fEviT5_lT_lS4_lS5_liPT6_PT4_
	.p2align	8
	.type	_ZL18rocblas_dot_kernelIiLb0ELi512ELi8ELb0EDF16_PKPKDF16_fEviT5_lT_lS4_lS5_liPT6_PT4_,@function
_ZL18rocblas_dot_kernelIiLb0ELi512ELi8ELb0EDF16_PKPKDF16_fEviT5_lT_lS4_lS5_liPT6_PT4_: ; @_ZL18rocblas_dot_kernelIiLb0ELi512ELi8ELb0EDF16_PKPKDF16_fEviT5_lT_lS4_lS5_liPT6_PT4_
; %bb.0:
	s_mov_b32 s2, s7
	s_load_dword s18, s[4:5], 0x60
	s_load_dword s7, s[4:5], 0x0
	s_load_dwordx4 s[8:11], s[4:5], 0x50
	v_lshl_or_b32 v3, s6, 9, v0
	s_mov_b32 s3, 0
	v_mov_b32_e32 v5, 0
	s_waitcnt lgkmcnt(0)
	v_cmp_gt_i32_e32 vcc, s7, v3
	s_and_saveexec_b64 s[12:13], vcc
	s_cbranch_execz .LBB154_4
; %bb.1:
	s_load_dwordx4 s[20:23], s[4:5], 0x8
	s_load_dword s16, s[4:5], 0x18
	s_load_dwordx4 s[24:27], s[4:5], 0x28
	s_load_dword s17, s[4:5], 0x38
	s_lshl_b64 s[0:1], s[2:3], 3
	s_waitcnt lgkmcnt(0)
	s_add_u32 s4, s20, s0
	s_addc_u32 s5, s21, s1
	s_load_dwordx2 s[4:5], s[4:5], 0x0
	v_mad_i64_i32 v[1:2], s[14:15], s16, v3, 0
	s_add_u32 s0, s24, s0
	s_addc_u32 s1, s25, s1
	s_lshl_b32 s19, s18, 9
	s_lshl_b64 s[14:15], s[22:23], 1
	v_lshlrev_b64 v[1:2], 1, v[1:2]
	s_waitcnt lgkmcnt(0)
	s_add_u32 s4, s4, s14
	s_addc_u32 s5, s5, s15
	s_load_dwordx2 s[0:1], s[0:1], 0x0
	v_mov_b32_e32 v4, s5
	v_add_co_u32_e32 v1, vcc, s4, v1
	v_add_u32_e32 v6, s19, v3
	v_addc_co_u32_e32 v2, vcc, v4, v2, vcc
	v_mad_i64_i32 v[3:4], s[4:5], s17, v3, 0
	s_mul_hi_i32 s5, s16, s19
	s_mul_i32 s4, s16, s19
	s_lshl_b64 s[4:5], s[4:5], 1
	s_lshl_b64 s[14:15], s[26:27], 1
	v_lshlrev_b64 v[3:4], 1, v[3:4]
	s_waitcnt lgkmcnt(0)
	s_add_u32 s0, s0, s14
	s_addc_u32 s1, s1, s15
	v_mov_b32_e32 v5, s1
	v_add_co_u32_e32 v3, vcc, s0, v3
	s_mul_hi_i32 s1, s17, s19
	s_mul_i32 s0, s17, s19
	s_lshl_b64 s[14:15], s[0:1], 1
	v_addc_co_u32_e32 v4, vcc, v5, v4, vcc
	v_mov_b32_e32 v5, 0
	s_mov_b64 s[16:17], 0
	v_mov_b32_e32 v7, s5
	v_mov_b32_e32 v8, s15
	s_mov_b32 s5, s3
.LBB154_2:                              ; =>This Inner Loop Header: Depth=1
	flat_load_ushort v9, v[3:4]
	flat_load_ushort v10, v[1:2]
	v_add_co_u32_e64 v1, s[0:1], s4, v1
	v_addc_co_u32_e64 v2, s[0:1], v2, v7, s[0:1]
	s_add_i32 s15, s5, 1
	v_add_co_u32_e64 v3, s[0:1], s14, v3
	v_addc_co_u32_e64 v4, s[0:1], v4, v8, s[0:1]
	s_cmp_gt_u32 s5, 6
	v_cmp_le_i32_e32 vcc, s7, v6
	s_cselect_b64 s[0:1], -1, 0
	s_or_b64 s[0:1], s[0:1], vcc
	s_and_b64 s[0:1], exec, s[0:1]
	v_add_u32_e32 v6, s19, v6
	s_mov_b32 s5, s15
	s_or_b64 s[16:17], s[0:1], s[16:17]
	s_waitcnt vmcnt(0) lgkmcnt(0)
	v_fma_mix_f32 v5, v9, v10, v5 op_sel_hi:[1,1,0]
	s_andn2_b64 exec, exec, s[16:17]
	s_cbranch_execnz .LBB154_2
; %bb.3:
	s_or_b64 exec, exec, s[16:17]
.LBB154_4:
	s_or_b64 exec, exec, s[12:13]
	v_and_b32_e32 v2, 63, v0
	v_cmp_gt_u32_e32 vcc, 64, v0
	v_lshlrev_b32_e32 v1, 2, v2
	s_and_saveexec_b64 s[0:1], vcc
; %bb.5:
	v_mov_b32_e32 v3, 0
	ds_write_b32 v1, v3
; %bb.6:
	s_or_b64 exec, exec, s[0:1]
	v_mbcnt_lo_u32_b32 v3, -1, 0
	v_mbcnt_hi_u32_b32 v6, -1, v3
	v_mov_b32_e32 v3, 0x80
	v_lshl_or_b32 v3, v6, 2, v3
	ds_bpermute_b32 v3, v3, v5
	v_and_b32_e32 v7, 63, v6
	v_cmp_gt_u32_e64 s[0:1], 48, v7
	v_cndmask_b32_e64 v4, 0, 16, s[0:1]
	v_add_lshl_u32 v4, v4, v6, 2
	s_waitcnt lgkmcnt(0)
	v_add_f32_e32 v3, v5, v3
	ds_bpermute_b32 v4, v4, v3
	v_cmp_gt_u32_e64 s[0:1], 56, v7
	v_cndmask_b32_e64 v5, 0, 8, s[0:1]
	v_add_lshl_u32 v5, v5, v6, 2
	v_cmp_gt_u32_e64 s[0:1], 60, v7
	s_waitcnt lgkmcnt(0)
	v_add_f32_e32 v4, v3, v4
	ds_bpermute_b32 v5, v5, v4
	v_cndmask_b32_e64 v3, 0, 4, s[0:1]
	v_add_lshl_u32 v3, v3, v6, 2
	v_cmp_gt_u32_e64 s[0:1], 62, v7
	s_waitcnt lgkmcnt(0)
	v_add_f32_e32 v5, v4, v5
	ds_bpermute_b32 v8, v3, v5
	v_cndmask_b32_e64 v4, 0, 2, s[0:1]
	v_add_lshl_u32 v4, v4, v6, 2
	v_cmp_ne_u32_e64 s[0:1], 63, v7
	v_addc_co_u32_e64 v7, s[0:1], 0, v6, s[0:1]
	s_waitcnt lgkmcnt(0)
	v_add_f32_e32 v5, v5, v8
	ds_bpermute_b32 v8, v4, v5
	v_cmp_eq_u32_e64 s[0:1], 0, v2
	s_waitcnt lgkmcnt(0)
	s_barrier
	v_add_f32_e32 v6, v5, v8
	v_lshlrev_b32_e32 v5, 2, v7
	ds_bpermute_b32 v7, v5, v6
	s_and_saveexec_b64 s[4:5], s[0:1]
	s_cbranch_execz .LBB154_8
; %bb.7:
	s_waitcnt lgkmcnt(0)
	v_add_f32_e32 v2, v6, v7
	v_lshrrev_b32_e32 v6, 4, v0
	v_and_b32_e32 v6, 28, v6
	ds_write_b32 v6, v2
.LBB154_8:
	s_or_b64 exec, exec, s[4:5]
	v_cmp_gt_u32_e64 s[0:1], 8, v0
	v_mov_b32_e32 v2, 0
	s_waitcnt lgkmcnt(0)
	s_barrier
	s_and_saveexec_b64 s[4:5], s[0:1]
	s_cbranch_execnz .LBB154_12
; %bb.9:
	s_or_b64 exec, exec, s[4:5]
	s_and_saveexec_b64 s[0:1], vcc
	s_cbranch_execnz .LBB154_13
.LBB154_10:
	s_or_b64 exec, exec, s[0:1]
	v_cmp_eq_u32_e32 vcc, 0, v0
	s_and_saveexec_b64 s[0:1], vcc
	s_cbranch_execnz .LBB154_14
.LBB154_11:
	s_endpgm
.LBB154_12:
	ds_read_b32 v2, v1
	s_or_b64 exec, exec, s[4:5]
	s_and_saveexec_b64 s[0:1], vcc
	s_cbranch_execz .LBB154_10
.LBB154_13:
	s_waitcnt lgkmcnt(0)
	ds_bpermute_b32 v1, v3, v2
	s_waitcnt lgkmcnt(0)
	v_add_f32_e32 v1, v2, v1
	ds_bpermute_b32 v2, v4, v1
	s_waitcnt lgkmcnt(0)
	v_add_f32_e32 v1, v1, v2
	;; [unrolled: 3-line block ×3, first 2 shown]
	s_or_b64 exec, exec, s[0:1]
	v_cmp_eq_u32_e32 vcc, 0, v0
	s_and_saveexec_b64 s[0:1], vcc
	s_cbranch_execz .LBB154_11
.LBB154_14:
	s_cmp_lg_u32 s18, 1
	s_mov_b64 s[0:1], -1
	s_cbranch_scc0 .LBB154_16
; %bb.15:
	s_mul_hi_u32 s1, s18, s2
	s_mul_i32 s0, s18, s2
	s_lshl_b64 s[0:1], s[0:1], 2
	s_mov_b32 s7, 0
	s_add_u32 s4, s8, s0
	s_addc_u32 s5, s9, s1
	s_lshl_b64 s[0:1], s[6:7], 2
	s_add_u32 s0, s4, s0
	s_addc_u32 s1, s5, s1
	v_mov_b32_e32 v0, 0
	s_waitcnt lgkmcnt(0)
	global_store_dword v0, v2, s[0:1]
	s_mov_b64 s[0:1], 0
.LBB154_16:
	s_andn2_b64 vcc, exec, s[0:1]
	s_cbranch_vccnz .LBB154_11
; %bb.17:
	s_waitcnt lgkmcnt(0)
	v_cvt_f16_f32_e32 v0, v2
	s_lshl_b64 s[0:1], s[2:3], 1
	s_add_u32 s0, s10, s0
	s_addc_u32 s1, s11, s1
	v_mov_b32_e32 v1, 0
	global_store_short v1, v0, s[0:1]
	s_endpgm
	.section	.rodata,"a",@progbits
	.p2align	6, 0x0
	.amdhsa_kernel _ZL18rocblas_dot_kernelIiLb0ELi512ELi8ELb0EDF16_PKPKDF16_fEviT5_lT_lS4_lS5_liPT6_PT4_
		.amdhsa_group_segment_fixed_size 256
		.amdhsa_private_segment_fixed_size 0
		.amdhsa_kernarg_size 352
		.amdhsa_user_sgpr_count 6
		.amdhsa_user_sgpr_private_segment_buffer 1
		.amdhsa_user_sgpr_dispatch_ptr 0
		.amdhsa_user_sgpr_queue_ptr 0
		.amdhsa_user_sgpr_kernarg_segment_ptr 1
		.amdhsa_user_sgpr_dispatch_id 0
		.amdhsa_user_sgpr_flat_scratch_init 0
		.amdhsa_user_sgpr_private_segment_size 0
		.amdhsa_uses_dynamic_stack 0
		.amdhsa_system_sgpr_private_segment_wavefront_offset 0
		.amdhsa_system_sgpr_workgroup_id_x 1
		.amdhsa_system_sgpr_workgroup_id_y 0
		.amdhsa_system_sgpr_workgroup_id_z 1
		.amdhsa_system_sgpr_workgroup_info 0
		.amdhsa_system_vgpr_workitem_id 0
		.amdhsa_next_free_vgpr 11
		.amdhsa_next_free_sgpr 28
		.amdhsa_reserve_vcc 1
		.amdhsa_reserve_flat_scratch 0
		.amdhsa_float_round_mode_32 0
		.amdhsa_float_round_mode_16_64 0
		.amdhsa_float_denorm_mode_32 3
		.amdhsa_float_denorm_mode_16_64 3
		.amdhsa_dx10_clamp 1
		.amdhsa_ieee_mode 1
		.amdhsa_fp16_overflow 0
		.amdhsa_exception_fp_ieee_invalid_op 0
		.amdhsa_exception_fp_denorm_src 0
		.amdhsa_exception_fp_ieee_div_zero 0
		.amdhsa_exception_fp_ieee_overflow 0
		.amdhsa_exception_fp_ieee_underflow 0
		.amdhsa_exception_fp_ieee_inexact 0
		.amdhsa_exception_int_div_zero 0
	.end_amdhsa_kernel
	.section	.text._ZL18rocblas_dot_kernelIiLb0ELi512ELi8ELb0EDF16_PKPKDF16_fEviT5_lT_lS4_lS5_liPT6_PT4_,"axG",@progbits,_ZL18rocblas_dot_kernelIiLb0ELi512ELi8ELb0EDF16_PKPKDF16_fEviT5_lT_lS4_lS5_liPT6_PT4_,comdat
.Lfunc_end154:
	.size	_ZL18rocblas_dot_kernelIiLb0ELi512ELi8ELb0EDF16_PKPKDF16_fEviT5_lT_lS4_lS5_liPT6_PT4_, .Lfunc_end154-_ZL18rocblas_dot_kernelIiLb0ELi512ELi8ELb0EDF16_PKPKDF16_fEviT5_lT_lS4_lS5_liPT6_PT4_
                                        ; -- End function
	.set _ZL18rocblas_dot_kernelIiLb0ELi512ELi8ELb0EDF16_PKPKDF16_fEviT5_lT_lS4_lS5_liPT6_PT4_.num_vgpr, 11
	.set _ZL18rocblas_dot_kernelIiLb0ELi512ELi8ELb0EDF16_PKPKDF16_fEviT5_lT_lS4_lS5_liPT6_PT4_.num_agpr, 0
	.set _ZL18rocblas_dot_kernelIiLb0ELi512ELi8ELb0EDF16_PKPKDF16_fEviT5_lT_lS4_lS5_liPT6_PT4_.numbered_sgpr, 28
	.set _ZL18rocblas_dot_kernelIiLb0ELi512ELi8ELb0EDF16_PKPKDF16_fEviT5_lT_lS4_lS5_liPT6_PT4_.num_named_barrier, 0
	.set _ZL18rocblas_dot_kernelIiLb0ELi512ELi8ELb0EDF16_PKPKDF16_fEviT5_lT_lS4_lS5_liPT6_PT4_.private_seg_size, 0
	.set _ZL18rocblas_dot_kernelIiLb0ELi512ELi8ELb0EDF16_PKPKDF16_fEviT5_lT_lS4_lS5_liPT6_PT4_.uses_vcc, 1
	.set _ZL18rocblas_dot_kernelIiLb0ELi512ELi8ELb0EDF16_PKPKDF16_fEviT5_lT_lS4_lS5_liPT6_PT4_.uses_flat_scratch, 0
	.set _ZL18rocblas_dot_kernelIiLb0ELi512ELi8ELb0EDF16_PKPKDF16_fEviT5_lT_lS4_lS5_liPT6_PT4_.has_dyn_sized_stack, 0
	.set _ZL18rocblas_dot_kernelIiLb0ELi512ELi8ELb0EDF16_PKPKDF16_fEviT5_lT_lS4_lS5_liPT6_PT4_.has_recursion, 0
	.set _ZL18rocblas_dot_kernelIiLb0ELi512ELi8ELb0EDF16_PKPKDF16_fEviT5_lT_lS4_lS5_liPT6_PT4_.has_indirect_call, 0
	.section	.AMDGPU.csdata,"",@progbits
; Kernel info:
; codeLenInByte = 964
; TotalNumSgprs: 32
; NumVgprs: 11
; ScratchSize: 0
; MemoryBound: 0
; FloatMode: 240
; IeeeMode: 1
; LDSByteSize: 256 bytes/workgroup (compile time only)
; SGPRBlocks: 3
; VGPRBlocks: 2
; NumSGPRsForWavesPerEU: 32
; NumVGPRsForWavesPerEU: 11
; Occupancy: 10
; WaveLimiterHint : 0
; COMPUTE_PGM_RSRC2:SCRATCH_EN: 0
; COMPUTE_PGM_RSRC2:USER_SGPR: 6
; COMPUTE_PGM_RSRC2:TRAP_HANDLER: 0
; COMPUTE_PGM_RSRC2:TGID_X_EN: 1
; COMPUTE_PGM_RSRC2:TGID_Y_EN: 0
; COMPUTE_PGM_RSRC2:TGID_Z_EN: 1
; COMPUTE_PGM_RSRC2:TIDIG_COMP_CNT: 0
	.section	.text._ZL24rocblas_dot_kernel_magsqIiLb0ELi512ELi8ELb0EDF16_PKPKDF16_fEviT5_lT_liPT6_PT4_,"axG",@progbits,_ZL24rocblas_dot_kernel_magsqIiLb0ELi512ELi8ELb0EDF16_PKPKDF16_fEviT5_lT_liPT6_PT4_,comdat
	.globl	_ZL24rocblas_dot_kernel_magsqIiLb0ELi512ELi8ELb0EDF16_PKPKDF16_fEviT5_lT_liPT6_PT4_ ; -- Begin function _ZL24rocblas_dot_kernel_magsqIiLb0ELi512ELi8ELb0EDF16_PKPKDF16_fEviT5_lT_liPT6_PT4_
	.p2align	8
	.type	_ZL24rocblas_dot_kernel_magsqIiLb0ELi512ELi8ELb0EDF16_PKPKDF16_fEviT5_lT_liPT6_PT4_,@function
_ZL24rocblas_dot_kernel_magsqIiLb0ELi512ELi8ELb0EDF16_PKPKDF16_fEviT5_lT_liPT6_PT4_: ; @_ZL24rocblas_dot_kernel_magsqIiLb0ELi512ELi8ELb0EDF16_PKPKDF16_fEviT5_lT_liPT6_PT4_
; %bb.0:
	s_mov_b32 s2, s7
	s_load_dword s7, s[4:5], 0x0
	s_load_dwordx4 s[8:11], s[4:5], 0x30
	s_load_dword s16, s[4:5], 0x40
	v_lshl_or_b32 v1, s6, 9, v0
	s_mov_b32 s3, 0
	s_waitcnt lgkmcnt(0)
	v_cmp_gt_i32_e32 vcc, s7, v1
	v_mov_b32_e32 v3, 0
	s_and_saveexec_b64 s[12:13], vcc
	s_cbranch_execz .LBB155_4
; %bb.1:
	s_load_dwordx4 s[20:23], s[4:5], 0x8
	s_load_dword s14, s[4:5], 0x18
	s_lshl_b64 s[0:1], s[2:3], 3
	s_waitcnt lgkmcnt(0)
	s_add_u32 s0, s20, s0
	s_addc_u32 s1, s21, s1
	s_load_dwordx2 s[0:1], s[0:1], 0x0
	v_mad_i64_i32 v[2:3], s[4:5], s14, v1, 0
	s_lshl_b32 s17, s16, 9
	s_lshl_b64 s[4:5], s[22:23], 1
	v_add_u32_e32 v4, s17, v1
	v_lshlrev_b64 v[1:2], 1, v[2:3]
	s_waitcnt lgkmcnt(0)
	s_add_u32 s0, s0, s4
	s_addc_u32 s1, s1, s5
	v_mov_b32_e32 v3, s1
	v_add_co_u32_e32 v1, vcc, s0, v1
	s_mul_hi_i32 s1, s14, s17
	s_mul_i32 s0, s14, s17
	s_lshl_b64 s[4:5], s[0:1], 1
	v_addc_co_u32_e32 v2, vcc, v3, v2, vcc
	v_mov_b32_e32 v3, 0
	s_mov_b64 s[14:15], 0
	v_mov_b32_e32 v5, s5
	s_mov_b32 s5, s3
.LBB155_2:                              ; =>This Inner Loop Header: Depth=1
	flat_load_ushort v6, v[1:2]
	s_add_i32 s18, s5, 1
	v_add_co_u32_e64 v1, s[0:1], s4, v1
	v_addc_co_u32_e64 v2, s[0:1], v2, v5, s[0:1]
	s_cmp_gt_u32 s5, 6
	v_cmp_le_i32_e32 vcc, s7, v4
	s_cselect_b64 s[0:1], -1, 0
	s_or_b64 s[0:1], s[0:1], vcc
	s_and_b64 s[0:1], exec, s[0:1]
	v_add_u32_e32 v4, s17, v4
	s_mov_b32 s5, s18
	s_or_b64 s[14:15], s[0:1], s[14:15]
	s_waitcnt vmcnt(0) lgkmcnt(0)
	v_fma_mix_f32 v3, v6, v6, v3 op_sel_hi:[1,1,0]
	s_andn2_b64 exec, exec, s[14:15]
	s_cbranch_execnz .LBB155_2
; %bb.3:
	s_or_b64 exec, exec, s[14:15]
.LBB155_4:
	s_or_b64 exec, exec, s[12:13]
	v_and_b32_e32 v2, 63, v0
	v_cmp_gt_u32_e32 vcc, 64, v0
	v_lshlrev_b32_e32 v1, 2, v2
	s_and_saveexec_b64 s[0:1], vcc
; %bb.5:
	v_mov_b32_e32 v4, 0
	ds_write_b32 v1, v4
; %bb.6:
	s_or_b64 exec, exec, s[0:1]
	v_mbcnt_lo_u32_b32 v4, -1, 0
	v_mbcnt_hi_u32_b32 v5, -1, v4
	v_mov_b32_e32 v4, 0x80
	v_lshl_or_b32 v4, v5, 2, v4
	ds_bpermute_b32 v4, v4, v3
	v_and_b32_e32 v6, 63, v5
	v_cmp_gt_u32_e64 s[0:1], 48, v6
	v_cndmask_b32_e64 v7, 0, 16, s[0:1]
	v_cmp_gt_u32_e64 s[0:1], 56, v6
	s_waitcnt lgkmcnt(0)
	v_add_f32_e32 v3, v3, v4
	v_add_lshl_u32 v4, v7, v5, 2
	ds_bpermute_b32 v4, v4, v3
	v_cndmask_b32_e64 v7, 0, 8, s[0:1]
	v_add_lshl_u32 v7, v7, v5, 2
	v_cmp_gt_u32_e64 s[0:1], 60, v6
	s_waitcnt lgkmcnt(0)
	v_add_f32_e32 v4, v3, v4
	ds_bpermute_b32 v7, v7, v4
	v_cndmask_b32_e64 v3, 0, 4, s[0:1]
	v_add_lshl_u32 v3, v3, v5, 2
	v_cmp_gt_u32_e64 s[0:1], 62, v6
	s_waitcnt lgkmcnt(0)
	s_barrier
	v_add_f32_e32 v7, v4, v7
	ds_bpermute_b32 v8, v3, v7
	v_cndmask_b32_e64 v4, 0, 2, s[0:1]
	v_add_lshl_u32 v4, v4, v5, 2
	v_cmp_ne_u32_e64 s[0:1], 63, v6
	v_addc_co_u32_e64 v5, s[0:1], 0, v5, s[0:1]
	s_waitcnt lgkmcnt(0)
	v_add_f32_e32 v7, v7, v8
	ds_bpermute_b32 v8, v4, v7
	v_lshlrev_b32_e32 v5, 2, v5
	v_cmp_eq_u32_e64 s[0:1], 0, v2
	s_waitcnt lgkmcnt(0)
	v_add_f32_e32 v6, v7, v8
	ds_bpermute_b32 v7, v5, v6
	s_and_saveexec_b64 s[4:5], s[0:1]
	s_cbranch_execz .LBB155_8
; %bb.7:
	s_waitcnt lgkmcnt(0)
	v_add_f32_e32 v2, v6, v7
	v_lshrrev_b32_e32 v6, 4, v0
	v_and_b32_e32 v6, 28, v6
	ds_write_b32 v6, v2
.LBB155_8:
	s_or_b64 exec, exec, s[4:5]
	v_cmp_gt_u32_e64 s[0:1], 8, v0
	v_mov_b32_e32 v2, 0
	s_waitcnt lgkmcnt(0)
	s_barrier
	s_and_saveexec_b64 s[4:5], s[0:1]
	s_cbranch_execnz .LBB155_12
; %bb.9:
	s_or_b64 exec, exec, s[4:5]
	s_and_saveexec_b64 s[0:1], vcc
	s_cbranch_execnz .LBB155_13
.LBB155_10:
	s_or_b64 exec, exec, s[0:1]
	v_cmp_eq_u32_e32 vcc, 0, v0
	s_and_saveexec_b64 s[0:1], vcc
	s_cbranch_execnz .LBB155_14
.LBB155_11:
	s_endpgm
.LBB155_12:
	ds_read_b32 v2, v1
	s_or_b64 exec, exec, s[4:5]
	s_and_saveexec_b64 s[0:1], vcc
	s_cbranch_execz .LBB155_10
.LBB155_13:
	s_waitcnt lgkmcnt(0)
	ds_bpermute_b32 v1, v3, v2
	s_waitcnt lgkmcnt(0)
	v_add_f32_e32 v1, v2, v1
	ds_bpermute_b32 v2, v4, v1
	s_waitcnt lgkmcnt(0)
	v_add_f32_e32 v1, v1, v2
	;; [unrolled: 3-line block ×3, first 2 shown]
	s_or_b64 exec, exec, s[0:1]
	v_cmp_eq_u32_e32 vcc, 0, v0
	s_and_saveexec_b64 s[0:1], vcc
	s_cbranch_execz .LBB155_11
.LBB155_14:
	s_cmp_lg_u32 s16, 1
	s_mov_b64 s[0:1], -1
	s_cbranch_scc0 .LBB155_16
; %bb.15:
	s_mul_hi_u32 s1, s16, s2
	s_mul_i32 s0, s16, s2
	s_lshl_b64 s[0:1], s[0:1], 2
	s_mov_b32 s7, 0
	s_add_u32 s4, s8, s0
	s_addc_u32 s5, s9, s1
	s_lshl_b64 s[0:1], s[6:7], 2
	s_add_u32 s0, s4, s0
	s_addc_u32 s1, s5, s1
	v_mov_b32_e32 v0, 0
	s_waitcnt lgkmcnt(0)
	global_store_dword v0, v2, s[0:1]
	s_mov_b64 s[0:1], 0
.LBB155_16:
	s_andn2_b64 vcc, exec, s[0:1]
	s_cbranch_vccnz .LBB155_11
; %bb.17:
	s_waitcnt lgkmcnt(0)
	v_cvt_f16_f32_e32 v0, v2
	s_lshl_b64 s[0:1], s[2:3], 1
	s_add_u32 s0, s10, s0
	s_addc_u32 s1, s11, s1
	v_mov_b32_e32 v1, 0
	global_store_short v1, v0, s[0:1]
	s_endpgm
	.section	.rodata,"a",@progbits
	.p2align	6, 0x0
	.amdhsa_kernel _ZL24rocblas_dot_kernel_magsqIiLb0ELi512ELi8ELb0EDF16_PKPKDF16_fEviT5_lT_liPT6_PT4_
		.amdhsa_group_segment_fixed_size 256
		.amdhsa_private_segment_fixed_size 0
		.amdhsa_kernarg_size 320
		.amdhsa_user_sgpr_count 6
		.amdhsa_user_sgpr_private_segment_buffer 1
		.amdhsa_user_sgpr_dispatch_ptr 0
		.amdhsa_user_sgpr_queue_ptr 0
		.amdhsa_user_sgpr_kernarg_segment_ptr 1
		.amdhsa_user_sgpr_dispatch_id 0
		.amdhsa_user_sgpr_flat_scratch_init 0
		.amdhsa_user_sgpr_private_segment_size 0
		.amdhsa_uses_dynamic_stack 0
		.amdhsa_system_sgpr_private_segment_wavefront_offset 0
		.amdhsa_system_sgpr_workgroup_id_x 1
		.amdhsa_system_sgpr_workgroup_id_y 0
		.amdhsa_system_sgpr_workgroup_id_z 1
		.amdhsa_system_sgpr_workgroup_info 0
		.amdhsa_system_vgpr_workitem_id 0
		.amdhsa_next_free_vgpr 9
		.amdhsa_next_free_sgpr 24
		.amdhsa_reserve_vcc 1
		.amdhsa_reserve_flat_scratch 0
		.amdhsa_float_round_mode_32 0
		.amdhsa_float_round_mode_16_64 0
		.amdhsa_float_denorm_mode_32 3
		.amdhsa_float_denorm_mode_16_64 3
		.amdhsa_dx10_clamp 1
		.amdhsa_ieee_mode 1
		.amdhsa_fp16_overflow 0
		.amdhsa_exception_fp_ieee_invalid_op 0
		.amdhsa_exception_fp_denorm_src 0
		.amdhsa_exception_fp_ieee_div_zero 0
		.amdhsa_exception_fp_ieee_overflow 0
		.amdhsa_exception_fp_ieee_underflow 0
		.amdhsa_exception_fp_ieee_inexact 0
		.amdhsa_exception_int_div_zero 0
	.end_amdhsa_kernel
	.section	.text._ZL24rocblas_dot_kernel_magsqIiLb0ELi512ELi8ELb0EDF16_PKPKDF16_fEviT5_lT_liPT6_PT4_,"axG",@progbits,_ZL24rocblas_dot_kernel_magsqIiLb0ELi512ELi8ELb0EDF16_PKPKDF16_fEviT5_lT_liPT6_PT4_,comdat
.Lfunc_end155:
	.size	_ZL24rocblas_dot_kernel_magsqIiLb0ELi512ELi8ELb0EDF16_PKPKDF16_fEviT5_lT_liPT6_PT4_, .Lfunc_end155-_ZL24rocblas_dot_kernel_magsqIiLb0ELi512ELi8ELb0EDF16_PKPKDF16_fEviT5_lT_liPT6_PT4_
                                        ; -- End function
	.set _ZL24rocblas_dot_kernel_magsqIiLb0ELi512ELi8ELb0EDF16_PKPKDF16_fEviT5_lT_liPT6_PT4_.num_vgpr, 9
	.set _ZL24rocblas_dot_kernel_magsqIiLb0ELi512ELi8ELb0EDF16_PKPKDF16_fEviT5_lT_liPT6_PT4_.num_agpr, 0
	.set _ZL24rocblas_dot_kernel_magsqIiLb0ELi512ELi8ELb0EDF16_PKPKDF16_fEviT5_lT_liPT6_PT4_.numbered_sgpr, 24
	.set _ZL24rocblas_dot_kernel_magsqIiLb0ELi512ELi8ELb0EDF16_PKPKDF16_fEviT5_lT_liPT6_PT4_.num_named_barrier, 0
	.set _ZL24rocblas_dot_kernel_magsqIiLb0ELi512ELi8ELb0EDF16_PKPKDF16_fEviT5_lT_liPT6_PT4_.private_seg_size, 0
	.set _ZL24rocblas_dot_kernel_magsqIiLb0ELi512ELi8ELb0EDF16_PKPKDF16_fEviT5_lT_liPT6_PT4_.uses_vcc, 1
	.set _ZL24rocblas_dot_kernel_magsqIiLb0ELi512ELi8ELb0EDF16_PKPKDF16_fEviT5_lT_liPT6_PT4_.uses_flat_scratch, 0
	.set _ZL24rocblas_dot_kernel_magsqIiLb0ELi512ELi8ELb0EDF16_PKPKDF16_fEviT5_lT_liPT6_PT4_.has_dyn_sized_stack, 0
	.set _ZL24rocblas_dot_kernel_magsqIiLb0ELi512ELi8ELb0EDF16_PKPKDF16_fEviT5_lT_liPT6_PT4_.has_recursion, 0
	.set _ZL24rocblas_dot_kernel_magsqIiLb0ELi512ELi8ELb0EDF16_PKPKDF16_fEviT5_lT_liPT6_PT4_.has_indirect_call, 0
	.section	.AMDGPU.csdata,"",@progbits
; Kernel info:
; codeLenInByte = 848
; TotalNumSgprs: 28
; NumVgprs: 9
; ScratchSize: 0
; MemoryBound: 0
; FloatMode: 240
; IeeeMode: 1
; LDSByteSize: 256 bytes/workgroup (compile time only)
; SGPRBlocks: 3
; VGPRBlocks: 2
; NumSGPRsForWavesPerEU: 28
; NumVGPRsForWavesPerEU: 9
; Occupancy: 10
; WaveLimiterHint : 0
; COMPUTE_PGM_RSRC2:SCRATCH_EN: 0
; COMPUTE_PGM_RSRC2:USER_SGPR: 6
; COMPUTE_PGM_RSRC2:TRAP_HANDLER: 0
; COMPUTE_PGM_RSRC2:TGID_X_EN: 1
; COMPUTE_PGM_RSRC2:TGID_Y_EN: 0
; COMPUTE_PGM_RSRC2:TGID_Z_EN: 1
; COMPUTE_PGM_RSRC2:TIDIG_COMP_CNT: 0
	.section	.text._ZL28rocblas_dot_batched_4_kernelIiLi32ELi4ELb1EfDF16_PKDF16_EviT5_lT_lS2_lS3_liPT4_,"axG",@progbits,_ZL28rocblas_dot_batched_4_kernelIiLi32ELi4ELb1EfDF16_PKDF16_EviT5_lT_lS2_lS3_liPT4_,comdat
	.globl	_ZL28rocblas_dot_batched_4_kernelIiLi32ELi4ELb1EfDF16_PKDF16_EviT5_lT_lS2_lS3_liPT4_ ; -- Begin function _ZL28rocblas_dot_batched_4_kernelIiLi32ELi4ELb1EfDF16_PKDF16_EviT5_lT_lS2_lS3_liPT4_
	.p2align	8
	.type	_ZL28rocblas_dot_batched_4_kernelIiLi32ELi4ELb1EfDF16_PKDF16_EviT5_lT_lS2_lS3_liPT4_,@function
_ZL28rocblas_dot_batched_4_kernelIiLi32ELi4ELb1EfDF16_PKDF16_EviT5_lT_lS2_lS3_liPT4_: ; @_ZL28rocblas_dot_batched_4_kernelIiLi32ELi4ELb1EfDF16_PKDF16_EviT5_lT_lS2_lS3_liPT4_
; %bb.0:
	s_load_dword s0, s[4:5], 0x48
	v_lshl_add_u32 v1, s6, 2, v1
	s_waitcnt lgkmcnt(0)
	v_cmp_gt_u32_e32 vcc, s0, v1
	s_and_saveexec_b64 s[0:1], vcc
	s_cbranch_execz .LBB156_7
; %bb.1:
	s_load_dword s12, s[4:5], 0x0
	s_load_dwordx2 s[6:7], s[4:5], 0x50
	v_mov_b32_e32 v2, 0
	v_mov_b32_e32 v7, v2
	s_waitcnt lgkmcnt(0)
	v_cmp_gt_i32_e32 vcc, s12, v0
	s_and_saveexec_b64 s[8:9], vcc
	s_cbranch_execz .LBB156_5
; %bb.2:
	s_load_dwordx4 s[0:3], s[4:5], 0x20
	s_load_dwordx4 s[16:19], s[4:5], 0x8
	s_load_dword s10, s[4:5], 0x18
	s_load_dwordx2 s[14:15], s[4:5], 0x30
	s_waitcnt lgkmcnt(0)
	v_mad_u64_u32 v[3:4], s[20:21], s0, v1, 0
	s_load_dword s0, s[4:5], 0x38
	s_load_dwordx2 s[20:21], s[4:5], 0x40
	v_mad_i64_i32 v[5:6], s[4:5], s10, v0, 0
	s_ashr_i32 s11, s10, 31
	v_mad_u64_u32 v[7:8], s[4:5], s1, v1, v[4:5]
	v_lshlrev_b64 v[5:6], 1, v[5:6]
	s_waitcnt lgkmcnt(0)
	s_ashr_i32 s1, s0, 31
	v_mov_b32_e32 v4, v7
	v_lshlrev_b64 v[3:4], 1, v[3:4]
	s_lshl_b64 s[4:5], s[18:19], 1
	v_add_co_u32_e32 v11, vcc, v5, v3
	s_add_u32 s13, s16, s4
	v_addc_co_u32_e32 v4, vcc, v6, v4, vcc
	s_addc_u32 s16, s17, s5
	v_mad_u64_u32 v[5:6], s[4:5], s20, v1, 0
	v_mad_i64_i32 v[7:8], s[4:5], s0, v0, 0
	v_mov_b32_e32 v3, v6
	v_mad_u64_u32 v[9:10], s[4:5], s21, v1, v[3:4]
	v_mov_b32_e32 v12, s16
	v_add_co_u32_e32 v3, vcc, s13, v11
	v_mov_b32_e32 v6, v9
	v_lshlrev_b64 v[7:8], 1, v[7:8]
	v_lshlrev_b64 v[5:6], 1, v[5:6]
	v_addc_co_u32_e32 v4, vcc, v12, v4, vcc
	s_lshl_b64 s[4:5], s[10:11], 6
	s_lshl_b64 s[10:11], s[14:15], 1
	v_add_co_u32_e32 v5, vcc, v7, v5
	s_add_u32 s2, s2, s10
	v_addc_co_u32_e32 v6, vcc, v8, v6, vcc
	s_addc_u32 s3, s3, s11
	v_mov_b32_e32 v7, s3
	v_add_co_u32_e32 v5, vcc, s2, v5
	v_addc_co_u32_e32 v6, vcc, v7, v6, vcc
	s_lshl_b64 s[2:3], s[0:1], 6
	v_mov_b32_e32 v7, 0
	s_mov_b64 s[10:11], 0
	v_mov_b32_e32 v8, v0
.LBB156_3:                              ; =>This Inner Loop Header: Depth=1
	global_load_ushort v9, v[3:4], off
	global_load_ushort v10, v[5:6], off
	v_mov_b32_e32 v12, s3
	v_add_co_u32_e32 v5, vcc, s2, v5
	v_add_u32_e32 v8, 32, v8
	v_addc_co_u32_e32 v6, vcc, v6, v12, vcc
	v_mov_b32_e32 v11, s5
	v_add_co_u32_e64 v3, s[0:1], s4, v3
	v_cmp_le_i32_e32 vcc, s12, v8
	v_addc_co_u32_e64 v4, s[0:1], v4, v11, s[0:1]
	s_or_b64 s[10:11], vcc, s[10:11]
	s_waitcnt vmcnt(0)
	v_fma_mix_f32 v7, v9, v10, v7 op_sel_hi:[1,1,0]
	s_andn2_b64 exec, exec, s[10:11]
	s_cbranch_execnz .LBB156_3
; %bb.4:
	s_or_b64 exec, exec, s[10:11]
.LBB156_5:
	s_or_b64 exec, exec, s[8:9]
	v_mbcnt_lo_u32_b32 v3, -1, 0
	v_mbcnt_hi_u32_b32 v3, -1, v3
	v_and_b32_e32 v4, 63, v3
	v_cmp_gt_u32_e32 vcc, 48, v4
	v_cndmask_b32_e64 v5, 0, 16, vcc
	v_add_lshl_u32 v5, v5, v3, 2
	ds_bpermute_b32 v5, v5, v7
	v_cmp_gt_u32_e32 vcc, 56, v4
	v_cndmask_b32_e64 v6, 0, 8, vcc
	v_add_lshl_u32 v6, v6, v3, 2
	v_cmp_gt_u32_e32 vcc, 60, v4
	s_waitcnt lgkmcnt(0)
	v_add_f32_e32 v5, v7, v5
	ds_bpermute_b32 v6, v6, v5
	v_cndmask_b32_e64 v7, 0, 4, vcc
	v_add_lshl_u32 v7, v7, v3, 2
	v_cmp_gt_u32_e32 vcc, 62, v4
	s_waitcnt lgkmcnt(0)
	v_add_f32_e32 v5, v5, v6
	ds_bpermute_b32 v6, v7, v5
	v_cndmask_b32_e64 v7, 0, 2, vcc
	v_add_lshl_u32 v7, v7, v3, 2
	v_cmp_ne_u32_e32 vcc, 63, v4
	v_addc_co_u32_e32 v4, vcc, 0, v3, vcc
	s_waitcnt lgkmcnt(0)
	v_add_f32_e32 v5, v5, v6
	ds_bpermute_b32 v6, v7, v5
	v_lshlrev_b32_e32 v4, 2, v4
	v_cmp_eq_u32_e32 vcc, 0, v0
	s_waitcnt lgkmcnt(0)
	s_barrier
	v_add_f32_e32 v3, v5, v6
	ds_bpermute_b32 v4, v4, v3
	s_and_b64 exec, exec, vcc
	s_cbranch_execz .LBB156_7
; %bb.6:
	s_waitcnt lgkmcnt(0)
	v_add_f32_e32 v3, v3, v4
	v_lshlrev_b64 v[0:1], 1, v[1:2]
	v_cvt_f16_f32_e32 v3, v3
	v_mov_b32_e32 v2, s7
	v_add_co_u32_e32 v0, vcc, s6, v0
	v_addc_co_u32_e32 v1, vcc, v2, v1, vcc
	global_store_short v[0:1], v3, off
.LBB156_7:
	s_endpgm
	.section	.rodata,"a",@progbits
	.p2align	6, 0x0
	.amdhsa_kernel _ZL28rocblas_dot_batched_4_kernelIiLi32ELi4ELb1EfDF16_PKDF16_EviT5_lT_lS2_lS3_liPT4_
		.amdhsa_group_segment_fixed_size 0
		.amdhsa_private_segment_fixed_size 0
		.amdhsa_kernarg_size 88
		.amdhsa_user_sgpr_count 6
		.amdhsa_user_sgpr_private_segment_buffer 1
		.amdhsa_user_sgpr_dispatch_ptr 0
		.amdhsa_user_sgpr_queue_ptr 0
		.amdhsa_user_sgpr_kernarg_segment_ptr 1
		.amdhsa_user_sgpr_dispatch_id 0
		.amdhsa_user_sgpr_flat_scratch_init 0
		.amdhsa_user_sgpr_private_segment_size 0
		.amdhsa_uses_dynamic_stack 0
		.amdhsa_system_sgpr_private_segment_wavefront_offset 0
		.amdhsa_system_sgpr_workgroup_id_x 1
		.amdhsa_system_sgpr_workgroup_id_y 0
		.amdhsa_system_sgpr_workgroup_id_z 0
		.amdhsa_system_sgpr_workgroup_info 0
		.amdhsa_system_vgpr_workitem_id 1
		.amdhsa_next_free_vgpr 13
		.amdhsa_next_free_sgpr 22
		.amdhsa_reserve_vcc 1
		.amdhsa_reserve_flat_scratch 0
		.amdhsa_float_round_mode_32 0
		.amdhsa_float_round_mode_16_64 0
		.amdhsa_float_denorm_mode_32 3
		.amdhsa_float_denorm_mode_16_64 3
		.amdhsa_dx10_clamp 1
		.amdhsa_ieee_mode 1
		.amdhsa_fp16_overflow 0
		.amdhsa_exception_fp_ieee_invalid_op 0
		.amdhsa_exception_fp_denorm_src 0
		.amdhsa_exception_fp_ieee_div_zero 0
		.amdhsa_exception_fp_ieee_overflow 0
		.amdhsa_exception_fp_ieee_underflow 0
		.amdhsa_exception_fp_ieee_inexact 0
		.amdhsa_exception_int_div_zero 0
	.end_amdhsa_kernel
	.section	.text._ZL28rocblas_dot_batched_4_kernelIiLi32ELi4ELb1EfDF16_PKDF16_EviT5_lT_lS2_lS3_liPT4_,"axG",@progbits,_ZL28rocblas_dot_batched_4_kernelIiLi32ELi4ELb1EfDF16_PKDF16_EviT5_lT_lS2_lS3_liPT4_,comdat
.Lfunc_end156:
	.size	_ZL28rocblas_dot_batched_4_kernelIiLi32ELi4ELb1EfDF16_PKDF16_EviT5_lT_lS2_lS3_liPT4_, .Lfunc_end156-_ZL28rocblas_dot_batched_4_kernelIiLi32ELi4ELb1EfDF16_PKDF16_EviT5_lT_lS2_lS3_liPT4_
                                        ; -- End function
	.set _ZL28rocblas_dot_batched_4_kernelIiLi32ELi4ELb1EfDF16_PKDF16_EviT5_lT_lS2_lS3_liPT4_.num_vgpr, 13
	.set _ZL28rocblas_dot_batched_4_kernelIiLi32ELi4ELb1EfDF16_PKDF16_EviT5_lT_lS2_lS3_liPT4_.num_agpr, 0
	.set _ZL28rocblas_dot_batched_4_kernelIiLi32ELi4ELb1EfDF16_PKDF16_EviT5_lT_lS2_lS3_liPT4_.numbered_sgpr, 22
	.set _ZL28rocblas_dot_batched_4_kernelIiLi32ELi4ELb1EfDF16_PKDF16_EviT5_lT_lS2_lS3_liPT4_.num_named_barrier, 0
	.set _ZL28rocblas_dot_batched_4_kernelIiLi32ELi4ELb1EfDF16_PKDF16_EviT5_lT_lS2_lS3_liPT4_.private_seg_size, 0
	.set _ZL28rocblas_dot_batched_4_kernelIiLi32ELi4ELb1EfDF16_PKDF16_EviT5_lT_lS2_lS3_liPT4_.uses_vcc, 1
	.set _ZL28rocblas_dot_batched_4_kernelIiLi32ELi4ELb1EfDF16_PKDF16_EviT5_lT_lS2_lS3_liPT4_.uses_flat_scratch, 0
	.set _ZL28rocblas_dot_batched_4_kernelIiLi32ELi4ELb1EfDF16_PKDF16_EviT5_lT_lS2_lS3_liPT4_.has_dyn_sized_stack, 0
	.set _ZL28rocblas_dot_batched_4_kernelIiLi32ELi4ELb1EfDF16_PKDF16_EviT5_lT_lS2_lS3_liPT4_.has_recursion, 0
	.set _ZL28rocblas_dot_batched_4_kernelIiLi32ELi4ELb1EfDF16_PKDF16_EviT5_lT_lS2_lS3_liPT4_.has_indirect_call, 0
	.section	.AMDGPU.csdata,"",@progbits
; Kernel info:
; codeLenInByte = 644
; TotalNumSgprs: 26
; NumVgprs: 13
; ScratchSize: 0
; MemoryBound: 0
; FloatMode: 240
; IeeeMode: 1
; LDSByteSize: 0 bytes/workgroup (compile time only)
; SGPRBlocks: 3
; VGPRBlocks: 3
; NumSGPRsForWavesPerEU: 26
; NumVGPRsForWavesPerEU: 13
; Occupancy: 10
; WaveLimiterHint : 0
; COMPUTE_PGM_RSRC2:SCRATCH_EN: 0
; COMPUTE_PGM_RSRC2:USER_SGPR: 6
; COMPUTE_PGM_RSRC2:TRAP_HANDLER: 0
; COMPUTE_PGM_RSRC2:TGID_X_EN: 1
; COMPUTE_PGM_RSRC2:TGID_Y_EN: 0
; COMPUTE_PGM_RSRC2:TGID_Z_EN: 0
; COMPUTE_PGM_RSRC2:TIDIG_COMP_CNT: 1
	.section	.text._ZL28rocblas_dot_batched_4_kernelIiLi64ELi4ELb1EfDF16_PKDF16_EviT5_lT_lS2_lS3_liPT4_,"axG",@progbits,_ZL28rocblas_dot_batched_4_kernelIiLi64ELi4ELb1EfDF16_PKDF16_EviT5_lT_lS2_lS3_liPT4_,comdat
	.globl	_ZL28rocblas_dot_batched_4_kernelIiLi64ELi4ELb1EfDF16_PKDF16_EviT5_lT_lS2_lS3_liPT4_ ; -- Begin function _ZL28rocblas_dot_batched_4_kernelIiLi64ELi4ELb1EfDF16_PKDF16_EviT5_lT_lS2_lS3_liPT4_
	.p2align	8
	.type	_ZL28rocblas_dot_batched_4_kernelIiLi64ELi4ELb1EfDF16_PKDF16_EviT5_lT_lS2_lS3_liPT4_,@function
_ZL28rocblas_dot_batched_4_kernelIiLi64ELi4ELb1EfDF16_PKDF16_EviT5_lT_lS2_lS3_liPT4_: ; @_ZL28rocblas_dot_batched_4_kernelIiLi64ELi4ELb1EfDF16_PKDF16_EviT5_lT_lS2_lS3_liPT4_
; %bb.0:
	s_load_dword s0, s[4:5], 0x48
	v_lshl_add_u32 v1, s6, 2, v1
	s_waitcnt lgkmcnt(0)
	v_cmp_gt_u32_e32 vcc, s0, v1
	s_and_saveexec_b64 s[0:1], vcc
	s_cbranch_execz .LBB157_7
; %bb.1:
	s_load_dword s12, s[4:5], 0x0
	s_load_dwordx2 s[6:7], s[4:5], 0x50
	v_mov_b32_e32 v2, 0
	v_mov_b32_e32 v7, v2
	s_waitcnt lgkmcnt(0)
	v_cmp_gt_i32_e32 vcc, s12, v0
	s_and_saveexec_b64 s[8:9], vcc
	s_cbranch_execz .LBB157_5
; %bb.2:
	s_load_dwordx4 s[0:3], s[4:5], 0x20
	s_load_dwordx4 s[16:19], s[4:5], 0x8
	s_load_dword s10, s[4:5], 0x18
	s_load_dwordx2 s[14:15], s[4:5], 0x30
	s_waitcnt lgkmcnt(0)
	v_mad_u64_u32 v[3:4], s[20:21], s0, v1, 0
	s_load_dword s0, s[4:5], 0x38
	s_load_dwordx2 s[20:21], s[4:5], 0x40
	v_mad_i64_i32 v[5:6], s[4:5], s10, v0, 0
	s_ashr_i32 s11, s10, 31
	v_mad_u64_u32 v[7:8], s[4:5], s1, v1, v[4:5]
	v_lshlrev_b64 v[5:6], 1, v[5:6]
	s_waitcnt lgkmcnt(0)
	s_ashr_i32 s1, s0, 31
	v_mov_b32_e32 v4, v7
	v_lshlrev_b64 v[3:4], 1, v[3:4]
	s_lshl_b64 s[4:5], s[18:19], 1
	v_add_co_u32_e32 v11, vcc, v5, v3
	s_add_u32 s13, s16, s4
	v_addc_co_u32_e32 v4, vcc, v6, v4, vcc
	s_addc_u32 s16, s17, s5
	v_mad_u64_u32 v[5:6], s[4:5], s20, v1, 0
	v_mad_i64_i32 v[7:8], s[4:5], s0, v0, 0
	v_mov_b32_e32 v3, v6
	v_mad_u64_u32 v[9:10], s[4:5], s21, v1, v[3:4]
	v_mov_b32_e32 v12, s16
	v_add_co_u32_e32 v3, vcc, s13, v11
	v_mov_b32_e32 v6, v9
	v_lshlrev_b64 v[7:8], 1, v[7:8]
	v_lshlrev_b64 v[5:6], 1, v[5:6]
	v_addc_co_u32_e32 v4, vcc, v12, v4, vcc
	s_lshl_b64 s[4:5], s[10:11], 7
	s_lshl_b64 s[10:11], s[14:15], 1
	v_add_co_u32_e32 v5, vcc, v7, v5
	s_add_u32 s2, s2, s10
	v_addc_co_u32_e32 v6, vcc, v8, v6, vcc
	s_addc_u32 s3, s3, s11
	v_mov_b32_e32 v7, s3
	v_add_co_u32_e32 v5, vcc, s2, v5
	v_addc_co_u32_e32 v6, vcc, v7, v6, vcc
	s_lshl_b64 s[2:3], s[0:1], 7
	v_mov_b32_e32 v7, 0
	s_mov_b64 s[10:11], 0
	v_mov_b32_e32 v8, v0
.LBB157_3:                              ; =>This Inner Loop Header: Depth=1
	global_load_ushort v9, v[3:4], off
	global_load_ushort v10, v[5:6], off
	v_mov_b32_e32 v12, s3
	v_add_co_u32_e32 v5, vcc, s2, v5
	v_add_u32_e32 v8, 64, v8
	v_addc_co_u32_e32 v6, vcc, v6, v12, vcc
	v_mov_b32_e32 v11, s5
	v_add_co_u32_e64 v3, s[0:1], s4, v3
	v_cmp_le_i32_e32 vcc, s12, v8
	v_addc_co_u32_e64 v4, s[0:1], v4, v11, s[0:1]
	s_or_b64 s[10:11], vcc, s[10:11]
	s_waitcnt vmcnt(0)
	v_fma_mix_f32 v7, v9, v10, v7 op_sel_hi:[1,1,0]
	s_andn2_b64 exec, exec, s[10:11]
	s_cbranch_execnz .LBB157_3
; %bb.4:
	s_or_b64 exec, exec, s[10:11]
.LBB157_5:
	s_or_b64 exec, exec, s[8:9]
	v_mbcnt_lo_u32_b32 v3, -1, 0
	v_mbcnt_hi_u32_b32 v3, -1, v3
	v_mov_b32_e32 v4, 0x80
	v_lshl_or_b32 v4, v3, 2, v4
	ds_bpermute_b32 v4, v4, v7
	v_and_b32_e32 v5, 63, v3
	v_cmp_gt_u32_e32 vcc, 48, v5
	v_cndmask_b32_e64 v6, 0, 16, vcc
	v_add_lshl_u32 v6, v6, v3, 2
	s_waitcnt lgkmcnt(0)
	v_add_f32_e32 v4, v7, v4
	ds_bpermute_b32 v6, v6, v4
	v_cmp_gt_u32_e32 vcc, 56, v5
	v_cndmask_b32_e64 v7, 0, 8, vcc
	v_add_lshl_u32 v7, v7, v3, 2
	v_cmp_gt_u32_e32 vcc, 60, v5
	s_waitcnt lgkmcnt(0)
	v_add_f32_e32 v4, v4, v6
	ds_bpermute_b32 v6, v7, v4
	v_cndmask_b32_e64 v7, 0, 4, vcc
	v_add_lshl_u32 v7, v7, v3, 2
	v_cmp_gt_u32_e32 vcc, 62, v5
	s_waitcnt lgkmcnt(0)
	v_add_f32_e32 v4, v4, v6
	ds_bpermute_b32 v6, v7, v4
	v_cndmask_b32_e64 v7, 0, 2, vcc
	v_add_lshl_u32 v7, v7, v3, 2
	v_cmp_ne_u32_e32 vcc, 63, v5
	v_addc_co_u32_e32 v5, vcc, 0, v3, vcc
	s_waitcnt lgkmcnt(0)
	v_add_f32_e32 v4, v4, v6
	ds_bpermute_b32 v6, v7, v4
	v_cmp_eq_u32_e32 vcc, 0, v0
	s_waitcnt lgkmcnt(0)
	s_barrier
	v_add_f32_e32 v3, v4, v6
	v_lshlrev_b32_e32 v4, 2, v5
	ds_bpermute_b32 v4, v4, v3
	s_and_b64 exec, exec, vcc
	s_cbranch_execz .LBB157_7
; %bb.6:
	s_waitcnt lgkmcnt(0)
	v_add_f32_e32 v3, v3, v4
	v_lshlrev_b64 v[0:1], 1, v[1:2]
	v_cvt_f16_f32_e32 v3, v3
	v_mov_b32_e32 v2, s7
	v_add_co_u32_e32 v0, vcc, s6, v0
	v_addc_co_u32_e32 v1, vcc, v2, v1, vcc
	global_store_short v[0:1], v3, off
.LBB157_7:
	s_endpgm
	.section	.rodata,"a",@progbits
	.p2align	6, 0x0
	.amdhsa_kernel _ZL28rocblas_dot_batched_4_kernelIiLi64ELi4ELb1EfDF16_PKDF16_EviT5_lT_lS2_lS3_liPT4_
		.amdhsa_group_segment_fixed_size 0
		.amdhsa_private_segment_fixed_size 0
		.amdhsa_kernarg_size 88
		.amdhsa_user_sgpr_count 6
		.amdhsa_user_sgpr_private_segment_buffer 1
		.amdhsa_user_sgpr_dispatch_ptr 0
		.amdhsa_user_sgpr_queue_ptr 0
		.amdhsa_user_sgpr_kernarg_segment_ptr 1
		.amdhsa_user_sgpr_dispatch_id 0
		.amdhsa_user_sgpr_flat_scratch_init 0
		.amdhsa_user_sgpr_private_segment_size 0
		.amdhsa_uses_dynamic_stack 0
		.amdhsa_system_sgpr_private_segment_wavefront_offset 0
		.amdhsa_system_sgpr_workgroup_id_x 1
		.amdhsa_system_sgpr_workgroup_id_y 0
		.amdhsa_system_sgpr_workgroup_id_z 0
		.amdhsa_system_sgpr_workgroup_info 0
		.amdhsa_system_vgpr_workitem_id 1
		.amdhsa_next_free_vgpr 13
		.amdhsa_next_free_sgpr 22
		.amdhsa_reserve_vcc 1
		.amdhsa_reserve_flat_scratch 0
		.amdhsa_float_round_mode_32 0
		.amdhsa_float_round_mode_16_64 0
		.amdhsa_float_denorm_mode_32 3
		.amdhsa_float_denorm_mode_16_64 3
		.amdhsa_dx10_clamp 1
		.amdhsa_ieee_mode 1
		.amdhsa_fp16_overflow 0
		.amdhsa_exception_fp_ieee_invalid_op 0
		.amdhsa_exception_fp_denorm_src 0
		.amdhsa_exception_fp_ieee_div_zero 0
		.amdhsa_exception_fp_ieee_overflow 0
		.amdhsa_exception_fp_ieee_underflow 0
		.amdhsa_exception_fp_ieee_inexact 0
		.amdhsa_exception_int_div_zero 0
	.end_amdhsa_kernel
	.section	.text._ZL28rocblas_dot_batched_4_kernelIiLi64ELi4ELb1EfDF16_PKDF16_EviT5_lT_lS2_lS3_liPT4_,"axG",@progbits,_ZL28rocblas_dot_batched_4_kernelIiLi64ELi4ELb1EfDF16_PKDF16_EviT5_lT_lS2_lS3_liPT4_,comdat
.Lfunc_end157:
	.size	_ZL28rocblas_dot_batched_4_kernelIiLi64ELi4ELb1EfDF16_PKDF16_EviT5_lT_lS2_lS3_liPT4_, .Lfunc_end157-_ZL28rocblas_dot_batched_4_kernelIiLi64ELi4ELb1EfDF16_PKDF16_EviT5_lT_lS2_lS3_liPT4_
                                        ; -- End function
	.set _ZL28rocblas_dot_batched_4_kernelIiLi64ELi4ELb1EfDF16_PKDF16_EviT5_lT_lS2_lS3_liPT4_.num_vgpr, 13
	.set _ZL28rocblas_dot_batched_4_kernelIiLi64ELi4ELb1EfDF16_PKDF16_EviT5_lT_lS2_lS3_liPT4_.num_agpr, 0
	.set _ZL28rocblas_dot_batched_4_kernelIiLi64ELi4ELb1EfDF16_PKDF16_EviT5_lT_lS2_lS3_liPT4_.numbered_sgpr, 22
	.set _ZL28rocblas_dot_batched_4_kernelIiLi64ELi4ELb1EfDF16_PKDF16_EviT5_lT_lS2_lS3_liPT4_.num_named_barrier, 0
	.set _ZL28rocblas_dot_batched_4_kernelIiLi64ELi4ELb1EfDF16_PKDF16_EviT5_lT_lS2_lS3_liPT4_.private_seg_size, 0
	.set _ZL28rocblas_dot_batched_4_kernelIiLi64ELi4ELb1EfDF16_PKDF16_EviT5_lT_lS2_lS3_liPT4_.uses_vcc, 1
	.set _ZL28rocblas_dot_batched_4_kernelIiLi64ELi4ELb1EfDF16_PKDF16_EviT5_lT_lS2_lS3_liPT4_.uses_flat_scratch, 0
	.set _ZL28rocblas_dot_batched_4_kernelIiLi64ELi4ELb1EfDF16_PKDF16_EviT5_lT_lS2_lS3_liPT4_.has_dyn_sized_stack, 0
	.set _ZL28rocblas_dot_batched_4_kernelIiLi64ELi4ELb1EfDF16_PKDF16_EviT5_lT_lS2_lS3_liPT4_.has_recursion, 0
	.set _ZL28rocblas_dot_batched_4_kernelIiLi64ELi4ELb1EfDF16_PKDF16_EviT5_lT_lS2_lS3_liPT4_.has_indirect_call, 0
	.section	.AMDGPU.csdata,"",@progbits
; Kernel info:
; codeLenInByte = 676
; TotalNumSgprs: 26
; NumVgprs: 13
; ScratchSize: 0
; MemoryBound: 0
; FloatMode: 240
; IeeeMode: 1
; LDSByteSize: 0 bytes/workgroup (compile time only)
; SGPRBlocks: 3
; VGPRBlocks: 3
; NumSGPRsForWavesPerEU: 26
; NumVGPRsForWavesPerEU: 13
; Occupancy: 10
; WaveLimiterHint : 0
; COMPUTE_PGM_RSRC2:SCRATCH_EN: 0
; COMPUTE_PGM_RSRC2:USER_SGPR: 6
; COMPUTE_PGM_RSRC2:TRAP_HANDLER: 0
; COMPUTE_PGM_RSRC2:TGID_X_EN: 1
; COMPUTE_PGM_RSRC2:TGID_Y_EN: 0
; COMPUTE_PGM_RSRC2:TGID_Z_EN: 0
; COMPUTE_PGM_RSRC2:TIDIG_COMP_CNT: 1
	.section	.text._ZL26rocblas_dot_kernel_inc1by2ILb1ELi1024ELi32ELb1EDF16_PKDF16_fEviT4_llS2_lliPT5_PT3_,"axG",@progbits,_ZL26rocblas_dot_kernel_inc1by2ILb1ELi1024ELi32ELb1EDF16_PKDF16_fEviT4_llS2_lliPT5_PT3_,comdat
	.globl	_ZL26rocblas_dot_kernel_inc1by2ILb1ELi1024ELi32ELb1EDF16_PKDF16_fEviT4_llS2_lliPT5_PT3_ ; -- Begin function _ZL26rocblas_dot_kernel_inc1by2ILb1ELi1024ELi32ELb1EDF16_PKDF16_fEviT4_llS2_lliPT5_PT3_
	.p2align	8
	.type	_ZL26rocblas_dot_kernel_inc1by2ILb1ELi1024ELi32ELb1EDF16_PKDF16_fEviT4_llS2_lliPT5_PT3_,@function
_ZL26rocblas_dot_kernel_inc1by2ILb1ELi1024ELi32ELb1EDF16_PKDF16_fEviT4_llS2_lliPT5_PT3_: ; @_ZL26rocblas_dot_kernel_inc1by2ILb1ELi1024ELi32ELb1EDF16_PKDF16_fEviT4_llS2_lliPT5_PT3_
; %bb.0:
	s_mov_b32 s2, s7
	s_load_dword s24, s[4:5], 0x0
	s_load_dwordx2 s[18:19], s[4:5], 0x8
	s_load_dwordx4 s[12:15], s[4:5], 0x10
	s_load_dwordx2 s[16:17], s[4:5], 0x20
	s_load_dwordx2 s[6:7], s[4:5], 0x48
	s_load_dwordx4 s[8:11], s[4:5], 0x28
	v_lshlrev_b32_e32 v6, 1, v0
	s_waitcnt lgkmcnt(0)
	s_mul_i32 s0, s15, s2
	s_mul_hi_u32 s1, s14, s2
	s_add_i32 s15, s1, s0
	s_mul_i32 s0, s11, s2
	s_mul_hi_u32 s1, s10, s2
	s_add_i32 s4, s24, -1
	s_mov_b32 s3, 0
	s_mul_i32 s14, s14, s2
	s_add_i32 s11, s1, s0
	s_mul_i32 s10, s10, s2
	v_cmp_gt_i32_e32 vcc, s4, v6
	v_mov_b32_e32 v5, 0
	s_and_saveexec_b64 s[20:21], vcc
	s_cbranch_execz .LBB158_4
; %bb.1:
	s_lshl_b64 s[0:1], s[10:11], 1
	s_lshl_b64 s[22:23], s[8:9], 1
	s_add_u32 s5, s16, s22
	s_addc_u32 s22, s17, s23
	s_add_u32 s0, s5, s0
	v_lshlrev_b32_e32 v3, 2, v0
	s_addc_u32 s1, s22, s1
	v_mov_b32_e32 v2, s1
	v_add_co_u32_e32 v1, vcc, s0, v3
	s_lshl_b64 s[0:1], s[14:15], 1
	s_lshl_b64 s[22:23], s[12:13], 1
	s_add_u32 s5, s18, s22
	s_addc_u32 s22, s19, s23
	s_add_u32 s0, s5, s0
	v_addc_co_u32_e32 v2, vcc, 0, v2, vcc
	s_addc_u32 s1, s22, s1
	v_mov_b32_e32 v4, s1
	v_add_co_u32_e32 v3, vcc, s0, v3
	v_mov_b32_e32 v5, 0
	v_addc_co_u32_e32 v4, vcc, 0, v4, vcc
	s_mov_b64 s[22:23], 0
	s_mov_b32 s5, s3
.LBB158_2:                              ; =>This Inner Loop Header: Depth=1
	global_load_dword v7, v[1:2], off
	global_load_dword v8, v[3:4], off
	s_add_i32 s25, s5, 1
	v_add_u32_e32 v6, 0x800, v6
	s_cmp_gt_u32 s5, 30
	v_add_co_u32_e32 v1, vcc, 0x1000, v1
	v_cmp_le_i32_e64 s[0:1], s4, v6
	s_cselect_b64 s[26:27], -1, 0
	v_addc_co_u32_e32 v2, vcc, 0, v2, vcc
	s_or_b64 s[0:1], s[26:27], s[0:1]
	v_add_co_u32_e32 v3, vcc, 0x1000, v3
	s_and_b64 s[0:1], exec, s[0:1]
	s_mov_b32 s5, s25
	v_addc_co_u32_e32 v4, vcc, 0, v4, vcc
	s_or_b64 s[22:23], s[0:1], s[22:23]
	s_waitcnt vmcnt(0)
	v_dot2_f32_f16 v5, v7, v8, v5
	s_andn2_b64 exec, exec, s[22:23]
	s_cbranch_execnz .LBB158_2
; %bb.3:
	s_or_b64 exec, exec, s[22:23]
.LBB158_4:
	s_or_b64 exec, exec, s[20:21]
	s_bitcmp1_b32 s24, 0
	s_cselect_b64 s[0:1], -1, 0
	v_cmp_eq_u32_e32 vcc, s4, v6
	s_and_b64 s[20:21], s[0:1], vcc
	s_and_saveexec_b64 s[0:1], s[20:21]
	s_cbranch_execz .LBB158_6
; %bb.5:
	s_lshl_b64 s[14:15], s[14:15], 1
	s_add_u32 s5, s18, s14
	s_addc_u32 s14, s19, s15
	s_lshl_b64 s[12:13], s[12:13], 1
	s_add_u32 s12, s5, s12
	s_addc_u32 s13, s14, s13
	;; [unrolled: 3-line block ×3, first 2 shown]
	s_lshl_b64 s[8:9], s[8:9], 1
	s_add_u32 s8, s5, s8
	s_mov_b32 s5, 0
	s_addc_u32 s9, s10, s9
	s_lshl_b64 s[4:5], s[4:5], 1
	s_add_u32 s8, s8, s4
	s_addc_u32 s9, s9, s5
	v_mov_b32_e32 v1, 0
	s_add_u32 s4, s12, s4
	s_addc_u32 s5, s13, s5
	global_load_ushort v2, v1, s[8:9]
	global_load_ushort v3, v1, s[4:5]
	s_waitcnt vmcnt(0)
	v_fma_mix_f32 v5, v2, v3, v5 op_sel_hi:[1,1,0]
.LBB158_6:
	s_or_b64 exec, exec, s[0:1]
	v_and_b32_e32 v4, 63, v0
	v_cmp_gt_u32_e32 vcc, 64, v0
	v_lshlrev_b32_e32 v1, 2, v4
	s_and_saveexec_b64 s[0:1], vcc
; %bb.7:
	v_mov_b32_e32 v2, 0
	ds_write_b32 v1, v2
; %bb.8:
	s_or_b64 exec, exec, s[0:1]
	v_mbcnt_lo_u32_b32 v2, -1, 0
	v_mbcnt_hi_u32_b32 v6, -1, v2
	v_mov_b32_e32 v2, 0x80
	v_lshl_or_b32 v2, v6, 2, v2
	ds_bpermute_b32 v2, v2, v5
	v_and_b32_e32 v7, 63, v6
	v_cmp_gt_u32_e64 s[0:1], 48, v7
	v_cndmask_b32_e64 v3, 0, 16, s[0:1]
	v_cmp_gt_u32_e64 s[0:1], 56, v7
	s_waitcnt lgkmcnt(0)
	v_add_f32_e32 v5, v5, v2
	v_add_lshl_u32 v2, v3, v6, 2
	ds_bpermute_b32 v3, v2, v5
	v_cndmask_b32_e64 v2, 0, 8, s[0:1]
	v_add_lshl_u32 v2, v2, v6, 2
	v_cmp_gt_u32_e64 s[0:1], 60, v7
	s_waitcnt lgkmcnt(0)
	v_add_f32_e32 v5, v5, v3
	ds_bpermute_b32 v8, v2, v5
	v_cndmask_b32_e64 v3, 0, 4, s[0:1]
	v_add_lshl_u32 v3, v3, v6, 2
	v_cmp_gt_u32_e64 s[0:1], 62, v7
	s_waitcnt lgkmcnt(0)
	s_barrier
	v_add_f32_e32 v8, v5, v8
	ds_bpermute_b32 v9, v3, v8
	v_cndmask_b32_e64 v5, 0, 2, s[0:1]
	v_add_lshl_u32 v5, v5, v6, 2
	v_cmp_ne_u32_e64 s[0:1], 63, v7
	v_addc_co_u32_e64 v6, s[0:1], 0, v6, s[0:1]
	s_waitcnt lgkmcnt(0)
	v_add_f32_e32 v8, v8, v9
	ds_bpermute_b32 v9, v5, v8
	v_lshlrev_b32_e32 v6, 2, v6
	v_cmp_eq_u32_e64 s[0:1], 0, v4
	s_waitcnt lgkmcnt(0)
	v_add_f32_e32 v7, v8, v9
	ds_bpermute_b32 v8, v6, v7
	s_and_saveexec_b64 s[4:5], s[0:1]
	s_cbranch_execz .LBB158_10
; %bb.9:
	s_waitcnt lgkmcnt(0)
	v_add_f32_e32 v4, v7, v8
	v_lshrrev_b32_e32 v7, 4, v0
	v_and_b32_e32 v7, 60, v7
	ds_write_b32 v7, v4
.LBB158_10:
	s_or_b64 exec, exec, s[4:5]
	v_cmp_gt_u32_e64 s[0:1], 16, v0
	v_mov_b32_e32 v4, 0
	s_waitcnt lgkmcnt(0)
	s_barrier
	s_and_saveexec_b64 s[4:5], s[0:1]
	s_cbranch_execnz .LBB158_14
; %bb.11:
	s_or_b64 exec, exec, s[4:5]
	s_and_saveexec_b64 s[0:1], vcc
	s_cbranch_execnz .LBB158_15
.LBB158_12:
	s_or_b64 exec, exec, s[0:1]
	v_cmp_eq_u32_e32 vcc, 0, v0
	s_and_saveexec_b64 s[0:1], vcc
	s_cbranch_execnz .LBB158_16
.LBB158_13:
	s_endpgm
.LBB158_14:
	ds_read_b32 v4, v1
	s_or_b64 exec, exec, s[4:5]
	s_and_saveexec_b64 s[0:1], vcc
	s_cbranch_execz .LBB158_12
.LBB158_15:
	s_waitcnt lgkmcnt(0)
	ds_bpermute_b32 v1, v2, v4
	s_waitcnt lgkmcnt(0)
	v_add_f32_e32 v1, v4, v1
	ds_bpermute_b32 v2, v3, v1
	s_waitcnt lgkmcnt(0)
	v_add_f32_e32 v1, v1, v2
	;; [unrolled: 3-line block ×4, first 2 shown]
	s_or_b64 exec, exec, s[0:1]
	v_cmp_eq_u32_e32 vcc, 0, v0
	s_and_saveexec_b64 s[0:1], vcc
	s_cbranch_execz .LBB158_13
.LBB158_16:
	s_waitcnt lgkmcnt(0)
	v_cvt_f16_f32_e32 v0, v4
	s_lshl_b64 s[0:1], s[2:3], 1
	s_add_u32 s0, s6, s0
	s_addc_u32 s1, s7, s1
	v_mov_b32_e32 v1, 0
	global_store_short v1, v0, s[0:1]
	s_endpgm
	.section	.rodata,"a",@progbits
	.p2align	6, 0x0
	.amdhsa_kernel _ZL26rocblas_dot_kernel_inc1by2ILb1ELi1024ELi32ELb1EDF16_PKDF16_fEviT4_llS2_lliPT5_PT3_
		.amdhsa_group_segment_fixed_size 256
		.amdhsa_private_segment_fixed_size 0
		.amdhsa_kernarg_size 80
		.amdhsa_user_sgpr_count 6
		.amdhsa_user_sgpr_private_segment_buffer 1
		.amdhsa_user_sgpr_dispatch_ptr 0
		.amdhsa_user_sgpr_queue_ptr 0
		.amdhsa_user_sgpr_kernarg_segment_ptr 1
		.amdhsa_user_sgpr_dispatch_id 0
		.amdhsa_user_sgpr_flat_scratch_init 0
		.amdhsa_user_sgpr_private_segment_size 0
		.amdhsa_uses_dynamic_stack 0
		.amdhsa_system_sgpr_private_segment_wavefront_offset 0
		.amdhsa_system_sgpr_workgroup_id_x 1
		.amdhsa_system_sgpr_workgroup_id_y 0
		.amdhsa_system_sgpr_workgroup_id_z 1
		.amdhsa_system_sgpr_workgroup_info 0
		.amdhsa_system_vgpr_workitem_id 0
		.amdhsa_next_free_vgpr 10
		.amdhsa_next_free_sgpr 28
		.amdhsa_reserve_vcc 1
		.amdhsa_reserve_flat_scratch 0
		.amdhsa_float_round_mode_32 0
		.amdhsa_float_round_mode_16_64 0
		.amdhsa_float_denorm_mode_32 3
		.amdhsa_float_denorm_mode_16_64 3
		.amdhsa_dx10_clamp 1
		.amdhsa_ieee_mode 1
		.amdhsa_fp16_overflow 0
		.amdhsa_exception_fp_ieee_invalid_op 0
		.amdhsa_exception_fp_denorm_src 0
		.amdhsa_exception_fp_ieee_div_zero 0
		.amdhsa_exception_fp_ieee_overflow 0
		.amdhsa_exception_fp_ieee_underflow 0
		.amdhsa_exception_fp_ieee_inexact 0
		.amdhsa_exception_int_div_zero 0
	.end_amdhsa_kernel
	.section	.text._ZL26rocblas_dot_kernel_inc1by2ILb1ELi1024ELi32ELb1EDF16_PKDF16_fEviT4_llS2_lliPT5_PT3_,"axG",@progbits,_ZL26rocblas_dot_kernel_inc1by2ILb1ELi1024ELi32ELb1EDF16_PKDF16_fEviT4_llS2_lliPT5_PT3_,comdat
.Lfunc_end158:
	.size	_ZL26rocblas_dot_kernel_inc1by2ILb1ELi1024ELi32ELb1EDF16_PKDF16_fEviT4_llS2_lliPT5_PT3_, .Lfunc_end158-_ZL26rocblas_dot_kernel_inc1by2ILb1ELi1024ELi32ELb1EDF16_PKDF16_fEviT4_llS2_lliPT5_PT3_
                                        ; -- End function
	.set _ZL26rocblas_dot_kernel_inc1by2ILb1ELi1024ELi32ELb1EDF16_PKDF16_fEviT4_llS2_lliPT5_PT3_.num_vgpr, 10
	.set _ZL26rocblas_dot_kernel_inc1by2ILb1ELi1024ELi32ELb1EDF16_PKDF16_fEviT4_llS2_lliPT5_PT3_.num_agpr, 0
	.set _ZL26rocblas_dot_kernel_inc1by2ILb1ELi1024ELi32ELb1EDF16_PKDF16_fEviT4_llS2_lliPT5_PT3_.numbered_sgpr, 28
	.set _ZL26rocblas_dot_kernel_inc1by2ILb1ELi1024ELi32ELb1EDF16_PKDF16_fEviT4_llS2_lliPT5_PT3_.num_named_barrier, 0
	.set _ZL26rocblas_dot_kernel_inc1by2ILb1ELi1024ELi32ELb1EDF16_PKDF16_fEviT4_llS2_lliPT5_PT3_.private_seg_size, 0
	.set _ZL26rocblas_dot_kernel_inc1by2ILb1ELi1024ELi32ELb1EDF16_PKDF16_fEviT4_llS2_lliPT5_PT3_.uses_vcc, 1
	.set _ZL26rocblas_dot_kernel_inc1by2ILb1ELi1024ELi32ELb1EDF16_PKDF16_fEviT4_llS2_lliPT5_PT3_.uses_flat_scratch, 0
	.set _ZL26rocblas_dot_kernel_inc1by2ILb1ELi1024ELi32ELb1EDF16_PKDF16_fEviT4_llS2_lliPT5_PT3_.has_dyn_sized_stack, 0
	.set _ZL26rocblas_dot_kernel_inc1by2ILb1ELi1024ELi32ELb1EDF16_PKDF16_fEviT4_llS2_lliPT5_PT3_.has_recursion, 0
	.set _ZL26rocblas_dot_kernel_inc1by2ILb1ELi1024ELi32ELb1EDF16_PKDF16_fEviT4_llS2_lliPT5_PT3_.has_indirect_call, 0
	.section	.AMDGPU.csdata,"",@progbits
; Kernel info:
; codeLenInByte = 968
; TotalNumSgprs: 32
; NumVgprs: 10
; ScratchSize: 0
; MemoryBound: 0
; FloatMode: 240
; IeeeMode: 1
; LDSByteSize: 256 bytes/workgroup (compile time only)
; SGPRBlocks: 3
; VGPRBlocks: 2
; NumSGPRsForWavesPerEU: 32
; NumVGPRsForWavesPerEU: 10
; Occupancy: 10
; WaveLimiterHint : 0
; COMPUTE_PGM_RSRC2:SCRATCH_EN: 0
; COMPUTE_PGM_RSRC2:USER_SGPR: 6
; COMPUTE_PGM_RSRC2:TRAP_HANDLER: 0
; COMPUTE_PGM_RSRC2:TGID_X_EN: 1
; COMPUTE_PGM_RSRC2:TGID_Y_EN: 0
; COMPUTE_PGM_RSRC2:TGID_Z_EN: 1
; COMPUTE_PGM_RSRC2:TIDIG_COMP_CNT: 0
	.section	.text._ZL18rocblas_dot_kernelIiLb1ELi1024ELi32ELb1EDF16_PKDF16_fEviT5_lT_lS2_lS3_liPT6_PT4_,"axG",@progbits,_ZL18rocblas_dot_kernelIiLb1ELi1024ELi32ELb1EDF16_PKDF16_fEviT5_lT_lS2_lS3_liPT6_PT4_,comdat
	.globl	_ZL18rocblas_dot_kernelIiLb1ELi1024ELi32ELb1EDF16_PKDF16_fEviT5_lT_lS2_lS3_liPT6_PT4_ ; -- Begin function _ZL18rocblas_dot_kernelIiLb1ELi1024ELi32ELb1EDF16_PKDF16_fEviT5_lT_lS2_lS3_liPT6_PT4_
	.p2align	8
	.type	_ZL18rocblas_dot_kernelIiLb1ELi1024ELi32ELb1EDF16_PKDF16_fEviT5_lT_lS2_lS3_liPT6_PT4_,@function
_ZL18rocblas_dot_kernelIiLb1ELi1024ELi32ELb1EDF16_PKDF16_fEviT5_lT_lS2_lS3_liPT6_PT4_: ; @_ZL18rocblas_dot_kernelIiLb1ELi1024ELi32ELb1EDF16_PKDF16_fEviT5_lT_lS2_lS3_liPT6_PT4_
; %bb.0:
	s_load_dword s14, s[4:5], 0x0
	s_load_dwordx2 s[8:9], s[4:5], 0x58
	s_mov_b32 s6, s7
	s_mov_b32 s7, 0
	v_mov_b32_e32 v6, 0
	s_waitcnt lgkmcnt(0)
	v_cmp_gt_i32_e32 vcc, s14, v0
	s_and_saveexec_b64 s[10:11], vcc
	s_cbranch_execz .LBB159_4
; %bb.1:
	s_load_dword s22, s[4:5], 0x38
	s_load_dwordx2 s[12:13], s[4:5], 0x40
	s_load_dword s15, s[4:5], 0x60
	s_load_dwordx4 s[0:3], s[4:5], 0x20
	s_load_dwordx4 s[16:19], s[4:5], 0x8
	s_load_dword s23, s[4:5], 0x18
	s_load_dwordx2 s[20:21], s[4:5], 0x30
	s_waitcnt lgkmcnt(0)
	s_lshl_b32 s15, s15, 10
	s_mul_i32 s1, s1, s6
	s_mul_hi_u32 s24, s0, s6
	v_mad_i64_i32 v[1:2], s[4:5], s23, v0, 0
	s_add_i32 s1, s24, s1
	s_mul_i32 s0, s0, s6
	s_lshl_b64 s[0:1], s[0:1], 1
	s_lshl_b64 s[4:5], s[18:19], 1
	s_add_u32 s4, s16, s4
	s_addc_u32 s5, s17, s5
	v_lshlrev_b64 v[1:2], 1, v[1:2]
	s_add_u32 s0, s4, s0
	s_addc_u32 s1, s5, s1
	v_mov_b32_e32 v3, s1
	v_add_co_u32_e32 v1, vcc, s0, v1
	s_mul_hi_i32 s1, s23, s15
	s_mul_i32 s0, s23, s15
	v_addc_co_u32_e32 v2, vcc, v3, v2, vcc
	s_lshl_b64 s[4:5], s[0:1], 1
	s_mul_i32 s13, s13, s6
	s_mul_hi_u32 s16, s12, s6
	v_mad_i64_i32 v[3:4], s[0:1], s22, v0, 0
	s_add_i32 s1, s16, s13
	s_mul_i32 s0, s12, s6
	s_lshl_b64 s[0:1], s[0:1], 1
	s_lshl_b64 s[12:13], s[20:21], 1
	s_add_u32 s2, s2, s12
	s_addc_u32 s3, s3, s13
	v_lshlrev_b64 v[3:4], 1, v[3:4]
	s_add_u32 s0, s2, s0
	s_addc_u32 s1, s3, s1
	v_mov_b32_e32 v6, s1
	v_add_co_u32_e32 v3, vcc, s0, v3
	s_mul_hi_i32 s1, s22, s15
	s_mul_i32 s0, s22, s15
	s_lshl_b64 s[2:3], s[0:1], 1
	v_or_b32_e32 v5, s15, v0
	v_addc_co_u32_e32 v4, vcc, v6, v4, vcc
	v_mov_b32_e32 v6, 0
	s_mov_b64 s[12:13], 0
	v_mov_b32_e32 v7, s5
	v_mov_b32_e32 v8, s3
	s_mov_b32 s3, s7
.LBB159_2:                              ; =>This Inner Loop Header: Depth=1
	global_load_ushort v9, v[3:4], off
	global_load_ushort v10, v[1:2], off
	v_add_co_u32_e64 v1, s[0:1], s4, v1
	v_addc_co_u32_e64 v2, s[0:1], v2, v7, s[0:1]
	s_add_i32 s5, s3, 1
	v_add_co_u32_e64 v3, s[0:1], s2, v3
	v_addc_co_u32_e64 v4, s[0:1], v4, v8, s[0:1]
	s_cmp_gt_u32 s3, 30
	v_cmp_le_i32_e32 vcc, s14, v5
	s_cselect_b64 s[0:1], -1, 0
	s_or_b64 s[0:1], s[0:1], vcc
	s_and_b64 s[0:1], exec, s[0:1]
	v_add_u32_e32 v5, s15, v5
	s_mov_b32 s3, s5
	s_or_b64 s[12:13], s[0:1], s[12:13]
	s_waitcnt vmcnt(0)
	v_fma_mix_f32 v6, v9, v10, v6 op_sel_hi:[1,1,0]
	s_andn2_b64 exec, exec, s[12:13]
	s_cbranch_execnz .LBB159_2
; %bb.3:
	s_or_b64 exec, exec, s[12:13]
.LBB159_4:
	s_or_b64 exec, exec, s[10:11]
	v_and_b32_e32 v4, 63, v0
	v_cmp_gt_u32_e32 vcc, 64, v0
	v_lshlrev_b32_e32 v1, 2, v4
	s_and_saveexec_b64 s[0:1], vcc
; %bb.5:
	v_mov_b32_e32 v2, 0
	ds_write_b32 v1, v2
; %bb.6:
	s_or_b64 exec, exec, s[0:1]
	v_mbcnt_lo_u32_b32 v2, -1, 0
	v_mbcnt_hi_u32_b32 v7, -1, v2
	v_mov_b32_e32 v2, 0x80
	v_lshl_or_b32 v2, v7, 2, v2
	ds_bpermute_b32 v2, v2, v6
	v_and_b32_e32 v8, 63, v7
	v_cmp_gt_u32_e64 s[0:1], 48, v8
	v_cndmask_b32_e64 v3, 0, 16, s[0:1]
	v_cmp_gt_u32_e64 s[0:1], 56, v8
	s_waitcnt lgkmcnt(0)
	v_add_f32_e32 v5, v6, v2
	v_add_lshl_u32 v2, v3, v7, 2
	ds_bpermute_b32 v3, v2, v5
	v_cndmask_b32_e64 v2, 0, 8, s[0:1]
	v_add_lshl_u32 v2, v2, v7, 2
	v_cmp_gt_u32_e64 s[0:1], 60, v8
	s_waitcnt lgkmcnt(0)
	v_add_f32_e32 v5, v5, v3
	ds_bpermute_b32 v6, v2, v5
	v_cndmask_b32_e64 v3, 0, 4, s[0:1]
	v_add_lshl_u32 v3, v3, v7, 2
	v_cmp_gt_u32_e64 s[0:1], 62, v8
	s_waitcnt lgkmcnt(0)
	s_barrier
	v_add_f32_e32 v6, v5, v6
	ds_bpermute_b32 v9, v3, v6
	v_cndmask_b32_e64 v5, 0, 2, s[0:1]
	v_add_lshl_u32 v5, v5, v7, 2
	v_cmp_ne_u32_e64 s[0:1], 63, v8
	v_addc_co_u32_e64 v8, s[0:1], 0, v7, s[0:1]
	s_waitcnt lgkmcnt(0)
	v_add_f32_e32 v6, v6, v9
	ds_bpermute_b32 v9, v5, v6
	v_cmp_eq_u32_e64 s[0:1], 0, v4
	s_waitcnt lgkmcnt(0)
	v_add_f32_e32 v7, v6, v9
	v_lshlrev_b32_e32 v6, 2, v8
	ds_bpermute_b32 v8, v6, v7
	s_and_saveexec_b64 s[2:3], s[0:1]
	s_cbranch_execz .LBB159_8
; %bb.7:
	s_waitcnt lgkmcnt(0)
	v_add_f32_e32 v4, v7, v8
	v_lshrrev_b32_e32 v7, 4, v0
	v_and_b32_e32 v7, 60, v7
	ds_write_b32 v7, v4
.LBB159_8:
	s_or_b64 exec, exec, s[2:3]
	v_cmp_gt_u32_e64 s[0:1], 16, v0
	v_mov_b32_e32 v4, 0
	s_waitcnt lgkmcnt(0)
	s_barrier
	s_and_saveexec_b64 s[2:3], s[0:1]
	s_cbranch_execnz .LBB159_12
; %bb.9:
	s_or_b64 exec, exec, s[2:3]
	s_and_saveexec_b64 s[0:1], vcc
	s_cbranch_execnz .LBB159_13
.LBB159_10:
	s_or_b64 exec, exec, s[0:1]
	v_cmp_eq_u32_e32 vcc, 0, v0
	s_and_saveexec_b64 s[0:1], vcc
	s_cbranch_execnz .LBB159_14
.LBB159_11:
	s_endpgm
.LBB159_12:
	ds_read_b32 v4, v1
	s_or_b64 exec, exec, s[2:3]
	s_and_saveexec_b64 s[0:1], vcc
	s_cbranch_execz .LBB159_10
.LBB159_13:
	s_waitcnt lgkmcnt(0)
	ds_bpermute_b32 v1, v2, v4
	s_waitcnt lgkmcnt(0)
	v_add_f32_e32 v1, v4, v1
	ds_bpermute_b32 v2, v3, v1
	s_waitcnt lgkmcnt(0)
	v_add_f32_e32 v1, v1, v2
	;; [unrolled: 3-line block ×4, first 2 shown]
	s_or_b64 exec, exec, s[0:1]
	v_cmp_eq_u32_e32 vcc, 0, v0
	s_and_saveexec_b64 s[0:1], vcc
	s_cbranch_execz .LBB159_11
.LBB159_14:
	s_waitcnt lgkmcnt(0)
	v_cvt_f16_f32_e32 v0, v4
	s_lshl_b64 s[0:1], s[6:7], 1
	s_add_u32 s0, s8, s0
	s_addc_u32 s1, s9, s1
	v_mov_b32_e32 v1, 0
	global_store_short v1, v0, s[0:1]
	s_endpgm
	.section	.rodata,"a",@progbits
	.p2align	6, 0x0
	.amdhsa_kernel _ZL18rocblas_dot_kernelIiLb1ELi1024ELi32ELb1EDF16_PKDF16_fEviT5_lT_lS2_lS3_liPT6_PT4_
		.amdhsa_group_segment_fixed_size 256
		.amdhsa_private_segment_fixed_size 0
		.amdhsa_kernarg_size 352
		.amdhsa_user_sgpr_count 6
		.amdhsa_user_sgpr_private_segment_buffer 1
		.amdhsa_user_sgpr_dispatch_ptr 0
		.amdhsa_user_sgpr_queue_ptr 0
		.amdhsa_user_sgpr_kernarg_segment_ptr 1
		.amdhsa_user_sgpr_dispatch_id 0
		.amdhsa_user_sgpr_flat_scratch_init 0
		.amdhsa_user_sgpr_private_segment_size 0
		.amdhsa_uses_dynamic_stack 0
		.amdhsa_system_sgpr_private_segment_wavefront_offset 0
		.amdhsa_system_sgpr_workgroup_id_x 1
		.amdhsa_system_sgpr_workgroup_id_y 0
		.amdhsa_system_sgpr_workgroup_id_z 1
		.amdhsa_system_sgpr_workgroup_info 0
		.amdhsa_system_vgpr_workitem_id 0
		.amdhsa_next_free_vgpr 11
		.amdhsa_next_free_sgpr 25
		.amdhsa_reserve_vcc 1
		.amdhsa_reserve_flat_scratch 0
		.amdhsa_float_round_mode_32 0
		.amdhsa_float_round_mode_16_64 0
		.amdhsa_float_denorm_mode_32 3
		.amdhsa_float_denorm_mode_16_64 3
		.amdhsa_dx10_clamp 1
		.amdhsa_ieee_mode 1
		.amdhsa_fp16_overflow 0
		.amdhsa_exception_fp_ieee_invalid_op 0
		.amdhsa_exception_fp_denorm_src 0
		.amdhsa_exception_fp_ieee_div_zero 0
		.amdhsa_exception_fp_ieee_overflow 0
		.amdhsa_exception_fp_ieee_underflow 0
		.amdhsa_exception_fp_ieee_inexact 0
		.amdhsa_exception_int_div_zero 0
	.end_amdhsa_kernel
	.section	.text._ZL18rocblas_dot_kernelIiLb1ELi1024ELi32ELb1EDF16_PKDF16_fEviT5_lT_lS2_lS3_liPT6_PT4_,"axG",@progbits,_ZL18rocblas_dot_kernelIiLb1ELi1024ELi32ELb1EDF16_PKDF16_fEviT5_lT_lS2_lS3_liPT6_PT4_,comdat
.Lfunc_end159:
	.size	_ZL18rocblas_dot_kernelIiLb1ELi1024ELi32ELb1EDF16_PKDF16_fEviT5_lT_lS2_lS3_liPT6_PT4_, .Lfunc_end159-_ZL18rocblas_dot_kernelIiLb1ELi1024ELi32ELb1EDF16_PKDF16_fEviT5_lT_lS2_lS3_liPT6_PT4_
                                        ; -- End function
	.set _ZL18rocblas_dot_kernelIiLb1ELi1024ELi32ELb1EDF16_PKDF16_fEviT5_lT_lS2_lS3_liPT6_PT4_.num_vgpr, 11
	.set _ZL18rocblas_dot_kernelIiLb1ELi1024ELi32ELb1EDF16_PKDF16_fEviT5_lT_lS2_lS3_liPT6_PT4_.num_agpr, 0
	.set _ZL18rocblas_dot_kernelIiLb1ELi1024ELi32ELb1EDF16_PKDF16_fEviT5_lT_lS2_lS3_liPT6_PT4_.numbered_sgpr, 25
	.set _ZL18rocblas_dot_kernelIiLb1ELi1024ELi32ELb1EDF16_PKDF16_fEviT5_lT_lS2_lS3_liPT6_PT4_.num_named_barrier, 0
	.set _ZL18rocblas_dot_kernelIiLb1ELi1024ELi32ELb1EDF16_PKDF16_fEviT5_lT_lS2_lS3_liPT6_PT4_.private_seg_size, 0
	.set _ZL18rocblas_dot_kernelIiLb1ELi1024ELi32ELb1EDF16_PKDF16_fEviT5_lT_lS2_lS3_liPT6_PT4_.uses_vcc, 1
	.set _ZL18rocblas_dot_kernelIiLb1ELi1024ELi32ELb1EDF16_PKDF16_fEviT5_lT_lS2_lS3_liPT6_PT4_.uses_flat_scratch, 0
	.set _ZL18rocblas_dot_kernelIiLb1ELi1024ELi32ELb1EDF16_PKDF16_fEviT5_lT_lS2_lS3_liPT6_PT4_.has_dyn_sized_stack, 0
	.set _ZL18rocblas_dot_kernelIiLb1ELi1024ELi32ELb1EDF16_PKDF16_fEviT5_lT_lS2_lS3_liPT6_PT4_.has_recursion, 0
	.set _ZL18rocblas_dot_kernelIiLb1ELi1024ELi32ELb1EDF16_PKDF16_fEviT5_lT_lS2_lS3_liPT6_PT4_.has_indirect_call, 0
	.section	.AMDGPU.csdata,"",@progbits
; Kernel info:
; codeLenInByte = 924
; TotalNumSgprs: 29
; NumVgprs: 11
; ScratchSize: 0
; MemoryBound: 0
; FloatMode: 240
; IeeeMode: 1
; LDSByteSize: 256 bytes/workgroup (compile time only)
; SGPRBlocks: 3
; VGPRBlocks: 2
; NumSGPRsForWavesPerEU: 29
; NumVGPRsForWavesPerEU: 11
; Occupancy: 10
; WaveLimiterHint : 0
; COMPUTE_PGM_RSRC2:SCRATCH_EN: 0
; COMPUTE_PGM_RSRC2:USER_SGPR: 6
; COMPUTE_PGM_RSRC2:TRAP_HANDLER: 0
; COMPUTE_PGM_RSRC2:TGID_X_EN: 1
; COMPUTE_PGM_RSRC2:TGID_Y_EN: 0
; COMPUTE_PGM_RSRC2:TGID_Z_EN: 1
; COMPUTE_PGM_RSRC2:TIDIG_COMP_CNT: 0
	.section	.text._ZL24rocblas_dot_kernel_magsqIiLb1ELi1024ELi32ELb1EDF16_PKDF16_fEviT5_lT_liPT6_PT4_,"axG",@progbits,_ZL24rocblas_dot_kernel_magsqIiLb1ELi1024ELi32ELb1EDF16_PKDF16_fEviT5_lT_liPT6_PT4_,comdat
	.globl	_ZL24rocblas_dot_kernel_magsqIiLb1ELi1024ELi32ELb1EDF16_PKDF16_fEviT5_lT_liPT6_PT4_ ; -- Begin function _ZL24rocblas_dot_kernel_magsqIiLb1ELi1024ELi32ELb1EDF16_PKDF16_fEviT5_lT_liPT6_PT4_
	.p2align	8
	.type	_ZL24rocblas_dot_kernel_magsqIiLb1ELi1024ELi32ELb1EDF16_PKDF16_fEviT5_lT_liPT6_PT4_,@function
_ZL24rocblas_dot_kernel_magsqIiLb1ELi1024ELi32ELb1EDF16_PKDF16_fEviT5_lT_liPT6_PT4_: ; @_ZL24rocblas_dot_kernel_magsqIiLb1ELi1024ELi32ELb1EDF16_PKDF16_fEviT5_lT_liPT6_PT4_
; %bb.0:
	s_mov_b32 s2, s7
	s_load_dword s12, s[4:5], 0x0
	s_load_dwordx2 s[6:7], s[4:5], 0x38
	s_mov_b32 s3, 0
	v_mov_b32_e32 v3, 0
	s_waitcnt lgkmcnt(0)
	v_cmp_gt_i32_e32 vcc, s12, v0
	s_and_saveexec_b64 s[8:9], vcc
	s_cbranch_execz .LBB160_4
; %bb.1:
	s_load_dword s10, s[4:5], 0x40
	s_load_dwordx2 s[0:1], s[4:5], 0x20
	s_load_dwordx4 s[16:19], s[4:5], 0x8
	s_load_dword s11, s[4:5], 0x18
	s_waitcnt lgkmcnt(0)
	s_lshl_b32 s13, s10, 10
	s_mul_i32 s1, s1, s2
	s_mul_hi_u32 s10, s0, s2
	v_mad_i64_i32 v[1:2], s[4:5], s11, v0, 0
	s_add_i32 s1, s10, s1
	s_mul_i32 s0, s0, s2
	s_lshl_b64 s[0:1], s[0:1], 1
	s_lshl_b64 s[4:5], s[18:19], 1
	s_add_u32 s4, s16, s4
	s_addc_u32 s5, s17, s5
	v_lshlrev_b64 v[1:2], 1, v[1:2]
	s_add_u32 s0, s4, s0
	s_addc_u32 s1, s5, s1
	v_mov_b32_e32 v3, s1
	v_add_co_u32_e32 v1, vcc, s0, v1
	s_mul_hi_i32 s1, s11, s13
	s_mul_i32 s0, s11, s13
	s_lshl_b64 s[4:5], s[0:1], 1
	v_or_b32_e32 v4, s13, v0
	v_addc_co_u32_e32 v2, vcc, v3, v2, vcc
	v_mov_b32_e32 v3, 0
	s_mov_b64 s[10:11], 0
	v_mov_b32_e32 v5, s5
	s_mov_b32 s5, s3
.LBB160_2:                              ; =>This Inner Loop Header: Depth=1
	global_load_ushort v6, v[1:2], off
	s_add_i32 s14, s5, 1
	v_add_co_u32_e64 v1, s[0:1], s4, v1
	v_addc_co_u32_e64 v2, s[0:1], v2, v5, s[0:1]
	s_cmp_gt_u32 s5, 30
	v_cmp_le_i32_e32 vcc, s12, v4
	s_cselect_b64 s[0:1], -1, 0
	s_or_b64 s[0:1], s[0:1], vcc
	s_and_b64 s[0:1], exec, s[0:1]
	v_add_u32_e32 v4, s13, v4
	s_mov_b32 s5, s14
	s_or_b64 s[10:11], s[0:1], s[10:11]
	s_waitcnt vmcnt(0)
	v_fma_mix_f32 v3, v6, v6, v3 op_sel_hi:[1,1,0]
	s_andn2_b64 exec, exec, s[10:11]
	s_cbranch_execnz .LBB160_2
; %bb.3:
	s_or_b64 exec, exec, s[10:11]
.LBB160_4:
	s_or_b64 exec, exec, s[8:9]
	v_and_b32_e32 v4, 63, v0
	v_cmp_gt_u32_e32 vcc, 64, v0
	v_lshlrev_b32_e32 v1, 2, v4
	s_and_saveexec_b64 s[0:1], vcc
; %bb.5:
	v_mov_b32_e32 v2, 0
	ds_write_b32 v1, v2
; %bb.6:
	s_or_b64 exec, exec, s[0:1]
	v_mbcnt_lo_u32_b32 v2, -1, 0
	v_mbcnt_hi_u32_b32 v6, -1, v2
	v_mov_b32_e32 v2, 0x80
	v_lshl_or_b32 v2, v6, 2, v2
	ds_bpermute_b32 v2, v2, v3
	v_and_b32_e32 v7, 63, v6
	v_cmp_gt_u32_e64 s[0:1], 48, v7
	v_cndmask_b32_e64 v5, 0, 16, s[0:1]
	v_cmp_gt_u32_e64 s[0:1], 56, v7
	s_waitcnt lgkmcnt(0)
	v_add_f32_e32 v3, v3, v2
	v_add_lshl_u32 v2, v5, v6, 2
	ds_bpermute_b32 v5, v2, v3
	v_cndmask_b32_e64 v2, 0, 8, s[0:1]
	v_add_lshl_u32 v2, v2, v6, 2
	v_cmp_gt_u32_e64 s[0:1], 60, v7
	s_waitcnt lgkmcnt(0)
	v_add_f32_e32 v5, v3, v5
	ds_bpermute_b32 v8, v2, v5
	v_cndmask_b32_e64 v3, 0, 4, s[0:1]
	v_add_lshl_u32 v3, v3, v6, 2
	v_cmp_gt_u32_e64 s[0:1], 62, v7
	s_waitcnt lgkmcnt(0)
	s_barrier
	v_add_f32_e32 v8, v5, v8
	ds_bpermute_b32 v9, v3, v8
	v_cndmask_b32_e64 v5, 0, 2, s[0:1]
	v_add_lshl_u32 v5, v5, v6, 2
	v_cmp_ne_u32_e64 s[0:1], 63, v7
	v_addc_co_u32_e64 v6, s[0:1], 0, v6, s[0:1]
	s_waitcnt lgkmcnt(0)
	v_add_f32_e32 v8, v8, v9
	ds_bpermute_b32 v9, v5, v8
	v_lshlrev_b32_e32 v6, 2, v6
	v_cmp_eq_u32_e64 s[0:1], 0, v4
	s_waitcnt lgkmcnt(0)
	v_add_f32_e32 v7, v8, v9
	ds_bpermute_b32 v8, v6, v7
	s_and_saveexec_b64 s[4:5], s[0:1]
	s_cbranch_execz .LBB160_8
; %bb.7:
	s_waitcnt lgkmcnt(0)
	v_add_f32_e32 v4, v7, v8
	v_lshrrev_b32_e32 v7, 4, v0
	v_and_b32_e32 v7, 60, v7
	ds_write_b32 v7, v4
.LBB160_8:
	s_or_b64 exec, exec, s[4:5]
	v_cmp_gt_u32_e64 s[0:1], 16, v0
	v_mov_b32_e32 v4, 0
	s_waitcnt lgkmcnt(0)
	s_barrier
	s_and_saveexec_b64 s[4:5], s[0:1]
	s_cbranch_execnz .LBB160_12
; %bb.9:
	s_or_b64 exec, exec, s[4:5]
	s_and_saveexec_b64 s[0:1], vcc
	s_cbranch_execnz .LBB160_13
.LBB160_10:
	s_or_b64 exec, exec, s[0:1]
	v_cmp_eq_u32_e32 vcc, 0, v0
	s_and_saveexec_b64 s[0:1], vcc
	s_cbranch_execnz .LBB160_14
.LBB160_11:
	s_endpgm
.LBB160_12:
	ds_read_b32 v4, v1
	s_or_b64 exec, exec, s[4:5]
	s_and_saveexec_b64 s[0:1], vcc
	s_cbranch_execz .LBB160_10
.LBB160_13:
	s_waitcnt lgkmcnt(0)
	ds_bpermute_b32 v1, v2, v4
	s_waitcnt lgkmcnt(0)
	v_add_f32_e32 v1, v4, v1
	ds_bpermute_b32 v2, v3, v1
	s_waitcnt lgkmcnt(0)
	v_add_f32_e32 v1, v1, v2
	;; [unrolled: 3-line block ×4, first 2 shown]
	s_or_b64 exec, exec, s[0:1]
	v_cmp_eq_u32_e32 vcc, 0, v0
	s_and_saveexec_b64 s[0:1], vcc
	s_cbranch_execz .LBB160_11
.LBB160_14:
	s_waitcnt lgkmcnt(0)
	v_cvt_f16_f32_e32 v0, v4
	s_lshl_b64 s[0:1], s[2:3], 1
	s_add_u32 s0, s6, s0
	s_addc_u32 s1, s7, s1
	v_mov_b32_e32 v1, 0
	global_store_short v1, v0, s[0:1]
	s_endpgm
	.section	.rodata,"a",@progbits
	.p2align	6, 0x0
	.amdhsa_kernel _ZL24rocblas_dot_kernel_magsqIiLb1ELi1024ELi32ELb1EDF16_PKDF16_fEviT5_lT_liPT6_PT4_
		.amdhsa_group_segment_fixed_size 256
		.amdhsa_private_segment_fixed_size 0
		.amdhsa_kernarg_size 320
		.amdhsa_user_sgpr_count 6
		.amdhsa_user_sgpr_private_segment_buffer 1
		.amdhsa_user_sgpr_dispatch_ptr 0
		.amdhsa_user_sgpr_queue_ptr 0
		.amdhsa_user_sgpr_kernarg_segment_ptr 1
		.amdhsa_user_sgpr_dispatch_id 0
		.amdhsa_user_sgpr_flat_scratch_init 0
		.amdhsa_user_sgpr_private_segment_size 0
		.amdhsa_uses_dynamic_stack 0
		.amdhsa_system_sgpr_private_segment_wavefront_offset 0
		.amdhsa_system_sgpr_workgroup_id_x 1
		.amdhsa_system_sgpr_workgroup_id_y 0
		.amdhsa_system_sgpr_workgroup_id_z 1
		.amdhsa_system_sgpr_workgroup_info 0
		.amdhsa_system_vgpr_workitem_id 0
		.amdhsa_next_free_vgpr 10
		.amdhsa_next_free_sgpr 20
		.amdhsa_reserve_vcc 1
		.amdhsa_reserve_flat_scratch 0
		.amdhsa_float_round_mode_32 0
		.amdhsa_float_round_mode_16_64 0
		.amdhsa_float_denorm_mode_32 3
		.amdhsa_float_denorm_mode_16_64 3
		.amdhsa_dx10_clamp 1
		.amdhsa_ieee_mode 1
		.amdhsa_fp16_overflow 0
		.amdhsa_exception_fp_ieee_invalid_op 0
		.amdhsa_exception_fp_denorm_src 0
		.amdhsa_exception_fp_ieee_div_zero 0
		.amdhsa_exception_fp_ieee_overflow 0
		.amdhsa_exception_fp_ieee_underflow 0
		.amdhsa_exception_fp_ieee_inexact 0
		.amdhsa_exception_int_div_zero 0
	.end_amdhsa_kernel
	.section	.text._ZL24rocblas_dot_kernel_magsqIiLb1ELi1024ELi32ELb1EDF16_PKDF16_fEviT5_lT_liPT6_PT4_,"axG",@progbits,_ZL24rocblas_dot_kernel_magsqIiLb1ELi1024ELi32ELb1EDF16_PKDF16_fEviT5_lT_liPT6_PT4_,comdat
.Lfunc_end160:
	.size	_ZL24rocblas_dot_kernel_magsqIiLb1ELi1024ELi32ELb1EDF16_PKDF16_fEviT5_lT_liPT6_PT4_, .Lfunc_end160-_ZL24rocblas_dot_kernel_magsqIiLb1ELi1024ELi32ELb1EDF16_PKDF16_fEviT5_lT_liPT6_PT4_
                                        ; -- End function
	.set _ZL24rocblas_dot_kernel_magsqIiLb1ELi1024ELi32ELb1EDF16_PKDF16_fEviT5_lT_liPT6_PT4_.num_vgpr, 10
	.set _ZL24rocblas_dot_kernel_magsqIiLb1ELi1024ELi32ELb1EDF16_PKDF16_fEviT5_lT_liPT6_PT4_.num_agpr, 0
	.set _ZL24rocblas_dot_kernel_magsqIiLb1ELi1024ELi32ELb1EDF16_PKDF16_fEviT5_lT_liPT6_PT4_.numbered_sgpr, 20
	.set _ZL24rocblas_dot_kernel_magsqIiLb1ELi1024ELi32ELb1EDF16_PKDF16_fEviT5_lT_liPT6_PT4_.num_named_barrier, 0
	.set _ZL24rocblas_dot_kernel_magsqIiLb1ELi1024ELi32ELb1EDF16_PKDF16_fEviT5_lT_liPT6_PT4_.private_seg_size, 0
	.set _ZL24rocblas_dot_kernel_magsqIiLb1ELi1024ELi32ELb1EDF16_PKDF16_fEviT5_lT_liPT6_PT4_.uses_vcc, 1
	.set _ZL24rocblas_dot_kernel_magsqIiLb1ELi1024ELi32ELb1EDF16_PKDF16_fEviT5_lT_liPT6_PT4_.uses_flat_scratch, 0
	.set _ZL24rocblas_dot_kernel_magsqIiLb1ELi1024ELi32ELb1EDF16_PKDF16_fEviT5_lT_liPT6_PT4_.has_dyn_sized_stack, 0
	.set _ZL24rocblas_dot_kernel_magsqIiLb1ELi1024ELi32ELb1EDF16_PKDF16_fEviT5_lT_liPT6_PT4_.has_recursion, 0
	.set _ZL24rocblas_dot_kernel_magsqIiLb1ELi1024ELi32ELb1EDF16_PKDF16_fEviT5_lT_liPT6_PT4_.has_indirect_call, 0
	.section	.AMDGPU.csdata,"",@progbits
; Kernel info:
; codeLenInByte = 792
; TotalNumSgprs: 24
; NumVgprs: 10
; ScratchSize: 0
; MemoryBound: 0
; FloatMode: 240
; IeeeMode: 1
; LDSByteSize: 256 bytes/workgroup (compile time only)
; SGPRBlocks: 2
; VGPRBlocks: 2
; NumSGPRsForWavesPerEU: 24
; NumVGPRsForWavesPerEU: 10
; Occupancy: 10
; WaveLimiterHint : 0
; COMPUTE_PGM_RSRC2:SCRATCH_EN: 0
; COMPUTE_PGM_RSRC2:USER_SGPR: 6
; COMPUTE_PGM_RSRC2:TRAP_HANDLER: 0
; COMPUTE_PGM_RSRC2:TGID_X_EN: 1
; COMPUTE_PGM_RSRC2:TGID_Y_EN: 0
; COMPUTE_PGM_RSRC2:TGID_Z_EN: 1
; COMPUTE_PGM_RSRC2:TIDIG_COMP_CNT: 0
	.section	.text._ZL23rocblas_dot_kernel_inc1ILb0ELi512ELi8ELb1EDF16_PKDF16_fEviT4_llS2_lliPT5_PT3_,"axG",@progbits,_ZL23rocblas_dot_kernel_inc1ILb0ELi512ELi8ELb1EDF16_PKDF16_fEviT4_llS2_lliPT5_PT3_,comdat
	.globl	_ZL23rocblas_dot_kernel_inc1ILb0ELi512ELi8ELb1EDF16_PKDF16_fEviT4_llS2_lliPT5_PT3_ ; -- Begin function _ZL23rocblas_dot_kernel_inc1ILb0ELi512ELi8ELb1EDF16_PKDF16_fEviT4_llS2_lliPT5_PT3_
	.p2align	8
	.type	_ZL23rocblas_dot_kernel_inc1ILb0ELi512ELi8ELb1EDF16_PKDF16_fEviT4_llS2_lliPT5_PT3_,@function
_ZL23rocblas_dot_kernel_inc1ILb0ELi512ELi8ELb1EDF16_PKDF16_fEviT4_llS2_lliPT5_PT3_: ; @_ZL23rocblas_dot_kernel_inc1ILb0ELi512ELi8ELb1EDF16_PKDF16_fEviT4_llS2_lliPT5_PT3_
; %bb.0:
	s_mov_b32 s2, s7
	s_load_dword s18, s[4:5], 0x50
	s_load_dword s7, s[4:5], 0x0
	s_load_dwordx4 s[8:11], s[4:5], 0x40
	v_lshl_or_b32 v1, s6, 9, v0
	s_mov_b32 s3, 0
	v_mov_b32_e32 v3, 0
	s_waitcnt lgkmcnt(0)
	v_cmp_gt_i32_e32 vcc, s7, v1
	s_and_saveexec_b64 s[12:13], vcc
	s_cbranch_execz .LBB161_4
; %bb.1:
	s_load_dwordx4 s[20:23], s[4:5], 0x10
	s_load_dwordx2 s[0:1], s[4:5], 0x8
	s_load_dwordx2 s[14:15], s[4:5], 0x20
	s_load_dwordx4 s[24:27], s[4:5], 0x28
	v_ashrrev_i32_e32 v2, 31, v1
	s_waitcnt lgkmcnt(0)
	s_mul_i32 s4, s23, s2
	s_mul_hi_u32 s5, s22, s2
	s_add_i32 s5, s5, s4
	s_mul_i32 s4, s22, s2
	s_lshl_b64 s[4:5], s[4:5], 1
	s_add_u32 s4, s0, s4
	s_addc_u32 s5, s1, s5
	s_lshl_b64 s[0:1], s[20:21], 1
	s_add_u32 s19, s4, s0
	s_addc_u32 s21, s5, s1
	s_mul_i32 s0, s27, s2
	s_mul_hi_u32 s1, s26, s2
	s_add_i32 s1, s1, s0
	s_mul_i32 s0, s26, s2
	s_lshl_b64 s[0:1], s[0:1], 1
	s_add_u32 s4, s14, s0
	s_addc_u32 s5, s15, s1
	s_lshl_b64 s[0:1], s[24:25], 1
	s_add_u32 s20, s4, s0
	s_addc_u32 s0, s5, s1
	s_lshl_b32 s4, s18, 9
	s_ashr_i32 s5, s4, 31
	v_add_u32_e32 v4, s4, v1
	v_lshlrev_b64 v[1:2], 1, v[1:2]
	s_lshl_b64 s[14:15], s[4:5], 1
	v_mov_b32_e32 v3, 0
	s_mov_b64 s[16:17], 0
	v_mov_b32_e32 v5, s0
	v_mov_b32_e32 v6, s21
	;; [unrolled: 1-line block ×3, first 2 shown]
	s_mov_b32 s5, s3
.LBB161_2:                              ; =>This Inner Loop Header: Depth=1
	v_add_co_u32_e32 v8, vcc, s20, v1
	v_addc_co_u32_e32 v9, vcc, v5, v2, vcc
	v_add_co_u32_e32 v10, vcc, s19, v1
	v_addc_co_u32_e32 v11, vcc, v6, v2, vcc
	global_load_ushort v12, v[8:9], off
	global_load_ushort v13, v[10:11], off
	s_add_i32 s15, s5, 1
	v_add_co_u32_e64 v1, s[0:1], s14, v1
	v_addc_co_u32_e64 v2, s[0:1], v2, v7, s[0:1]
	s_cmp_gt_u32 s5, 6
	v_cmp_le_i32_e32 vcc, s7, v4
	s_cselect_b64 s[0:1], -1, 0
	s_or_b64 s[0:1], s[0:1], vcc
	s_and_b64 s[0:1], exec, s[0:1]
	v_add_u32_e32 v4, s4, v4
	s_mov_b32 s5, s15
	s_or_b64 s[16:17], s[0:1], s[16:17]
	s_waitcnt vmcnt(0)
	v_fma_mix_f32 v3, v12, v13, v3 op_sel_hi:[1,1,0]
	s_andn2_b64 exec, exec, s[16:17]
	s_cbranch_execnz .LBB161_2
; %bb.3:
	s_or_b64 exec, exec, s[16:17]
.LBB161_4:
	s_or_b64 exec, exec, s[12:13]
	v_and_b32_e32 v2, 63, v0
	v_cmp_gt_u32_e32 vcc, 64, v0
	v_lshlrev_b32_e32 v1, 2, v2
	s_and_saveexec_b64 s[0:1], vcc
; %bb.5:
	v_mov_b32_e32 v4, 0
	ds_write_b32 v1, v4
; %bb.6:
	s_or_b64 exec, exec, s[0:1]
	v_mbcnt_lo_u32_b32 v4, -1, 0
	v_mbcnt_hi_u32_b32 v5, -1, v4
	v_mov_b32_e32 v4, 0x80
	v_lshl_or_b32 v4, v5, 2, v4
	ds_bpermute_b32 v4, v4, v3
	v_and_b32_e32 v6, 63, v5
	v_cmp_gt_u32_e64 s[0:1], 48, v6
	v_cndmask_b32_e64 v7, 0, 16, s[0:1]
	v_cmp_gt_u32_e64 s[0:1], 56, v6
	s_waitcnt lgkmcnt(0)
	v_add_f32_e32 v3, v3, v4
	v_add_lshl_u32 v4, v7, v5, 2
	ds_bpermute_b32 v4, v4, v3
	v_cndmask_b32_e64 v7, 0, 8, s[0:1]
	v_add_lshl_u32 v7, v7, v5, 2
	v_cmp_gt_u32_e64 s[0:1], 60, v6
	s_waitcnt lgkmcnt(0)
	v_add_f32_e32 v4, v3, v4
	ds_bpermute_b32 v7, v7, v4
	v_cndmask_b32_e64 v3, 0, 4, s[0:1]
	v_add_lshl_u32 v3, v3, v5, 2
	v_cmp_gt_u32_e64 s[0:1], 62, v6
	s_waitcnt lgkmcnt(0)
	s_barrier
	v_add_f32_e32 v7, v4, v7
	ds_bpermute_b32 v8, v3, v7
	v_cndmask_b32_e64 v4, 0, 2, s[0:1]
	v_add_lshl_u32 v4, v4, v5, 2
	v_cmp_ne_u32_e64 s[0:1], 63, v6
	v_addc_co_u32_e64 v5, s[0:1], 0, v5, s[0:1]
	s_waitcnt lgkmcnt(0)
	v_add_f32_e32 v7, v7, v8
	ds_bpermute_b32 v8, v4, v7
	v_lshlrev_b32_e32 v5, 2, v5
	v_cmp_eq_u32_e64 s[0:1], 0, v2
	s_waitcnt lgkmcnt(0)
	v_add_f32_e32 v6, v7, v8
	ds_bpermute_b32 v7, v5, v6
	s_and_saveexec_b64 s[4:5], s[0:1]
	s_cbranch_execz .LBB161_8
; %bb.7:
	s_waitcnt lgkmcnt(0)
	v_add_f32_e32 v2, v6, v7
	v_lshrrev_b32_e32 v6, 4, v0
	v_and_b32_e32 v6, 28, v6
	ds_write_b32 v6, v2
.LBB161_8:
	s_or_b64 exec, exec, s[4:5]
	v_cmp_gt_u32_e64 s[0:1], 8, v0
	v_mov_b32_e32 v2, 0
	s_waitcnt lgkmcnt(0)
	s_barrier
	s_and_saveexec_b64 s[4:5], s[0:1]
	s_cbranch_execnz .LBB161_12
; %bb.9:
	s_or_b64 exec, exec, s[4:5]
	s_and_saveexec_b64 s[0:1], vcc
	s_cbranch_execnz .LBB161_13
.LBB161_10:
	s_or_b64 exec, exec, s[0:1]
	v_cmp_eq_u32_e32 vcc, 0, v0
	s_and_saveexec_b64 s[0:1], vcc
	s_cbranch_execnz .LBB161_14
.LBB161_11:
	s_endpgm
.LBB161_12:
	ds_read_b32 v2, v1
	s_or_b64 exec, exec, s[4:5]
	s_and_saveexec_b64 s[0:1], vcc
	s_cbranch_execz .LBB161_10
.LBB161_13:
	s_waitcnt lgkmcnt(0)
	ds_bpermute_b32 v1, v3, v2
	s_waitcnt lgkmcnt(0)
	v_add_f32_e32 v1, v2, v1
	ds_bpermute_b32 v2, v4, v1
	s_waitcnt lgkmcnt(0)
	v_add_f32_e32 v1, v1, v2
	;; [unrolled: 3-line block ×3, first 2 shown]
	s_or_b64 exec, exec, s[0:1]
	v_cmp_eq_u32_e32 vcc, 0, v0
	s_and_saveexec_b64 s[0:1], vcc
	s_cbranch_execz .LBB161_11
.LBB161_14:
	s_cmp_lg_u32 s18, 1
	s_mov_b64 s[0:1], -1
	s_cbranch_scc0 .LBB161_16
; %bb.15:
	s_mul_hi_u32 s1, s18, s2
	s_mul_i32 s0, s18, s2
	s_lshl_b64 s[0:1], s[0:1], 2
	s_mov_b32 s7, 0
	s_add_u32 s4, s8, s0
	s_addc_u32 s5, s9, s1
	s_lshl_b64 s[0:1], s[6:7], 2
	s_add_u32 s0, s4, s0
	s_addc_u32 s1, s5, s1
	v_mov_b32_e32 v0, 0
	s_waitcnt lgkmcnt(0)
	global_store_dword v0, v2, s[0:1]
	s_mov_b64 s[0:1], 0
.LBB161_16:
	s_andn2_b64 vcc, exec, s[0:1]
	s_cbranch_vccnz .LBB161_11
; %bb.17:
	s_waitcnt lgkmcnt(0)
	v_cvt_f16_f32_e32 v0, v2
	s_lshl_b64 s[0:1], s[2:3], 1
	s_add_u32 s0, s10, s0
	s_addc_u32 s1, s11, s1
	v_mov_b32_e32 v1, 0
	global_store_short v1, v0, s[0:1]
	s_endpgm
	.section	.rodata,"a",@progbits
	.p2align	6, 0x0
	.amdhsa_kernel _ZL23rocblas_dot_kernel_inc1ILb0ELi512ELi8ELb1EDF16_PKDF16_fEviT4_llS2_lliPT5_PT3_
		.amdhsa_group_segment_fixed_size 256
		.amdhsa_private_segment_fixed_size 0
		.amdhsa_kernarg_size 336
		.amdhsa_user_sgpr_count 6
		.amdhsa_user_sgpr_private_segment_buffer 1
		.amdhsa_user_sgpr_dispatch_ptr 0
		.amdhsa_user_sgpr_queue_ptr 0
		.amdhsa_user_sgpr_kernarg_segment_ptr 1
		.amdhsa_user_sgpr_dispatch_id 0
		.amdhsa_user_sgpr_flat_scratch_init 0
		.amdhsa_user_sgpr_private_segment_size 0
		.amdhsa_uses_dynamic_stack 0
		.amdhsa_system_sgpr_private_segment_wavefront_offset 0
		.amdhsa_system_sgpr_workgroup_id_x 1
		.amdhsa_system_sgpr_workgroup_id_y 0
		.amdhsa_system_sgpr_workgroup_id_z 1
		.amdhsa_system_sgpr_workgroup_info 0
		.amdhsa_system_vgpr_workitem_id 0
		.amdhsa_next_free_vgpr 14
		.amdhsa_next_free_sgpr 28
		.amdhsa_reserve_vcc 1
		.amdhsa_reserve_flat_scratch 0
		.amdhsa_float_round_mode_32 0
		.amdhsa_float_round_mode_16_64 0
		.amdhsa_float_denorm_mode_32 3
		.amdhsa_float_denorm_mode_16_64 3
		.amdhsa_dx10_clamp 1
		.amdhsa_ieee_mode 1
		.amdhsa_fp16_overflow 0
		.amdhsa_exception_fp_ieee_invalid_op 0
		.amdhsa_exception_fp_denorm_src 0
		.amdhsa_exception_fp_ieee_div_zero 0
		.amdhsa_exception_fp_ieee_overflow 0
		.amdhsa_exception_fp_ieee_underflow 0
		.amdhsa_exception_fp_ieee_inexact 0
		.amdhsa_exception_int_div_zero 0
	.end_amdhsa_kernel
	.section	.text._ZL23rocblas_dot_kernel_inc1ILb0ELi512ELi8ELb1EDF16_PKDF16_fEviT4_llS2_lliPT5_PT3_,"axG",@progbits,_ZL23rocblas_dot_kernel_inc1ILb0ELi512ELi8ELb1EDF16_PKDF16_fEviT4_llS2_lliPT5_PT3_,comdat
.Lfunc_end161:
	.size	_ZL23rocblas_dot_kernel_inc1ILb0ELi512ELi8ELb1EDF16_PKDF16_fEviT4_llS2_lliPT5_PT3_, .Lfunc_end161-_ZL23rocblas_dot_kernel_inc1ILb0ELi512ELi8ELb1EDF16_PKDF16_fEviT4_llS2_lliPT5_PT3_
                                        ; -- End function
	.set _ZL23rocblas_dot_kernel_inc1ILb0ELi512ELi8ELb1EDF16_PKDF16_fEviT4_llS2_lliPT5_PT3_.num_vgpr, 14
	.set _ZL23rocblas_dot_kernel_inc1ILb0ELi512ELi8ELb1EDF16_PKDF16_fEviT4_llS2_lliPT5_PT3_.num_agpr, 0
	.set _ZL23rocblas_dot_kernel_inc1ILb0ELi512ELi8ELb1EDF16_PKDF16_fEviT4_llS2_lliPT5_PT3_.numbered_sgpr, 28
	.set _ZL23rocblas_dot_kernel_inc1ILb0ELi512ELi8ELb1EDF16_PKDF16_fEviT4_llS2_lliPT5_PT3_.num_named_barrier, 0
	.set _ZL23rocblas_dot_kernel_inc1ILb0ELi512ELi8ELb1EDF16_PKDF16_fEviT4_llS2_lliPT5_PT3_.private_seg_size, 0
	.set _ZL23rocblas_dot_kernel_inc1ILb0ELi512ELi8ELb1EDF16_PKDF16_fEviT4_llS2_lliPT5_PT3_.uses_vcc, 1
	.set _ZL23rocblas_dot_kernel_inc1ILb0ELi512ELi8ELb1EDF16_PKDF16_fEviT4_llS2_lliPT5_PT3_.uses_flat_scratch, 0
	.set _ZL23rocblas_dot_kernel_inc1ILb0ELi512ELi8ELb1EDF16_PKDF16_fEviT4_llS2_lliPT5_PT3_.has_dyn_sized_stack, 0
	.set _ZL23rocblas_dot_kernel_inc1ILb0ELi512ELi8ELb1EDF16_PKDF16_fEviT4_llS2_lliPT5_PT3_.has_recursion, 0
	.set _ZL23rocblas_dot_kernel_inc1ILb0ELi512ELi8ELb1EDF16_PKDF16_fEviT4_llS2_lliPT5_PT3_.has_indirect_call, 0
	.section	.AMDGPU.csdata,"",@progbits
; Kernel info:
; codeLenInByte = 920
; TotalNumSgprs: 32
; NumVgprs: 14
; ScratchSize: 0
; MemoryBound: 0
; FloatMode: 240
; IeeeMode: 1
; LDSByteSize: 256 bytes/workgroup (compile time only)
; SGPRBlocks: 3
; VGPRBlocks: 3
; NumSGPRsForWavesPerEU: 32
; NumVGPRsForWavesPerEU: 14
; Occupancy: 10
; WaveLimiterHint : 0
; COMPUTE_PGM_RSRC2:SCRATCH_EN: 0
; COMPUTE_PGM_RSRC2:USER_SGPR: 6
; COMPUTE_PGM_RSRC2:TRAP_HANDLER: 0
; COMPUTE_PGM_RSRC2:TGID_X_EN: 1
; COMPUTE_PGM_RSRC2:TGID_Y_EN: 0
; COMPUTE_PGM_RSRC2:TGID_Z_EN: 1
; COMPUTE_PGM_RSRC2:TIDIG_COMP_CNT: 0
	.section	.text._ZL18rocblas_dot_kernelIiLb0ELi512ELi8ELb1EDF16_PKDF16_fEviT5_lT_lS2_lS3_liPT6_PT4_,"axG",@progbits,_ZL18rocblas_dot_kernelIiLb0ELi512ELi8ELb1EDF16_PKDF16_fEviT5_lT_lS2_lS3_liPT6_PT4_,comdat
	.globl	_ZL18rocblas_dot_kernelIiLb0ELi512ELi8ELb1EDF16_PKDF16_fEviT5_lT_lS2_lS3_liPT6_PT4_ ; -- Begin function _ZL18rocblas_dot_kernelIiLb0ELi512ELi8ELb1EDF16_PKDF16_fEviT5_lT_lS2_lS3_liPT6_PT4_
	.p2align	8
	.type	_ZL18rocblas_dot_kernelIiLb0ELi512ELi8ELb1EDF16_PKDF16_fEviT5_lT_lS2_lS3_liPT6_PT4_,@function
_ZL18rocblas_dot_kernelIiLb0ELi512ELi8ELb1EDF16_PKDF16_fEviT5_lT_lS2_lS3_liPT6_PT4_: ; @_ZL18rocblas_dot_kernelIiLb0ELi512ELi8ELb1EDF16_PKDF16_fEviT5_lT_lS2_lS3_liPT6_PT4_
; %bb.0:
	s_mov_b32 s12, s7
	s_load_dword s18, s[4:5], 0x60
	s_load_dword s7, s[4:5], 0x0
	s_load_dwordx4 s[8:11], s[4:5], 0x50
	v_lshl_or_b32 v3, s6, 9, v0
	s_mov_b32 s13, 0
	v_mov_b32_e32 v6, 0
	s_waitcnt lgkmcnt(0)
	v_cmp_gt_i32_e32 vcc, s7, v3
	s_and_saveexec_b64 s[14:15], vcc
	s_cbranch_execz .LBB162_4
; %bb.1:
	s_load_dword s26, s[4:5], 0x18
	s_load_dwordx4 s[20:23], s[4:5], 0x8
	s_load_dwordx4 s[0:3], s[4:5], 0x20
	s_load_dwordx2 s[16:17], s[4:5], 0x30
	s_lshl_b32 s19, s18, 9
	s_waitcnt lgkmcnt(0)
	v_mad_i64_i32 v[1:2], s[24:25], s26, v3, 0
	s_load_dword s27, s[4:5], 0x38
	s_load_dwordx2 s[24:25], s[4:5], 0x40
	s_mul_i32 s1, s1, s12
	s_mul_hi_u32 s4, s0, s12
	s_add_i32 s1, s4, s1
	s_mul_i32 s0, s0, s12
	s_lshl_b64 s[0:1], s[0:1], 1
	s_lshl_b64 s[4:5], s[22:23], 1
	s_add_u32 s4, s20, s4
	s_addc_u32 s5, s21, s5
	v_lshlrev_b64 v[1:2], 1, v[1:2]
	s_add_u32 s0, s4, s0
	s_addc_u32 s1, s5, s1
	v_mov_b32_e32 v4, s1
	v_add_co_u32_e32 v1, vcc, s0, v1
	v_add_u32_e32 v5, s19, v3
	v_addc_co_u32_e32 v2, vcc, v4, v2, vcc
	s_waitcnt lgkmcnt(0)
	v_mad_i64_i32 v[3:4], s[0:1], s27, v3, 0
	s_mul_hi_i32 s1, s26, s19
	s_mul_i32 s0, s26, s19
	s_lshl_b64 s[4:5], s[0:1], 1
	s_mul_i32 s0, s25, s12
	s_mul_hi_u32 s1, s24, s12
	s_add_i32 s1, s1, s0
	s_mul_i32 s0, s24, s12
	s_lshl_b64 s[0:1], s[0:1], 1
	s_lshl_b64 s[16:17], s[16:17], 1
	s_add_u32 s2, s2, s16
	s_addc_u32 s3, s3, s17
	v_lshlrev_b64 v[3:4], 1, v[3:4]
	s_add_u32 s0, s2, s0
	s_addc_u32 s1, s3, s1
	v_mov_b32_e32 v6, s1
	v_add_co_u32_e32 v3, vcc, s0, v3
	s_mul_hi_i32 s1, s27, s19
	s_mul_i32 s0, s27, s19
	s_lshl_b64 s[2:3], s[0:1], 1
	v_addc_co_u32_e32 v4, vcc, v6, v4, vcc
	v_mov_b32_e32 v6, 0
	s_mov_b64 s[16:17], 0
	v_mov_b32_e32 v7, s5
	v_mov_b32_e32 v8, s3
	s_mov_b32 s3, s13
.LBB162_2:                              ; =>This Inner Loop Header: Depth=1
	global_load_ushort v9, v[3:4], off
	global_load_ushort v10, v[1:2], off
	v_add_co_u32_e64 v1, s[0:1], s4, v1
	v_addc_co_u32_e64 v2, s[0:1], v2, v7, s[0:1]
	s_add_i32 s5, s3, 1
	v_add_co_u32_e64 v3, s[0:1], s2, v3
	v_addc_co_u32_e64 v4, s[0:1], v4, v8, s[0:1]
	s_cmp_gt_u32 s3, 6
	v_cmp_le_i32_e32 vcc, s7, v5
	s_cselect_b64 s[0:1], -1, 0
	s_or_b64 s[0:1], s[0:1], vcc
	s_and_b64 s[0:1], exec, s[0:1]
	v_add_u32_e32 v5, s19, v5
	s_mov_b32 s3, s5
	s_or_b64 s[16:17], s[0:1], s[16:17]
	s_waitcnt vmcnt(0)
	v_fma_mix_f32 v6, v9, v10, v6 op_sel_hi:[1,1,0]
	s_andn2_b64 exec, exec, s[16:17]
	s_cbranch_execnz .LBB162_2
; %bb.3:
	s_or_b64 exec, exec, s[16:17]
.LBB162_4:
	s_or_b64 exec, exec, s[14:15]
	v_and_b32_e32 v2, 63, v0
	v_cmp_gt_u32_e32 vcc, 64, v0
	v_lshlrev_b32_e32 v1, 2, v2
	s_and_saveexec_b64 s[0:1], vcc
; %bb.5:
	v_mov_b32_e32 v3, 0
	ds_write_b32 v1, v3
; %bb.6:
	s_or_b64 exec, exec, s[0:1]
	v_mbcnt_lo_u32_b32 v3, -1, 0
	v_mbcnt_hi_u32_b32 v5, -1, v3
	v_mov_b32_e32 v3, 0x80
	v_lshl_or_b32 v3, v5, 2, v3
	ds_bpermute_b32 v3, v3, v6
	v_and_b32_e32 v7, 63, v5
	v_cmp_gt_u32_e64 s[0:1], 48, v7
	v_cndmask_b32_e64 v4, 0, 16, s[0:1]
	v_add_lshl_u32 v4, v4, v5, 2
	s_waitcnt lgkmcnt(0)
	v_add_f32_e32 v3, v6, v3
	ds_bpermute_b32 v4, v4, v3
	v_cmp_gt_u32_e64 s[0:1], 56, v7
	v_cndmask_b32_e64 v6, 0, 8, s[0:1]
	v_add_lshl_u32 v6, v6, v5, 2
	v_cmp_gt_u32_e64 s[0:1], 60, v7
	s_waitcnt lgkmcnt(0)
	v_add_f32_e32 v4, v3, v4
	ds_bpermute_b32 v6, v6, v4
	v_cndmask_b32_e64 v3, 0, 4, s[0:1]
	v_add_lshl_u32 v3, v3, v5, 2
	v_cmp_gt_u32_e64 s[0:1], 62, v7
	s_waitcnt lgkmcnt(0)
	v_add_f32_e32 v6, v4, v6
	ds_bpermute_b32 v8, v3, v6
	v_cndmask_b32_e64 v4, 0, 2, s[0:1]
	v_add_lshl_u32 v4, v4, v5, 2
	v_cmp_ne_u32_e64 s[0:1], 63, v7
	v_addc_co_u32_e64 v5, s[0:1], 0, v5, s[0:1]
	s_waitcnt lgkmcnt(0)
	v_add_f32_e32 v6, v6, v8
	ds_bpermute_b32 v8, v4, v6
	v_lshlrev_b32_e32 v5, 2, v5
	v_cmp_eq_u32_e64 s[0:1], 0, v2
	s_waitcnt lgkmcnt(0)
	s_barrier
	v_add_f32_e32 v6, v6, v8
	ds_bpermute_b32 v7, v5, v6
	s_and_saveexec_b64 s[2:3], s[0:1]
	s_cbranch_execz .LBB162_8
; %bb.7:
	s_waitcnt lgkmcnt(0)
	v_add_f32_e32 v2, v6, v7
	v_lshrrev_b32_e32 v6, 4, v0
	v_and_b32_e32 v6, 28, v6
	ds_write_b32 v6, v2
.LBB162_8:
	s_or_b64 exec, exec, s[2:3]
	v_cmp_gt_u32_e64 s[0:1], 8, v0
	v_mov_b32_e32 v2, 0
	s_waitcnt lgkmcnt(0)
	s_barrier
	s_and_saveexec_b64 s[2:3], s[0:1]
	s_cbranch_execnz .LBB162_12
; %bb.9:
	s_or_b64 exec, exec, s[2:3]
	s_and_saveexec_b64 s[0:1], vcc
	s_cbranch_execnz .LBB162_13
.LBB162_10:
	s_or_b64 exec, exec, s[0:1]
	v_cmp_eq_u32_e32 vcc, 0, v0
	s_and_saveexec_b64 s[0:1], vcc
	s_cbranch_execnz .LBB162_14
.LBB162_11:
	s_endpgm
.LBB162_12:
	ds_read_b32 v2, v1
	s_or_b64 exec, exec, s[2:3]
	s_and_saveexec_b64 s[0:1], vcc
	s_cbranch_execz .LBB162_10
.LBB162_13:
	s_waitcnt lgkmcnt(0)
	ds_bpermute_b32 v1, v3, v2
	s_waitcnt lgkmcnt(0)
	v_add_f32_e32 v1, v2, v1
	ds_bpermute_b32 v2, v4, v1
	s_waitcnt lgkmcnt(0)
	v_add_f32_e32 v1, v1, v2
	;; [unrolled: 3-line block ×3, first 2 shown]
	s_or_b64 exec, exec, s[0:1]
	v_cmp_eq_u32_e32 vcc, 0, v0
	s_and_saveexec_b64 s[0:1], vcc
	s_cbranch_execz .LBB162_11
.LBB162_14:
	s_cmp_lg_u32 s18, 1
	s_mov_b64 s[0:1], -1
	s_cbranch_scc0 .LBB162_16
; %bb.15:
	s_mul_hi_u32 s1, s18, s12
	s_mul_i32 s0, s18, s12
	s_lshl_b64 s[0:1], s[0:1], 2
	s_mov_b32 s7, 0
	s_add_u32 s2, s8, s0
	s_addc_u32 s3, s9, s1
	s_lshl_b64 s[0:1], s[6:7], 2
	s_add_u32 s0, s2, s0
	s_addc_u32 s1, s3, s1
	v_mov_b32_e32 v0, 0
	s_waitcnt lgkmcnt(0)
	global_store_dword v0, v2, s[0:1]
	s_mov_b64 s[0:1], 0
.LBB162_16:
	s_andn2_b64 vcc, exec, s[0:1]
	s_cbranch_vccnz .LBB162_11
; %bb.17:
	s_waitcnt lgkmcnt(0)
	v_cvt_f16_f32_e32 v0, v2
	s_lshl_b64 s[0:1], s[12:13], 1
	s_add_u32 s0, s10, s0
	s_addc_u32 s1, s11, s1
	v_mov_b32_e32 v1, 0
	global_store_short v1, v0, s[0:1]
	s_endpgm
	.section	.rodata,"a",@progbits
	.p2align	6, 0x0
	.amdhsa_kernel _ZL18rocblas_dot_kernelIiLb0ELi512ELi8ELb1EDF16_PKDF16_fEviT5_lT_lS2_lS3_liPT6_PT4_
		.amdhsa_group_segment_fixed_size 256
		.amdhsa_private_segment_fixed_size 0
		.amdhsa_kernarg_size 352
		.amdhsa_user_sgpr_count 6
		.amdhsa_user_sgpr_private_segment_buffer 1
		.amdhsa_user_sgpr_dispatch_ptr 0
		.amdhsa_user_sgpr_queue_ptr 0
		.amdhsa_user_sgpr_kernarg_segment_ptr 1
		.amdhsa_user_sgpr_dispatch_id 0
		.amdhsa_user_sgpr_flat_scratch_init 0
		.amdhsa_user_sgpr_private_segment_size 0
		.amdhsa_uses_dynamic_stack 0
		.amdhsa_system_sgpr_private_segment_wavefront_offset 0
		.amdhsa_system_sgpr_workgroup_id_x 1
		.amdhsa_system_sgpr_workgroup_id_y 0
		.amdhsa_system_sgpr_workgroup_id_z 1
		.amdhsa_system_sgpr_workgroup_info 0
		.amdhsa_system_vgpr_workitem_id 0
		.amdhsa_next_free_vgpr 11
		.amdhsa_next_free_sgpr 28
		.amdhsa_reserve_vcc 1
		.amdhsa_reserve_flat_scratch 0
		.amdhsa_float_round_mode_32 0
		.amdhsa_float_round_mode_16_64 0
		.amdhsa_float_denorm_mode_32 3
		.amdhsa_float_denorm_mode_16_64 3
		.amdhsa_dx10_clamp 1
		.amdhsa_ieee_mode 1
		.amdhsa_fp16_overflow 0
		.amdhsa_exception_fp_ieee_invalid_op 0
		.amdhsa_exception_fp_denorm_src 0
		.amdhsa_exception_fp_ieee_div_zero 0
		.amdhsa_exception_fp_ieee_overflow 0
		.amdhsa_exception_fp_ieee_underflow 0
		.amdhsa_exception_fp_ieee_inexact 0
		.amdhsa_exception_int_div_zero 0
	.end_amdhsa_kernel
	.section	.text._ZL18rocblas_dot_kernelIiLb0ELi512ELi8ELb1EDF16_PKDF16_fEviT5_lT_lS2_lS3_liPT6_PT4_,"axG",@progbits,_ZL18rocblas_dot_kernelIiLb0ELi512ELi8ELb1EDF16_PKDF16_fEviT5_lT_lS2_lS3_liPT6_PT4_,comdat
.Lfunc_end162:
	.size	_ZL18rocblas_dot_kernelIiLb0ELi512ELi8ELb1EDF16_PKDF16_fEviT5_lT_lS2_lS3_liPT6_PT4_, .Lfunc_end162-_ZL18rocblas_dot_kernelIiLb0ELi512ELi8ELb1EDF16_PKDF16_fEviT5_lT_lS2_lS3_liPT6_PT4_
                                        ; -- End function
	.set _ZL18rocblas_dot_kernelIiLb0ELi512ELi8ELb1EDF16_PKDF16_fEviT5_lT_lS2_lS3_liPT6_PT4_.num_vgpr, 11
	.set _ZL18rocblas_dot_kernelIiLb0ELi512ELi8ELb1EDF16_PKDF16_fEviT5_lT_lS2_lS3_liPT6_PT4_.num_agpr, 0
	.set _ZL18rocblas_dot_kernelIiLb0ELi512ELi8ELb1EDF16_PKDF16_fEviT5_lT_lS2_lS3_liPT6_PT4_.numbered_sgpr, 28
	.set _ZL18rocblas_dot_kernelIiLb0ELi512ELi8ELb1EDF16_PKDF16_fEviT5_lT_lS2_lS3_liPT6_PT4_.num_named_barrier, 0
	.set _ZL18rocblas_dot_kernelIiLb0ELi512ELi8ELb1EDF16_PKDF16_fEviT5_lT_lS2_lS3_liPT6_PT4_.private_seg_size, 0
	.set _ZL18rocblas_dot_kernelIiLb0ELi512ELi8ELb1EDF16_PKDF16_fEviT5_lT_lS2_lS3_liPT6_PT4_.uses_vcc, 1
	.set _ZL18rocblas_dot_kernelIiLb0ELi512ELi8ELb1EDF16_PKDF16_fEviT5_lT_lS2_lS3_liPT6_PT4_.uses_flat_scratch, 0
	.set _ZL18rocblas_dot_kernelIiLb0ELi512ELi8ELb1EDF16_PKDF16_fEviT5_lT_lS2_lS3_liPT6_PT4_.has_dyn_sized_stack, 0
	.set _ZL18rocblas_dot_kernelIiLb0ELi512ELi8ELb1EDF16_PKDF16_fEviT5_lT_lS2_lS3_liPT6_PT4_.has_recursion, 0
	.set _ZL18rocblas_dot_kernelIiLb0ELi512ELi8ELb1EDF16_PKDF16_fEviT5_lT_lS2_lS3_liPT6_PT4_.has_indirect_call, 0
	.section	.AMDGPU.csdata,"",@progbits
; Kernel info:
; codeLenInByte = 996
; TotalNumSgprs: 32
; NumVgprs: 11
; ScratchSize: 0
; MemoryBound: 0
; FloatMode: 240
; IeeeMode: 1
; LDSByteSize: 256 bytes/workgroup (compile time only)
; SGPRBlocks: 3
; VGPRBlocks: 2
; NumSGPRsForWavesPerEU: 32
; NumVGPRsForWavesPerEU: 11
; Occupancy: 10
; WaveLimiterHint : 0
; COMPUTE_PGM_RSRC2:SCRATCH_EN: 0
; COMPUTE_PGM_RSRC2:USER_SGPR: 6
; COMPUTE_PGM_RSRC2:TRAP_HANDLER: 0
; COMPUTE_PGM_RSRC2:TGID_X_EN: 1
; COMPUTE_PGM_RSRC2:TGID_Y_EN: 0
; COMPUTE_PGM_RSRC2:TGID_Z_EN: 1
; COMPUTE_PGM_RSRC2:TIDIG_COMP_CNT: 0
	.section	.text._ZL24rocblas_dot_kernel_magsqIiLb0ELi512ELi8ELb1EDF16_PKDF16_fEviT5_lT_liPT6_PT4_,"axG",@progbits,_ZL24rocblas_dot_kernel_magsqIiLb0ELi512ELi8ELb1EDF16_PKDF16_fEviT5_lT_liPT6_PT4_,comdat
	.globl	_ZL24rocblas_dot_kernel_magsqIiLb0ELi512ELi8ELb1EDF16_PKDF16_fEviT5_lT_liPT6_PT4_ ; -- Begin function _ZL24rocblas_dot_kernel_magsqIiLb0ELi512ELi8ELb1EDF16_PKDF16_fEviT5_lT_liPT6_PT4_
	.p2align	8
	.type	_ZL24rocblas_dot_kernel_magsqIiLb0ELi512ELi8ELb1EDF16_PKDF16_fEviT5_lT_liPT6_PT4_,@function
_ZL24rocblas_dot_kernel_magsqIiLb0ELi512ELi8ELb1EDF16_PKDF16_fEviT5_lT_liPT6_PT4_: ; @_ZL24rocblas_dot_kernel_magsqIiLb0ELi512ELi8ELb1EDF16_PKDF16_fEviT5_lT_liPT6_PT4_
; %bb.0:
	s_mov_b32 s2, s7
	s_load_dword s7, s[4:5], 0x0
	s_load_dwordx4 s[8:11], s[4:5], 0x30
	s_load_dword s16, s[4:5], 0x40
	v_lshl_or_b32 v1, s6, 9, v0
	s_mov_b32 s3, 0
	s_waitcnt lgkmcnt(0)
	v_cmp_gt_i32_e32 vcc, s7, v1
	v_mov_b32_e32 v3, 0
	s_and_saveexec_b64 s[12:13], vcc
	s_cbranch_execz .LBB163_4
; %bb.1:
	s_load_dword s14, s[4:5], 0x18
	s_load_dwordx4 s[20:23], s[4:5], 0x8
	s_load_dwordx2 s[0:1], s[4:5], 0x20
	s_lshl_b32 s17, s16, 9
	v_add_u32_e32 v4, s17, v1
	s_waitcnt lgkmcnt(0)
	v_mad_i64_i32 v[2:3], s[4:5], s14, v1, 0
	s_mul_i32 s1, s1, s2
	s_mul_hi_u32 s4, s0, s2
	s_add_i32 s1, s4, s1
	s_mul_i32 s0, s0, s2
	s_lshl_b64 s[0:1], s[0:1], 1
	s_lshl_b64 s[4:5], s[22:23], 1
	s_add_u32 s4, s20, s4
	s_addc_u32 s5, s21, s5
	v_lshlrev_b64 v[1:2], 1, v[2:3]
	s_add_u32 s0, s4, s0
	s_addc_u32 s1, s5, s1
	v_mov_b32_e32 v3, s1
	v_add_co_u32_e32 v1, vcc, s0, v1
	s_mul_hi_i32 s1, s14, s17
	s_mul_i32 s0, s14, s17
	s_lshl_b64 s[4:5], s[0:1], 1
	v_addc_co_u32_e32 v2, vcc, v3, v2, vcc
	v_mov_b32_e32 v3, 0
	s_mov_b64 s[14:15], 0
	v_mov_b32_e32 v5, s5
	s_mov_b32 s5, s3
.LBB163_2:                              ; =>This Inner Loop Header: Depth=1
	global_load_ushort v6, v[1:2], off
	s_add_i32 s18, s5, 1
	v_add_co_u32_e64 v1, s[0:1], s4, v1
	v_addc_co_u32_e64 v2, s[0:1], v2, v5, s[0:1]
	s_cmp_gt_u32 s5, 6
	v_cmp_le_i32_e32 vcc, s7, v4
	s_cselect_b64 s[0:1], -1, 0
	s_or_b64 s[0:1], s[0:1], vcc
	s_and_b64 s[0:1], exec, s[0:1]
	v_add_u32_e32 v4, s17, v4
	s_mov_b32 s5, s18
	s_or_b64 s[14:15], s[0:1], s[14:15]
	s_waitcnt vmcnt(0)
	v_fma_mix_f32 v3, v6, v6, v3 op_sel_hi:[1,1,0]
	s_andn2_b64 exec, exec, s[14:15]
	s_cbranch_execnz .LBB163_2
; %bb.3:
	s_or_b64 exec, exec, s[14:15]
.LBB163_4:
	s_or_b64 exec, exec, s[12:13]
	v_and_b32_e32 v2, 63, v0
	v_cmp_gt_u32_e32 vcc, 64, v0
	v_lshlrev_b32_e32 v1, 2, v2
	s_and_saveexec_b64 s[0:1], vcc
; %bb.5:
	v_mov_b32_e32 v4, 0
	ds_write_b32 v1, v4
; %bb.6:
	s_or_b64 exec, exec, s[0:1]
	v_mbcnt_lo_u32_b32 v4, -1, 0
	v_mbcnt_hi_u32_b32 v5, -1, v4
	v_mov_b32_e32 v4, 0x80
	v_lshl_or_b32 v4, v5, 2, v4
	ds_bpermute_b32 v4, v4, v3
	v_and_b32_e32 v6, 63, v5
	v_cmp_gt_u32_e64 s[0:1], 48, v6
	v_cndmask_b32_e64 v7, 0, 16, s[0:1]
	v_cmp_gt_u32_e64 s[0:1], 56, v6
	s_waitcnt lgkmcnt(0)
	v_add_f32_e32 v3, v3, v4
	v_add_lshl_u32 v4, v7, v5, 2
	ds_bpermute_b32 v4, v4, v3
	v_cndmask_b32_e64 v7, 0, 8, s[0:1]
	v_add_lshl_u32 v7, v7, v5, 2
	v_cmp_gt_u32_e64 s[0:1], 60, v6
	s_waitcnt lgkmcnt(0)
	v_add_f32_e32 v4, v3, v4
	ds_bpermute_b32 v7, v7, v4
	v_cndmask_b32_e64 v3, 0, 4, s[0:1]
	v_add_lshl_u32 v3, v3, v5, 2
	v_cmp_gt_u32_e64 s[0:1], 62, v6
	s_waitcnt lgkmcnt(0)
	s_barrier
	v_add_f32_e32 v7, v4, v7
	ds_bpermute_b32 v8, v3, v7
	v_cndmask_b32_e64 v4, 0, 2, s[0:1]
	v_add_lshl_u32 v4, v4, v5, 2
	v_cmp_ne_u32_e64 s[0:1], 63, v6
	v_addc_co_u32_e64 v5, s[0:1], 0, v5, s[0:1]
	s_waitcnt lgkmcnt(0)
	v_add_f32_e32 v7, v7, v8
	ds_bpermute_b32 v8, v4, v7
	v_lshlrev_b32_e32 v5, 2, v5
	v_cmp_eq_u32_e64 s[0:1], 0, v2
	s_waitcnt lgkmcnt(0)
	v_add_f32_e32 v6, v7, v8
	ds_bpermute_b32 v7, v5, v6
	s_and_saveexec_b64 s[4:5], s[0:1]
	s_cbranch_execz .LBB163_8
; %bb.7:
	s_waitcnt lgkmcnt(0)
	v_add_f32_e32 v2, v6, v7
	v_lshrrev_b32_e32 v6, 4, v0
	v_and_b32_e32 v6, 28, v6
	ds_write_b32 v6, v2
.LBB163_8:
	s_or_b64 exec, exec, s[4:5]
	v_cmp_gt_u32_e64 s[0:1], 8, v0
	v_mov_b32_e32 v2, 0
	s_waitcnt lgkmcnt(0)
	s_barrier
	s_and_saveexec_b64 s[4:5], s[0:1]
	s_cbranch_execnz .LBB163_12
; %bb.9:
	s_or_b64 exec, exec, s[4:5]
	s_and_saveexec_b64 s[0:1], vcc
	s_cbranch_execnz .LBB163_13
.LBB163_10:
	s_or_b64 exec, exec, s[0:1]
	v_cmp_eq_u32_e32 vcc, 0, v0
	s_and_saveexec_b64 s[0:1], vcc
	s_cbranch_execnz .LBB163_14
.LBB163_11:
	s_endpgm
.LBB163_12:
	ds_read_b32 v2, v1
	s_or_b64 exec, exec, s[4:5]
	s_and_saveexec_b64 s[0:1], vcc
	s_cbranch_execz .LBB163_10
.LBB163_13:
	s_waitcnt lgkmcnt(0)
	ds_bpermute_b32 v1, v3, v2
	s_waitcnt lgkmcnt(0)
	v_add_f32_e32 v1, v2, v1
	ds_bpermute_b32 v2, v4, v1
	s_waitcnt lgkmcnt(0)
	v_add_f32_e32 v1, v1, v2
	;; [unrolled: 3-line block ×3, first 2 shown]
	s_or_b64 exec, exec, s[0:1]
	v_cmp_eq_u32_e32 vcc, 0, v0
	s_and_saveexec_b64 s[0:1], vcc
	s_cbranch_execz .LBB163_11
.LBB163_14:
	s_cmp_lg_u32 s16, 1
	s_mov_b64 s[0:1], -1
	s_cbranch_scc0 .LBB163_16
; %bb.15:
	s_mul_hi_u32 s1, s16, s2
	s_mul_i32 s0, s16, s2
	s_lshl_b64 s[0:1], s[0:1], 2
	s_mov_b32 s7, 0
	s_add_u32 s4, s8, s0
	s_addc_u32 s5, s9, s1
	s_lshl_b64 s[0:1], s[6:7], 2
	s_add_u32 s0, s4, s0
	s_addc_u32 s1, s5, s1
	v_mov_b32_e32 v0, 0
	s_waitcnt lgkmcnt(0)
	global_store_dword v0, v2, s[0:1]
	s_mov_b64 s[0:1], 0
.LBB163_16:
	s_andn2_b64 vcc, exec, s[0:1]
	s_cbranch_vccnz .LBB163_11
; %bb.17:
	s_waitcnt lgkmcnt(0)
	v_cvt_f16_f32_e32 v0, v2
	s_lshl_b64 s[0:1], s[2:3], 1
	s_add_u32 s0, s10, s0
	s_addc_u32 s1, s11, s1
	v_mov_b32_e32 v1, 0
	global_store_short v1, v0, s[0:1]
	s_endpgm
	.section	.rodata,"a",@progbits
	.p2align	6, 0x0
	.amdhsa_kernel _ZL24rocblas_dot_kernel_magsqIiLb0ELi512ELi8ELb1EDF16_PKDF16_fEviT5_lT_liPT6_PT4_
		.amdhsa_group_segment_fixed_size 256
		.amdhsa_private_segment_fixed_size 0
		.amdhsa_kernarg_size 320
		.amdhsa_user_sgpr_count 6
		.amdhsa_user_sgpr_private_segment_buffer 1
		.amdhsa_user_sgpr_dispatch_ptr 0
		.amdhsa_user_sgpr_queue_ptr 0
		.amdhsa_user_sgpr_kernarg_segment_ptr 1
		.amdhsa_user_sgpr_dispatch_id 0
		.amdhsa_user_sgpr_flat_scratch_init 0
		.amdhsa_user_sgpr_private_segment_size 0
		.amdhsa_uses_dynamic_stack 0
		.amdhsa_system_sgpr_private_segment_wavefront_offset 0
		.amdhsa_system_sgpr_workgroup_id_x 1
		.amdhsa_system_sgpr_workgroup_id_y 0
		.amdhsa_system_sgpr_workgroup_id_z 1
		.amdhsa_system_sgpr_workgroup_info 0
		.amdhsa_system_vgpr_workitem_id 0
		.amdhsa_next_free_vgpr 9
		.amdhsa_next_free_sgpr 24
		.amdhsa_reserve_vcc 1
		.amdhsa_reserve_flat_scratch 0
		.amdhsa_float_round_mode_32 0
		.amdhsa_float_round_mode_16_64 0
		.amdhsa_float_denorm_mode_32 3
		.amdhsa_float_denorm_mode_16_64 3
		.amdhsa_dx10_clamp 1
		.amdhsa_ieee_mode 1
		.amdhsa_fp16_overflow 0
		.amdhsa_exception_fp_ieee_invalid_op 0
		.amdhsa_exception_fp_denorm_src 0
		.amdhsa_exception_fp_ieee_div_zero 0
		.amdhsa_exception_fp_ieee_overflow 0
		.amdhsa_exception_fp_ieee_underflow 0
		.amdhsa_exception_fp_ieee_inexact 0
		.amdhsa_exception_int_div_zero 0
	.end_amdhsa_kernel
	.section	.text._ZL24rocblas_dot_kernel_magsqIiLb0ELi512ELi8ELb1EDF16_PKDF16_fEviT5_lT_liPT6_PT4_,"axG",@progbits,_ZL24rocblas_dot_kernel_magsqIiLb0ELi512ELi8ELb1EDF16_PKDF16_fEviT5_lT_liPT6_PT4_,comdat
.Lfunc_end163:
	.size	_ZL24rocblas_dot_kernel_magsqIiLb0ELi512ELi8ELb1EDF16_PKDF16_fEviT5_lT_liPT6_PT4_, .Lfunc_end163-_ZL24rocblas_dot_kernel_magsqIiLb0ELi512ELi8ELb1EDF16_PKDF16_fEviT5_lT_liPT6_PT4_
                                        ; -- End function
	.set _ZL24rocblas_dot_kernel_magsqIiLb0ELi512ELi8ELb1EDF16_PKDF16_fEviT5_lT_liPT6_PT4_.num_vgpr, 9
	.set _ZL24rocblas_dot_kernel_magsqIiLb0ELi512ELi8ELb1EDF16_PKDF16_fEviT5_lT_liPT6_PT4_.num_agpr, 0
	.set _ZL24rocblas_dot_kernel_magsqIiLb0ELi512ELi8ELb1EDF16_PKDF16_fEviT5_lT_liPT6_PT4_.numbered_sgpr, 24
	.set _ZL24rocblas_dot_kernel_magsqIiLb0ELi512ELi8ELb1EDF16_PKDF16_fEviT5_lT_liPT6_PT4_.num_named_barrier, 0
	.set _ZL24rocblas_dot_kernel_magsqIiLb0ELi512ELi8ELb1EDF16_PKDF16_fEviT5_lT_liPT6_PT4_.private_seg_size, 0
	.set _ZL24rocblas_dot_kernel_magsqIiLb0ELi512ELi8ELb1EDF16_PKDF16_fEviT5_lT_liPT6_PT4_.uses_vcc, 1
	.set _ZL24rocblas_dot_kernel_magsqIiLb0ELi512ELi8ELb1EDF16_PKDF16_fEviT5_lT_liPT6_PT4_.uses_flat_scratch, 0
	.set _ZL24rocblas_dot_kernel_magsqIiLb0ELi512ELi8ELb1EDF16_PKDF16_fEviT5_lT_liPT6_PT4_.has_dyn_sized_stack, 0
	.set _ZL24rocblas_dot_kernel_magsqIiLb0ELi512ELi8ELb1EDF16_PKDF16_fEviT5_lT_liPT6_PT4_.has_recursion, 0
	.set _ZL24rocblas_dot_kernel_magsqIiLb0ELi512ELi8ELb1EDF16_PKDF16_fEviT5_lT_liPT6_PT4_.has_indirect_call, 0
	.section	.AMDGPU.csdata,"",@progbits
; Kernel info:
; codeLenInByte = 860
; TotalNumSgprs: 28
; NumVgprs: 9
; ScratchSize: 0
; MemoryBound: 0
; FloatMode: 240
; IeeeMode: 1
; LDSByteSize: 256 bytes/workgroup (compile time only)
; SGPRBlocks: 3
; VGPRBlocks: 2
; NumSGPRsForWavesPerEU: 28
; NumVGPRsForWavesPerEU: 9
; Occupancy: 10
; WaveLimiterHint : 0
; COMPUTE_PGM_RSRC2:SCRATCH_EN: 0
; COMPUTE_PGM_RSRC2:USER_SGPR: 6
; COMPUTE_PGM_RSRC2:TRAP_HANDLER: 0
; COMPUTE_PGM_RSRC2:TGID_X_EN: 1
; COMPUTE_PGM_RSRC2:TGID_Y_EN: 0
; COMPUTE_PGM_RSRC2:TGID_Z_EN: 1
; COMPUTE_PGM_RSRC2:TIDIG_COMP_CNT: 0
	.section	.text._ZL28rocblas_dot_batched_4_kernelIiLi32ELi4ELb1EfDF16_PKPKDF16_EviT5_lT_lS4_lS5_liPT4_,"axG",@progbits,_ZL28rocblas_dot_batched_4_kernelIiLi32ELi4ELb1EfDF16_PKPKDF16_EviT5_lT_lS4_lS5_liPT4_,comdat
	.globl	_ZL28rocblas_dot_batched_4_kernelIiLi32ELi4ELb1EfDF16_PKPKDF16_EviT5_lT_lS4_lS5_liPT4_ ; -- Begin function _ZL28rocblas_dot_batched_4_kernelIiLi32ELi4ELb1EfDF16_PKPKDF16_EviT5_lT_lS4_lS5_liPT4_
	.p2align	8
	.type	_ZL28rocblas_dot_batched_4_kernelIiLi32ELi4ELb1EfDF16_PKPKDF16_EviT5_lT_lS4_lS5_liPT4_,@function
_ZL28rocblas_dot_batched_4_kernelIiLi32ELi4ELb1EfDF16_PKPKDF16_EviT5_lT_lS4_lS5_liPT4_: ; @_ZL28rocblas_dot_batched_4_kernelIiLi32ELi4ELb1EfDF16_PKPKDF16_EviT5_lT_lS4_lS5_liPT4_
; %bb.0:
	s_load_dword s0, s[4:5], 0x48
	v_lshl_add_u32 v1, s6, 2, v1
	s_waitcnt lgkmcnt(0)
	v_cmp_gt_u32_e32 vcc, s0, v1
	s_and_saveexec_b64 s[0:1], vcc
	s_cbranch_execz .LBB164_7
; %bb.1:
	s_load_dword s14, s[4:5], 0x0
	s_load_dwordx2 s[6:7], s[4:5], 0x50
	v_mov_b32_e32 v2, 0
	v_mov_b32_e32 v7, v2
	s_waitcnt lgkmcnt(0)
	v_cmp_gt_i32_e32 vcc, s14, v0
	s_and_saveexec_b64 s[12:13], vcc
	s_cbranch_execz .LBB164_5
; %bb.2:
	s_load_dwordx4 s[0:3], s[4:5], 0x8
	s_load_dwordx4 s[8:11], s[4:5], 0x28
	v_lshlrev_b64 v[3:4], 3, v[1:2]
	s_load_dword s16, s[4:5], 0x18
	s_waitcnt lgkmcnt(0)
	v_mov_b32_e32 v6, s1
	v_add_co_u32_e32 v5, vcc, s0, v3
	v_addc_co_u32_e32 v6, vcc, v6, v4, vcc
	global_load_dwordx2 v[5:6], v[5:6], off
	v_mov_b32_e32 v7, s9
	v_add_co_u32_e32 v3, vcc, s8, v3
	v_addc_co_u32_e32 v4, vcc, v7, v4, vcc
	global_load_dwordx2 v[10:11], v[3:4], off
	s_load_dword s4, s[4:5], 0x38
	v_mad_i64_i32 v[3:4], s[8:9], s16, v0, 0
	s_lshl_b64 s[8:9], s[2:3], 1
	v_mov_b32_e32 v14, s9
	s_waitcnt lgkmcnt(0)
	v_mad_i64_i32 v[12:13], s[2:3], s4, v0, 0
	v_lshlrev_b64 v[3:4], 1, v[3:4]
	s_lshl_b64 s[10:11], s[10:11], 1
	v_lshlrev_b64 v[12:13], 1, v[12:13]
	v_add_co_u32_e32 v3, vcc, s8, v3
	v_addc_co_u32_e32 v4, vcc, v4, v14, vcc
	v_mov_b32_e32 v15, s11
	v_add_co_u32_e32 v12, vcc, s10, v12
	v_addc_co_u32_e32 v13, vcc, v13, v15, vcc
	s_ashr_i32 s17, s16, 31
	s_ashr_i32 s5, s4, 31
	s_lshl_b64 s[2:3], s[16:17], 6
	s_lshl_b64 s[4:5], s[4:5], 6
	v_mov_b32_e32 v7, 0
	s_mov_b64 s[0:1], 0
	v_mov_b32_e32 v8, s3
	v_mov_b32_e32 v9, s5
	s_waitcnt vmcnt(1)
	v_add_co_u32_e32 v3, vcc, v5, v3
	v_addc_co_u32_e32 v4, vcc, v6, v4, vcc
	s_waitcnt vmcnt(0)
	v_add_co_u32_e32 v5, vcc, v10, v12
	v_addc_co_u32_e32 v6, vcc, v11, v13, vcc
	v_mov_b32_e32 v10, v0
.LBB164_3:                              ; =>This Inner Loop Header: Depth=1
	flat_load_ushort v11, v[3:4]
	flat_load_ushort v12, v[5:6]
	v_add_co_u32_e32 v3, vcc, s2, v3
	v_addc_co_u32_e32 v4, vcc, v4, v8, vcc
	v_add_co_u32_e32 v5, vcc, s4, v5
	v_add_u32_e32 v10, 32, v10
	v_addc_co_u32_e32 v6, vcc, v6, v9, vcc
	v_cmp_le_i32_e32 vcc, s14, v10
	s_or_b64 s[0:1], vcc, s[0:1]
	s_waitcnt vmcnt(0) lgkmcnt(0)
	v_fma_mix_f32 v7, v11, v12, v7 op_sel_hi:[1,1,0]
	s_andn2_b64 exec, exec, s[0:1]
	s_cbranch_execnz .LBB164_3
; %bb.4:
	s_or_b64 exec, exec, s[0:1]
.LBB164_5:
	s_or_b64 exec, exec, s[12:13]
	v_mbcnt_lo_u32_b32 v3, -1, 0
	v_mbcnt_hi_u32_b32 v3, -1, v3
	v_and_b32_e32 v4, 63, v3
	v_cmp_gt_u32_e32 vcc, 48, v4
	v_cndmask_b32_e64 v5, 0, 16, vcc
	v_add_lshl_u32 v5, v5, v3, 2
	ds_bpermute_b32 v5, v5, v7
	v_cmp_gt_u32_e32 vcc, 56, v4
	v_cndmask_b32_e64 v6, 0, 8, vcc
	v_add_lshl_u32 v6, v6, v3, 2
	v_cmp_gt_u32_e32 vcc, 60, v4
	s_waitcnt lgkmcnt(0)
	v_add_f32_e32 v5, v7, v5
	ds_bpermute_b32 v6, v6, v5
	v_cndmask_b32_e64 v7, 0, 4, vcc
	v_add_lshl_u32 v7, v7, v3, 2
	v_cmp_gt_u32_e32 vcc, 62, v4
	s_waitcnt lgkmcnt(0)
	v_add_f32_e32 v5, v5, v6
	ds_bpermute_b32 v6, v7, v5
	v_cndmask_b32_e64 v7, 0, 2, vcc
	v_add_lshl_u32 v7, v7, v3, 2
	v_cmp_ne_u32_e32 vcc, 63, v4
	v_addc_co_u32_e32 v4, vcc, 0, v3, vcc
	s_waitcnt lgkmcnt(0)
	v_add_f32_e32 v5, v5, v6
	ds_bpermute_b32 v6, v7, v5
	v_lshlrev_b32_e32 v4, 2, v4
	v_cmp_eq_u32_e32 vcc, 0, v0
	s_waitcnt lgkmcnt(0)
	s_barrier
	v_add_f32_e32 v3, v5, v6
	ds_bpermute_b32 v4, v4, v3
	s_and_b64 exec, exec, vcc
	s_cbranch_execz .LBB164_7
; %bb.6:
	s_waitcnt lgkmcnt(0)
	v_add_f32_e32 v3, v3, v4
	v_lshlrev_b64 v[0:1], 1, v[1:2]
	v_cvt_f16_f32_e32 v3, v3
	v_mov_b32_e32 v2, s7
	v_add_co_u32_e32 v0, vcc, s6, v0
	v_addc_co_u32_e32 v1, vcc, v2, v1, vcc
	global_store_short v[0:1], v3, off
.LBB164_7:
	s_endpgm
	.section	.rodata,"a",@progbits
	.p2align	6, 0x0
	.amdhsa_kernel _ZL28rocblas_dot_batched_4_kernelIiLi32ELi4ELb1EfDF16_PKPKDF16_EviT5_lT_lS4_lS5_liPT4_
		.amdhsa_group_segment_fixed_size 0
		.amdhsa_private_segment_fixed_size 0
		.amdhsa_kernarg_size 88
		.amdhsa_user_sgpr_count 6
		.amdhsa_user_sgpr_private_segment_buffer 1
		.amdhsa_user_sgpr_dispatch_ptr 0
		.amdhsa_user_sgpr_queue_ptr 0
		.amdhsa_user_sgpr_kernarg_segment_ptr 1
		.amdhsa_user_sgpr_dispatch_id 0
		.amdhsa_user_sgpr_flat_scratch_init 0
		.amdhsa_user_sgpr_private_segment_size 0
		.amdhsa_uses_dynamic_stack 0
		.amdhsa_system_sgpr_private_segment_wavefront_offset 0
		.amdhsa_system_sgpr_workgroup_id_x 1
		.amdhsa_system_sgpr_workgroup_id_y 0
		.amdhsa_system_sgpr_workgroup_id_z 0
		.amdhsa_system_sgpr_workgroup_info 0
		.amdhsa_system_vgpr_workitem_id 1
		.amdhsa_next_free_vgpr 16
		.amdhsa_next_free_sgpr 18
		.amdhsa_reserve_vcc 1
		.amdhsa_reserve_flat_scratch 0
		.amdhsa_float_round_mode_32 0
		.amdhsa_float_round_mode_16_64 0
		.amdhsa_float_denorm_mode_32 3
		.amdhsa_float_denorm_mode_16_64 3
		.amdhsa_dx10_clamp 1
		.amdhsa_ieee_mode 1
		.amdhsa_fp16_overflow 0
		.amdhsa_exception_fp_ieee_invalid_op 0
		.amdhsa_exception_fp_denorm_src 0
		.amdhsa_exception_fp_ieee_div_zero 0
		.amdhsa_exception_fp_ieee_overflow 0
		.amdhsa_exception_fp_ieee_underflow 0
		.amdhsa_exception_fp_ieee_inexact 0
		.amdhsa_exception_int_div_zero 0
	.end_amdhsa_kernel
	.section	.text._ZL28rocblas_dot_batched_4_kernelIiLi32ELi4ELb1EfDF16_PKPKDF16_EviT5_lT_lS4_lS5_liPT4_,"axG",@progbits,_ZL28rocblas_dot_batched_4_kernelIiLi32ELi4ELb1EfDF16_PKPKDF16_EviT5_lT_lS4_lS5_liPT4_,comdat
.Lfunc_end164:
	.size	_ZL28rocblas_dot_batched_4_kernelIiLi32ELi4ELb1EfDF16_PKPKDF16_EviT5_lT_lS4_lS5_liPT4_, .Lfunc_end164-_ZL28rocblas_dot_batched_4_kernelIiLi32ELi4ELb1EfDF16_PKPKDF16_EviT5_lT_lS4_lS5_liPT4_
                                        ; -- End function
	.set _ZL28rocblas_dot_batched_4_kernelIiLi32ELi4ELb1EfDF16_PKPKDF16_EviT5_lT_lS4_lS5_liPT4_.num_vgpr, 16
	.set _ZL28rocblas_dot_batched_4_kernelIiLi32ELi4ELb1EfDF16_PKPKDF16_EviT5_lT_lS4_lS5_liPT4_.num_agpr, 0
	.set _ZL28rocblas_dot_batched_4_kernelIiLi32ELi4ELb1EfDF16_PKPKDF16_EviT5_lT_lS4_lS5_liPT4_.numbered_sgpr, 18
	.set _ZL28rocblas_dot_batched_4_kernelIiLi32ELi4ELb1EfDF16_PKPKDF16_EviT5_lT_lS4_lS5_liPT4_.num_named_barrier, 0
	.set _ZL28rocblas_dot_batched_4_kernelIiLi32ELi4ELb1EfDF16_PKPKDF16_EviT5_lT_lS4_lS5_liPT4_.private_seg_size, 0
	.set _ZL28rocblas_dot_batched_4_kernelIiLi32ELi4ELb1EfDF16_PKPKDF16_EviT5_lT_lS4_lS5_liPT4_.uses_vcc, 1
	.set _ZL28rocblas_dot_batched_4_kernelIiLi32ELi4ELb1EfDF16_PKPKDF16_EviT5_lT_lS4_lS5_liPT4_.uses_flat_scratch, 0
	.set _ZL28rocblas_dot_batched_4_kernelIiLi32ELi4ELb1EfDF16_PKPKDF16_EviT5_lT_lS4_lS5_liPT4_.has_dyn_sized_stack, 0
	.set _ZL28rocblas_dot_batched_4_kernelIiLi32ELi4ELb1EfDF16_PKPKDF16_EviT5_lT_lS4_lS5_liPT4_.has_recursion, 0
	.set _ZL28rocblas_dot_batched_4_kernelIiLi32ELi4ELb1EfDF16_PKPKDF16_EviT5_lT_lS4_lS5_liPT4_.has_indirect_call, 0
	.section	.AMDGPU.csdata,"",@progbits
; Kernel info:
; codeLenInByte = 600
; TotalNumSgprs: 22
; NumVgprs: 16
; ScratchSize: 0
; MemoryBound: 0
; FloatMode: 240
; IeeeMode: 1
; LDSByteSize: 0 bytes/workgroup (compile time only)
; SGPRBlocks: 2
; VGPRBlocks: 3
; NumSGPRsForWavesPerEU: 22
; NumVGPRsForWavesPerEU: 16
; Occupancy: 10
; WaveLimiterHint : 0
; COMPUTE_PGM_RSRC2:SCRATCH_EN: 0
; COMPUTE_PGM_RSRC2:USER_SGPR: 6
; COMPUTE_PGM_RSRC2:TRAP_HANDLER: 0
; COMPUTE_PGM_RSRC2:TGID_X_EN: 1
; COMPUTE_PGM_RSRC2:TGID_Y_EN: 0
; COMPUTE_PGM_RSRC2:TGID_Z_EN: 0
; COMPUTE_PGM_RSRC2:TIDIG_COMP_CNT: 1
	.section	.text._ZL28rocblas_dot_batched_4_kernelIiLi64ELi4ELb1EfDF16_PKPKDF16_EviT5_lT_lS4_lS5_liPT4_,"axG",@progbits,_ZL28rocblas_dot_batched_4_kernelIiLi64ELi4ELb1EfDF16_PKPKDF16_EviT5_lT_lS4_lS5_liPT4_,comdat
	.globl	_ZL28rocblas_dot_batched_4_kernelIiLi64ELi4ELb1EfDF16_PKPKDF16_EviT5_lT_lS4_lS5_liPT4_ ; -- Begin function _ZL28rocblas_dot_batched_4_kernelIiLi64ELi4ELb1EfDF16_PKPKDF16_EviT5_lT_lS4_lS5_liPT4_
	.p2align	8
	.type	_ZL28rocblas_dot_batched_4_kernelIiLi64ELi4ELb1EfDF16_PKPKDF16_EviT5_lT_lS4_lS5_liPT4_,@function
_ZL28rocblas_dot_batched_4_kernelIiLi64ELi4ELb1EfDF16_PKPKDF16_EviT5_lT_lS4_lS5_liPT4_: ; @_ZL28rocblas_dot_batched_4_kernelIiLi64ELi4ELb1EfDF16_PKPKDF16_EviT5_lT_lS4_lS5_liPT4_
; %bb.0:
	s_load_dword s0, s[4:5], 0x48
	v_lshl_add_u32 v1, s6, 2, v1
	s_waitcnt lgkmcnt(0)
	v_cmp_gt_u32_e32 vcc, s0, v1
	s_and_saveexec_b64 s[0:1], vcc
	s_cbranch_execz .LBB165_7
; %bb.1:
	s_load_dword s14, s[4:5], 0x0
	s_load_dwordx2 s[6:7], s[4:5], 0x50
	v_mov_b32_e32 v2, 0
	v_mov_b32_e32 v7, v2
	s_waitcnt lgkmcnt(0)
	v_cmp_gt_i32_e32 vcc, s14, v0
	s_and_saveexec_b64 s[12:13], vcc
	s_cbranch_execz .LBB165_5
; %bb.2:
	s_load_dwordx4 s[0:3], s[4:5], 0x8
	s_load_dwordx4 s[8:11], s[4:5], 0x28
	v_lshlrev_b64 v[3:4], 3, v[1:2]
	s_load_dword s16, s[4:5], 0x18
	s_waitcnt lgkmcnt(0)
	v_mov_b32_e32 v6, s1
	v_add_co_u32_e32 v5, vcc, s0, v3
	v_addc_co_u32_e32 v6, vcc, v6, v4, vcc
	global_load_dwordx2 v[5:6], v[5:6], off
	v_mov_b32_e32 v7, s9
	v_add_co_u32_e32 v3, vcc, s8, v3
	v_addc_co_u32_e32 v4, vcc, v7, v4, vcc
	global_load_dwordx2 v[8:9], v[3:4], off
	s_load_dword s0, s[4:5], 0x38
	v_mad_i64_i32 v[3:4], s[8:9], s16, v0, 0
	s_lshl_b64 s[18:19], s[2:3], 1
	v_mov_b32_e32 v12, s19
	s_waitcnt lgkmcnt(0)
	v_mad_i64_i32 v[10:11], s[2:3], s0, v0, 0
	v_lshlrev_b64 v[3:4], 1, v[3:4]
	s_lshl_b64 s[10:11], s[10:11], 1
	v_lshlrev_b64 v[10:11], 1, v[10:11]
	v_add_co_u32_e32 v3, vcc, s18, v3
	v_addc_co_u32_e32 v4, vcc, v4, v12, vcc
	v_mov_b32_e32 v13, s11
	v_add_co_u32_e32 v10, vcc, s10, v10
	v_addc_co_u32_e32 v11, vcc, v11, v13, vcc
	s_ashr_i32 s17, s16, 31
	s_ashr_i32 s1, s0, 31
	v_mov_b32_e32 v7, 0
	s_mov_b64 s[4:5], 0
	s_lshl_b64 s[2:3], s[16:17], 7
	s_lshl_b64 s[8:9], s[0:1], 7
	s_waitcnt vmcnt(1)
	v_add_co_u32_e32 v3, vcc, v5, v3
	v_addc_co_u32_e32 v4, vcc, v6, v4, vcc
	s_waitcnt vmcnt(0)
	v_add_co_u32_e32 v5, vcc, v8, v10
	v_addc_co_u32_e32 v6, vcc, v9, v11, vcc
	v_mov_b32_e32 v8, v0
.LBB165_3:                              ; =>This Inner Loop Header: Depth=1
	flat_load_ushort v9, v[3:4]
	flat_load_ushort v10, v[5:6]
	v_mov_b32_e32 v12, s9
	v_add_co_u32_e32 v5, vcc, s8, v5
	v_add_u32_e32 v8, 64, v8
	v_addc_co_u32_e32 v6, vcc, v6, v12, vcc
	v_mov_b32_e32 v11, s3
	v_add_co_u32_e64 v3, s[0:1], s2, v3
	v_cmp_le_i32_e32 vcc, s14, v8
	v_addc_co_u32_e64 v4, s[0:1], v4, v11, s[0:1]
	s_or_b64 s[4:5], vcc, s[4:5]
	s_waitcnt vmcnt(0) lgkmcnt(0)
	v_fma_mix_f32 v7, v9, v10, v7 op_sel_hi:[1,1,0]
	s_andn2_b64 exec, exec, s[4:5]
	s_cbranch_execnz .LBB165_3
; %bb.4:
	s_or_b64 exec, exec, s[4:5]
.LBB165_5:
	s_or_b64 exec, exec, s[12:13]
	v_mbcnt_lo_u32_b32 v3, -1, 0
	v_mbcnt_hi_u32_b32 v3, -1, v3
	v_mov_b32_e32 v4, 0x80
	v_lshl_or_b32 v4, v3, 2, v4
	ds_bpermute_b32 v4, v4, v7
	v_and_b32_e32 v5, 63, v3
	v_cmp_gt_u32_e32 vcc, 48, v5
	v_cndmask_b32_e64 v6, 0, 16, vcc
	v_add_lshl_u32 v6, v6, v3, 2
	s_waitcnt lgkmcnt(0)
	v_add_f32_e32 v4, v7, v4
	ds_bpermute_b32 v6, v6, v4
	v_cmp_gt_u32_e32 vcc, 56, v5
	v_cndmask_b32_e64 v7, 0, 8, vcc
	v_add_lshl_u32 v7, v7, v3, 2
	v_cmp_gt_u32_e32 vcc, 60, v5
	s_waitcnt lgkmcnt(0)
	v_add_f32_e32 v4, v4, v6
	ds_bpermute_b32 v6, v7, v4
	v_cndmask_b32_e64 v7, 0, 4, vcc
	v_add_lshl_u32 v7, v7, v3, 2
	v_cmp_gt_u32_e32 vcc, 62, v5
	s_waitcnt lgkmcnt(0)
	v_add_f32_e32 v4, v4, v6
	ds_bpermute_b32 v6, v7, v4
	v_cndmask_b32_e64 v7, 0, 2, vcc
	v_add_lshl_u32 v7, v7, v3, 2
	v_cmp_ne_u32_e32 vcc, 63, v5
	v_addc_co_u32_e32 v5, vcc, 0, v3, vcc
	s_waitcnt lgkmcnt(0)
	v_add_f32_e32 v4, v4, v6
	ds_bpermute_b32 v6, v7, v4
	v_cmp_eq_u32_e32 vcc, 0, v0
	s_waitcnt lgkmcnt(0)
	s_barrier
	v_add_f32_e32 v3, v4, v6
	v_lshlrev_b32_e32 v4, 2, v5
	ds_bpermute_b32 v4, v4, v3
	s_and_b64 exec, exec, vcc
	s_cbranch_execz .LBB165_7
; %bb.6:
	s_waitcnt lgkmcnt(0)
	v_add_f32_e32 v3, v3, v4
	v_lshlrev_b64 v[0:1], 1, v[1:2]
	v_cvt_f16_f32_e32 v3, v3
	v_mov_b32_e32 v2, s7
	v_add_co_u32_e32 v0, vcc, s6, v0
	v_addc_co_u32_e32 v1, vcc, v2, v1, vcc
	global_store_short v[0:1], v3, off
.LBB165_7:
	s_endpgm
	.section	.rodata,"a",@progbits
	.p2align	6, 0x0
	.amdhsa_kernel _ZL28rocblas_dot_batched_4_kernelIiLi64ELi4ELb1EfDF16_PKPKDF16_EviT5_lT_lS4_lS5_liPT4_
		.amdhsa_group_segment_fixed_size 0
		.amdhsa_private_segment_fixed_size 0
		.amdhsa_kernarg_size 88
		.amdhsa_user_sgpr_count 6
		.amdhsa_user_sgpr_private_segment_buffer 1
		.amdhsa_user_sgpr_dispatch_ptr 0
		.amdhsa_user_sgpr_queue_ptr 0
		.amdhsa_user_sgpr_kernarg_segment_ptr 1
		.amdhsa_user_sgpr_dispatch_id 0
		.amdhsa_user_sgpr_flat_scratch_init 0
		.amdhsa_user_sgpr_private_segment_size 0
		.amdhsa_uses_dynamic_stack 0
		.amdhsa_system_sgpr_private_segment_wavefront_offset 0
		.amdhsa_system_sgpr_workgroup_id_x 1
		.amdhsa_system_sgpr_workgroup_id_y 0
		.amdhsa_system_sgpr_workgroup_id_z 0
		.amdhsa_system_sgpr_workgroup_info 0
		.amdhsa_system_vgpr_workitem_id 1
		.amdhsa_next_free_vgpr 14
		.amdhsa_next_free_sgpr 20
		.amdhsa_reserve_vcc 1
		.amdhsa_reserve_flat_scratch 0
		.amdhsa_float_round_mode_32 0
		.amdhsa_float_round_mode_16_64 0
		.amdhsa_float_denorm_mode_32 3
		.amdhsa_float_denorm_mode_16_64 3
		.amdhsa_dx10_clamp 1
		.amdhsa_ieee_mode 1
		.amdhsa_fp16_overflow 0
		.amdhsa_exception_fp_ieee_invalid_op 0
		.amdhsa_exception_fp_denorm_src 0
		.amdhsa_exception_fp_ieee_div_zero 0
		.amdhsa_exception_fp_ieee_overflow 0
		.amdhsa_exception_fp_ieee_underflow 0
		.amdhsa_exception_fp_ieee_inexact 0
		.amdhsa_exception_int_div_zero 0
	.end_amdhsa_kernel
	.section	.text._ZL28rocblas_dot_batched_4_kernelIiLi64ELi4ELb1EfDF16_PKPKDF16_EviT5_lT_lS4_lS5_liPT4_,"axG",@progbits,_ZL28rocblas_dot_batched_4_kernelIiLi64ELi4ELb1EfDF16_PKPKDF16_EviT5_lT_lS4_lS5_liPT4_,comdat
.Lfunc_end165:
	.size	_ZL28rocblas_dot_batched_4_kernelIiLi64ELi4ELb1EfDF16_PKPKDF16_EviT5_lT_lS4_lS5_liPT4_, .Lfunc_end165-_ZL28rocblas_dot_batched_4_kernelIiLi64ELi4ELb1EfDF16_PKPKDF16_EviT5_lT_lS4_lS5_liPT4_
                                        ; -- End function
	.set _ZL28rocblas_dot_batched_4_kernelIiLi64ELi4ELb1EfDF16_PKPKDF16_EviT5_lT_lS4_lS5_liPT4_.num_vgpr, 14
	.set _ZL28rocblas_dot_batched_4_kernelIiLi64ELi4ELb1EfDF16_PKPKDF16_EviT5_lT_lS4_lS5_liPT4_.num_agpr, 0
	.set _ZL28rocblas_dot_batched_4_kernelIiLi64ELi4ELb1EfDF16_PKPKDF16_EviT5_lT_lS4_lS5_liPT4_.numbered_sgpr, 20
	.set _ZL28rocblas_dot_batched_4_kernelIiLi64ELi4ELb1EfDF16_PKPKDF16_EviT5_lT_lS4_lS5_liPT4_.num_named_barrier, 0
	.set _ZL28rocblas_dot_batched_4_kernelIiLi64ELi4ELb1EfDF16_PKPKDF16_EviT5_lT_lS4_lS5_liPT4_.private_seg_size, 0
	.set _ZL28rocblas_dot_batched_4_kernelIiLi64ELi4ELb1EfDF16_PKPKDF16_EviT5_lT_lS4_lS5_liPT4_.uses_vcc, 1
	.set _ZL28rocblas_dot_batched_4_kernelIiLi64ELi4ELb1EfDF16_PKPKDF16_EviT5_lT_lS4_lS5_liPT4_.uses_flat_scratch, 0
	.set _ZL28rocblas_dot_batched_4_kernelIiLi64ELi4ELb1EfDF16_PKPKDF16_EviT5_lT_lS4_lS5_liPT4_.has_dyn_sized_stack, 0
	.set _ZL28rocblas_dot_batched_4_kernelIiLi64ELi4ELb1EfDF16_PKPKDF16_EviT5_lT_lS4_lS5_liPT4_.has_recursion, 0
	.set _ZL28rocblas_dot_batched_4_kernelIiLi64ELi4ELb1EfDF16_PKPKDF16_EviT5_lT_lS4_lS5_liPT4_.has_indirect_call, 0
	.section	.AMDGPU.csdata,"",@progbits
; Kernel info:
; codeLenInByte = 640
; TotalNumSgprs: 24
; NumVgprs: 14
; ScratchSize: 0
; MemoryBound: 0
; FloatMode: 240
; IeeeMode: 1
; LDSByteSize: 0 bytes/workgroup (compile time only)
; SGPRBlocks: 2
; VGPRBlocks: 3
; NumSGPRsForWavesPerEU: 24
; NumVGPRsForWavesPerEU: 14
; Occupancy: 10
; WaveLimiterHint : 0
; COMPUTE_PGM_RSRC2:SCRATCH_EN: 0
; COMPUTE_PGM_RSRC2:USER_SGPR: 6
; COMPUTE_PGM_RSRC2:TRAP_HANDLER: 0
; COMPUTE_PGM_RSRC2:TGID_X_EN: 1
; COMPUTE_PGM_RSRC2:TGID_Y_EN: 0
; COMPUTE_PGM_RSRC2:TGID_Z_EN: 0
; COMPUTE_PGM_RSRC2:TIDIG_COMP_CNT: 1
	.section	.text._ZL26rocblas_dot_kernel_inc1by2ILb1ELi1024ELi32ELb1EDF16_PKPKDF16_fEviT4_llS4_lliPT5_PT3_,"axG",@progbits,_ZL26rocblas_dot_kernel_inc1by2ILb1ELi1024ELi32ELb1EDF16_PKPKDF16_fEviT4_llS4_lliPT5_PT3_,comdat
	.globl	_ZL26rocblas_dot_kernel_inc1by2ILb1ELi1024ELi32ELb1EDF16_PKPKDF16_fEviT4_llS4_lliPT5_PT3_ ; -- Begin function _ZL26rocblas_dot_kernel_inc1by2ILb1ELi1024ELi32ELb1EDF16_PKPKDF16_fEviT4_llS4_lliPT5_PT3_
	.p2align	8
	.type	_ZL26rocblas_dot_kernel_inc1by2ILb1ELi1024ELi32ELb1EDF16_PKPKDF16_fEviT4_llS4_lliPT5_PT3_,@function
_ZL26rocblas_dot_kernel_inc1by2ILb1ELi1024ELi32ELb1EDF16_PKPKDF16_fEviT4_llS4_lliPT5_PT3_: ; @_ZL26rocblas_dot_kernel_inc1by2ILb1ELi1024ELi32ELb1EDF16_PKPKDF16_fEviT4_llS4_lliPT5_PT3_
; %bb.0:
	s_load_dword s20, s[4:5], 0x0
	s_load_dwordx4 s[0:3], s[4:5], 0x8
	s_load_dwordx2 s[12:13], s[4:5], 0x48
	s_load_dwordx4 s[8:11], s[4:5], 0x20
	s_mov_b32 s6, s7
	s_mov_b32 s7, 0
	s_lshl_b64 s[14:15], s[6:7], 3
	s_waitcnt lgkmcnt(0)
	s_add_u32 s0, s0, s14
	s_addc_u32 s1, s1, s15
	s_load_dwordx2 s[4:5], s[0:1], 0x0
	s_add_u32 s0, s8, s14
	s_addc_u32 s1, s9, s15
	s_load_dwordx2 s[14:15], s[0:1], 0x0
	v_lshlrev_b32_e32 v6, 1, v0
	s_add_i32 s8, s20, -1
	v_cmp_gt_i32_e32 vcc, s8, v6
	v_mov_b32_e32 v5, 0
	s_and_saveexec_b64 s[16:17], vcc
	s_cbranch_execz .LBB166_4
; %bb.1:
	s_lshl_b64 s[0:1], s[10:11], 1
	s_waitcnt lgkmcnt(0)
	s_add_u32 s0, s14, s0
	v_lshlrev_b32_e32 v3, 2, v0
	s_addc_u32 s1, s15, s1
	v_mov_b32_e32 v2, s1
	v_add_co_u32_e32 v1, vcc, s0, v3
	s_lshl_b64 s[0:1], s[2:3], 1
	s_add_u32 s0, s4, s0
	v_addc_co_u32_e32 v2, vcc, 0, v2, vcc
	s_addc_u32 s1, s5, s1
	v_mov_b32_e32 v4, s1
	v_add_co_u32_e32 v3, vcc, s0, v3
	v_mov_b32_e32 v5, 0
	v_addc_co_u32_e32 v4, vcc, 0, v4, vcc
	s_mov_b64 s[18:19], 0
	s_mov_b32 s9, s7
.LBB166_2:                              ; =>This Inner Loop Header: Depth=1
	flat_load_dword v7, v[1:2]
	flat_load_dword v8, v[3:4]
	s_add_i32 s21, s9, 1
	v_add_u32_e32 v6, 0x800, v6
	s_cmp_gt_u32 s9, 30
	v_add_co_u32_e32 v1, vcc, 0x1000, v1
	v_cmp_le_i32_e64 s[0:1], s8, v6
	s_cselect_b64 s[22:23], -1, 0
	v_addc_co_u32_e32 v2, vcc, 0, v2, vcc
	s_or_b64 s[0:1], s[22:23], s[0:1]
	v_add_co_u32_e32 v3, vcc, 0x1000, v3
	s_and_b64 s[0:1], exec, s[0:1]
	s_mov_b32 s9, s21
	v_addc_co_u32_e32 v4, vcc, 0, v4, vcc
	s_or_b64 s[18:19], s[0:1], s[18:19]
	s_waitcnt vmcnt(0) lgkmcnt(0)
	v_dot2_f32_f16 v5, v7, v8, v5
	s_andn2_b64 exec, exec, s[18:19]
	s_cbranch_execnz .LBB166_2
; %bb.3:
	s_or_b64 exec, exec, s[18:19]
.LBB166_4:
	s_or_b64 exec, exec, s[16:17]
	s_bitcmp1_b32 s20, 0
	s_cselect_b64 s[0:1], -1, 0
	v_cmp_eq_u32_e32 vcc, s8, v6
	s_and_b64 s[16:17], s[0:1], vcc
	s_and_saveexec_b64 s[0:1], s[16:17]
	s_cbranch_execz .LBB166_6
; %bb.5:
	s_lshl_b64 s[2:3], s[2:3], 1
	s_waitcnt lgkmcnt(0)
	s_add_u32 s16, s4, s2
	s_addc_u32 s17, s5, s3
	s_lshl_b64 s[2:3], s[10:11], 1
	s_add_u32 s4, s14, s2
	s_mov_b32 s9, 0
	s_addc_u32 s5, s15, s3
	s_lshl_b64 s[2:3], s[8:9], 1
	s_add_u32 s4, s4, s2
	s_addc_u32 s5, s5, s3
	v_mov_b32_e32 v1, s4
	v_mov_b32_e32 v2, s5
	s_add_u32 s2, s16, s2
	flat_load_ushort v3, v[1:2]
	s_addc_u32 s3, s17, s3
	v_mov_b32_e32 v1, s2
	v_mov_b32_e32 v2, s3
	flat_load_ushort v1, v[1:2]
	s_waitcnt vmcnt(0) lgkmcnt(0)
	v_fma_mix_f32 v5, v3, v1, v5 op_sel_hi:[1,1,0]
.LBB166_6:
	s_or_b64 exec, exec, s[0:1]
	v_and_b32_e32 v4, 63, v0
	v_cmp_gt_u32_e32 vcc, 64, v0
	v_lshlrev_b32_e32 v1, 2, v4
	s_and_saveexec_b64 s[0:1], vcc
; %bb.7:
	v_mov_b32_e32 v2, 0
	ds_write_b32 v1, v2
; %bb.8:
	s_or_b64 exec, exec, s[0:1]
	v_mbcnt_lo_u32_b32 v2, -1, 0
	v_mbcnt_hi_u32_b32 v6, -1, v2
	v_mov_b32_e32 v2, 0x80
	v_lshl_or_b32 v2, v6, 2, v2
	ds_bpermute_b32 v2, v2, v5
	v_and_b32_e32 v7, 63, v6
	v_cmp_gt_u32_e64 s[0:1], 48, v7
	v_cndmask_b32_e64 v3, 0, 16, s[0:1]
	v_cmp_gt_u32_e64 s[0:1], 56, v7
	s_waitcnt lgkmcnt(0)
	v_add_f32_e32 v5, v5, v2
	v_add_lshl_u32 v2, v3, v6, 2
	ds_bpermute_b32 v3, v2, v5
	v_cndmask_b32_e64 v2, 0, 8, s[0:1]
	v_add_lshl_u32 v2, v2, v6, 2
	v_cmp_gt_u32_e64 s[0:1], 60, v7
	s_waitcnt lgkmcnt(0)
	v_add_f32_e32 v5, v5, v3
	ds_bpermute_b32 v8, v2, v5
	v_cndmask_b32_e64 v3, 0, 4, s[0:1]
	v_add_lshl_u32 v3, v3, v6, 2
	v_cmp_gt_u32_e64 s[0:1], 62, v7
	s_waitcnt lgkmcnt(0)
	s_barrier
	v_add_f32_e32 v8, v5, v8
	ds_bpermute_b32 v9, v3, v8
	v_cndmask_b32_e64 v5, 0, 2, s[0:1]
	v_add_lshl_u32 v5, v5, v6, 2
	v_cmp_ne_u32_e64 s[0:1], 63, v7
	v_addc_co_u32_e64 v6, s[0:1], 0, v6, s[0:1]
	s_waitcnt lgkmcnt(0)
	v_add_f32_e32 v8, v8, v9
	ds_bpermute_b32 v9, v5, v8
	v_lshlrev_b32_e32 v6, 2, v6
	v_cmp_eq_u32_e64 s[0:1], 0, v4
	s_waitcnt lgkmcnt(0)
	v_add_f32_e32 v7, v8, v9
	ds_bpermute_b32 v8, v6, v7
	s_and_saveexec_b64 s[2:3], s[0:1]
	s_cbranch_execz .LBB166_10
; %bb.9:
	s_waitcnt lgkmcnt(0)
	v_add_f32_e32 v4, v7, v8
	v_lshrrev_b32_e32 v7, 4, v0
	v_and_b32_e32 v7, 60, v7
	ds_write_b32 v7, v4
.LBB166_10:
	s_or_b64 exec, exec, s[2:3]
	v_cmp_gt_u32_e64 s[0:1], 16, v0
	v_mov_b32_e32 v4, 0
	s_waitcnt lgkmcnt(0)
	s_barrier
	s_and_saveexec_b64 s[2:3], s[0:1]
	s_cbranch_execnz .LBB166_14
; %bb.11:
	s_or_b64 exec, exec, s[2:3]
	s_and_saveexec_b64 s[0:1], vcc
	s_cbranch_execnz .LBB166_15
.LBB166_12:
	s_or_b64 exec, exec, s[0:1]
	v_cmp_eq_u32_e32 vcc, 0, v0
	s_and_saveexec_b64 s[0:1], vcc
	s_cbranch_execnz .LBB166_16
.LBB166_13:
	s_endpgm
.LBB166_14:
	ds_read_b32 v4, v1
	s_or_b64 exec, exec, s[2:3]
	s_and_saveexec_b64 s[0:1], vcc
	s_cbranch_execz .LBB166_12
.LBB166_15:
	s_waitcnt lgkmcnt(0)
	ds_bpermute_b32 v1, v2, v4
	s_waitcnt lgkmcnt(0)
	v_add_f32_e32 v1, v4, v1
	ds_bpermute_b32 v2, v3, v1
	s_waitcnt lgkmcnt(0)
	v_add_f32_e32 v1, v1, v2
	;; [unrolled: 3-line block ×4, first 2 shown]
	s_or_b64 exec, exec, s[0:1]
	v_cmp_eq_u32_e32 vcc, 0, v0
	s_and_saveexec_b64 s[0:1], vcc
	s_cbranch_execz .LBB166_13
.LBB166_16:
	s_waitcnt lgkmcnt(0)
	v_cvt_f16_f32_e32 v0, v4
	s_lshl_b64 s[0:1], s[6:7], 1
	s_add_u32 s0, s12, s0
	s_addc_u32 s1, s13, s1
	v_mov_b32_e32 v1, 0
	global_store_short v1, v0, s[0:1]
	s_endpgm
	.section	.rodata,"a",@progbits
	.p2align	6, 0x0
	.amdhsa_kernel _ZL26rocblas_dot_kernel_inc1by2ILb1ELi1024ELi32ELb1EDF16_PKPKDF16_fEviT4_llS4_lliPT5_PT3_
		.amdhsa_group_segment_fixed_size 256
		.amdhsa_private_segment_fixed_size 0
		.amdhsa_kernarg_size 80
		.amdhsa_user_sgpr_count 6
		.amdhsa_user_sgpr_private_segment_buffer 1
		.amdhsa_user_sgpr_dispatch_ptr 0
		.amdhsa_user_sgpr_queue_ptr 0
		.amdhsa_user_sgpr_kernarg_segment_ptr 1
		.amdhsa_user_sgpr_dispatch_id 0
		.amdhsa_user_sgpr_flat_scratch_init 0
		.amdhsa_user_sgpr_private_segment_size 0
		.amdhsa_uses_dynamic_stack 0
		.amdhsa_system_sgpr_private_segment_wavefront_offset 0
		.amdhsa_system_sgpr_workgroup_id_x 1
		.amdhsa_system_sgpr_workgroup_id_y 0
		.amdhsa_system_sgpr_workgroup_id_z 1
		.amdhsa_system_sgpr_workgroup_info 0
		.amdhsa_system_vgpr_workitem_id 0
		.amdhsa_next_free_vgpr 10
		.amdhsa_next_free_sgpr 24
		.amdhsa_reserve_vcc 1
		.amdhsa_reserve_flat_scratch 0
		.amdhsa_float_round_mode_32 0
		.amdhsa_float_round_mode_16_64 0
		.amdhsa_float_denorm_mode_32 3
		.amdhsa_float_denorm_mode_16_64 3
		.amdhsa_dx10_clamp 1
		.amdhsa_ieee_mode 1
		.amdhsa_fp16_overflow 0
		.amdhsa_exception_fp_ieee_invalid_op 0
		.amdhsa_exception_fp_denorm_src 0
		.amdhsa_exception_fp_ieee_div_zero 0
		.amdhsa_exception_fp_ieee_overflow 0
		.amdhsa_exception_fp_ieee_underflow 0
		.amdhsa_exception_fp_ieee_inexact 0
		.amdhsa_exception_int_div_zero 0
	.end_amdhsa_kernel
	.section	.text._ZL26rocblas_dot_kernel_inc1by2ILb1ELi1024ELi32ELb1EDF16_PKPKDF16_fEviT4_llS4_lliPT5_PT3_,"axG",@progbits,_ZL26rocblas_dot_kernel_inc1by2ILb1ELi1024ELi32ELb1EDF16_PKPKDF16_fEviT4_llS4_lliPT5_PT3_,comdat
.Lfunc_end166:
	.size	_ZL26rocblas_dot_kernel_inc1by2ILb1ELi1024ELi32ELb1EDF16_PKPKDF16_fEviT4_llS4_lliPT5_PT3_, .Lfunc_end166-_ZL26rocblas_dot_kernel_inc1by2ILb1ELi1024ELi32ELb1EDF16_PKPKDF16_fEviT4_llS4_lliPT5_PT3_
                                        ; -- End function
	.set _ZL26rocblas_dot_kernel_inc1by2ILb1ELi1024ELi32ELb1EDF16_PKPKDF16_fEviT4_llS4_lliPT5_PT3_.num_vgpr, 10
	.set _ZL26rocblas_dot_kernel_inc1by2ILb1ELi1024ELi32ELb1EDF16_PKPKDF16_fEviT4_llS4_lliPT5_PT3_.num_agpr, 0
	.set _ZL26rocblas_dot_kernel_inc1by2ILb1ELi1024ELi32ELb1EDF16_PKPKDF16_fEviT4_llS4_lliPT5_PT3_.numbered_sgpr, 24
	.set _ZL26rocblas_dot_kernel_inc1by2ILb1ELi1024ELi32ELb1EDF16_PKPKDF16_fEviT4_llS4_lliPT5_PT3_.num_named_barrier, 0
	.set _ZL26rocblas_dot_kernel_inc1by2ILb1ELi1024ELi32ELb1EDF16_PKPKDF16_fEviT4_llS4_lliPT5_PT3_.private_seg_size, 0
	.set _ZL26rocblas_dot_kernel_inc1by2ILb1ELi1024ELi32ELb1EDF16_PKPKDF16_fEviT4_llS4_lliPT5_PT3_.uses_vcc, 1
	.set _ZL26rocblas_dot_kernel_inc1by2ILb1ELi1024ELi32ELb1EDF16_PKPKDF16_fEviT4_llS4_lliPT5_PT3_.uses_flat_scratch, 0
	.set _ZL26rocblas_dot_kernel_inc1by2ILb1ELi1024ELi32ELb1EDF16_PKPKDF16_fEviT4_llS4_lliPT5_PT3_.has_dyn_sized_stack, 0
	.set _ZL26rocblas_dot_kernel_inc1by2ILb1ELi1024ELi32ELb1EDF16_PKPKDF16_fEviT4_llS4_lliPT5_PT3_.has_recursion, 0
	.set _ZL26rocblas_dot_kernel_inc1by2ILb1ELi1024ELi32ELb1EDF16_PKPKDF16_fEviT4_llS4_lliPT5_PT3_.has_indirect_call, 0
	.section	.AMDGPU.csdata,"",@progbits
; Kernel info:
; codeLenInByte = 928
; TotalNumSgprs: 28
; NumVgprs: 10
; ScratchSize: 0
; MemoryBound: 0
; FloatMode: 240
; IeeeMode: 1
; LDSByteSize: 256 bytes/workgroup (compile time only)
; SGPRBlocks: 3
; VGPRBlocks: 2
; NumSGPRsForWavesPerEU: 28
; NumVGPRsForWavesPerEU: 10
; Occupancy: 10
; WaveLimiterHint : 1
; COMPUTE_PGM_RSRC2:SCRATCH_EN: 0
; COMPUTE_PGM_RSRC2:USER_SGPR: 6
; COMPUTE_PGM_RSRC2:TRAP_HANDLER: 0
; COMPUTE_PGM_RSRC2:TGID_X_EN: 1
; COMPUTE_PGM_RSRC2:TGID_Y_EN: 0
; COMPUTE_PGM_RSRC2:TGID_Z_EN: 1
; COMPUTE_PGM_RSRC2:TIDIG_COMP_CNT: 0
	.section	.text._ZL18rocblas_dot_kernelIiLb1ELi1024ELi32ELb1EDF16_PKPKDF16_fEviT5_lT_lS4_lS5_liPT6_PT4_,"axG",@progbits,_ZL18rocblas_dot_kernelIiLb1ELi1024ELi32ELb1EDF16_PKPKDF16_fEviT5_lT_lS4_lS5_liPT6_PT4_,comdat
	.globl	_ZL18rocblas_dot_kernelIiLb1ELi1024ELi32ELb1EDF16_PKPKDF16_fEviT5_lT_lS4_lS5_liPT6_PT4_ ; -- Begin function _ZL18rocblas_dot_kernelIiLb1ELi1024ELi32ELb1EDF16_PKPKDF16_fEviT5_lT_lS4_lS5_liPT6_PT4_
	.p2align	8
	.type	_ZL18rocblas_dot_kernelIiLb1ELi1024ELi32ELb1EDF16_PKPKDF16_fEviT5_lT_lS4_lS5_liPT6_PT4_,@function
_ZL18rocblas_dot_kernelIiLb1ELi1024ELi32ELb1EDF16_PKPKDF16_fEviT5_lT_lS4_lS5_liPT6_PT4_: ; @_ZL18rocblas_dot_kernelIiLb1ELi1024ELi32ELb1EDF16_PKPKDF16_fEviT5_lT_lS4_lS5_liPT6_PT4_
; %bb.0:
	s_load_dword s14, s[4:5], 0x0
	s_load_dwordx2 s[8:9], s[4:5], 0x58
	s_mov_b32 s6, s7
	s_mov_b32 s7, 0
	v_mov_b32_e32 v5, 0
	s_waitcnt lgkmcnt(0)
	v_cmp_gt_i32_e32 vcc, s14, v0
	s_and_saveexec_b64 s[10:11], vcc
	s_cbranch_execz .LBB167_4
; %bb.1:
	s_load_dwordx4 s[16:19], s[4:5], 0x8
	s_load_dwordx4 s[0:3], s[4:5], 0x28
	s_load_dword s22, s[4:5], 0x18
	s_lshl_b64 s[12:13], s[6:7], 3
	s_waitcnt lgkmcnt(0)
	s_add_u32 s16, s16, s12
	s_addc_u32 s17, s17, s13
	s_load_dwordx2 s[20:21], s[16:17], 0x0
	s_load_dword s23, s[4:5], 0x38
	s_load_dword s15, s[4:5], 0x60
	v_mad_i64_i32 v[1:2], s[4:5], s22, v0, 0
	s_add_u32 s0, s0, s12
	s_addc_u32 s1, s1, s13
	s_waitcnt lgkmcnt(0)
	s_lshl_b32 s15, s15, 10
	s_lshl_b64 s[4:5], s[18:19], 1
	v_lshlrev_b64 v[1:2], 1, v[1:2]
	s_add_u32 s4, s20, s4
	s_addc_u32 s5, s21, s5
	s_load_dwordx2 s[0:1], s[0:1], 0x0
	v_mov_b32_e32 v3, s5
	v_add_co_u32_e32 v1, vcc, s4, v1
	v_addc_co_u32_e32 v2, vcc, v3, v2, vcc
	v_mad_i64_i32 v[3:4], s[4:5], s23, v0, 0
	s_mul_hi_i32 s5, s22, s15
	s_mul_i32 s4, s22, s15
	s_lshl_b64 s[4:5], s[4:5], 1
	s_lshl_b64 s[2:3], s[2:3], 1
	v_lshlrev_b64 v[3:4], 1, v[3:4]
	s_waitcnt lgkmcnt(0)
	s_add_u32 s0, s0, s2
	s_addc_u32 s1, s1, s3
	v_mov_b32_e32 v5, s1
	v_add_co_u32_e32 v3, vcc, s0, v3
	s_mul_hi_i32 s1, s23, s15
	s_mul_i32 s0, s23, s15
	s_lshl_b64 s[2:3], s[0:1], 1
	v_or_b32_e32 v6, s15, v0
	v_addc_co_u32_e32 v4, vcc, v5, v4, vcc
	v_mov_b32_e32 v5, 0
	s_mov_b64 s[12:13], 0
	v_mov_b32_e32 v7, s5
	v_mov_b32_e32 v8, s3
	s_mov_b32 s3, s7
.LBB167_2:                              ; =>This Inner Loop Header: Depth=1
	flat_load_ushort v9, v[3:4]
	flat_load_ushort v10, v[1:2]
	v_add_co_u32_e64 v1, s[0:1], s4, v1
	v_addc_co_u32_e64 v2, s[0:1], v2, v7, s[0:1]
	s_add_i32 s5, s3, 1
	v_add_co_u32_e64 v3, s[0:1], s2, v3
	v_addc_co_u32_e64 v4, s[0:1], v4, v8, s[0:1]
	s_cmp_gt_u32 s3, 30
	v_cmp_le_i32_e32 vcc, s14, v6
	s_cselect_b64 s[0:1], -1, 0
	s_or_b64 s[0:1], s[0:1], vcc
	s_and_b64 s[0:1], exec, s[0:1]
	v_add_u32_e32 v6, s15, v6
	s_mov_b32 s3, s5
	s_or_b64 s[12:13], s[0:1], s[12:13]
	s_waitcnt vmcnt(0) lgkmcnt(0)
	v_fma_mix_f32 v5, v9, v10, v5 op_sel_hi:[1,1,0]
	s_andn2_b64 exec, exec, s[12:13]
	s_cbranch_execnz .LBB167_2
; %bb.3:
	s_or_b64 exec, exec, s[12:13]
.LBB167_4:
	s_or_b64 exec, exec, s[10:11]
	v_and_b32_e32 v4, 63, v0
	v_cmp_gt_u32_e32 vcc, 64, v0
	v_lshlrev_b32_e32 v1, 2, v4
	s_and_saveexec_b64 s[0:1], vcc
; %bb.5:
	v_mov_b32_e32 v2, 0
	ds_write_b32 v1, v2
; %bb.6:
	s_or_b64 exec, exec, s[0:1]
	v_mbcnt_lo_u32_b32 v2, -1, 0
	v_mbcnt_hi_u32_b32 v6, -1, v2
	v_mov_b32_e32 v2, 0x80
	v_lshl_or_b32 v2, v6, 2, v2
	ds_bpermute_b32 v2, v2, v5
	v_and_b32_e32 v7, 63, v6
	v_cmp_gt_u32_e64 s[0:1], 48, v7
	v_cndmask_b32_e64 v3, 0, 16, s[0:1]
	v_cmp_gt_u32_e64 s[0:1], 56, v7
	s_waitcnt lgkmcnt(0)
	v_add_f32_e32 v5, v5, v2
	v_add_lshl_u32 v2, v3, v6, 2
	ds_bpermute_b32 v3, v2, v5
	v_cndmask_b32_e64 v2, 0, 8, s[0:1]
	v_add_lshl_u32 v2, v2, v6, 2
	v_cmp_gt_u32_e64 s[0:1], 60, v7
	s_waitcnt lgkmcnt(0)
	v_add_f32_e32 v5, v5, v3
	ds_bpermute_b32 v8, v2, v5
	v_cndmask_b32_e64 v3, 0, 4, s[0:1]
	v_add_lshl_u32 v3, v3, v6, 2
	v_cmp_gt_u32_e64 s[0:1], 62, v7
	s_waitcnt lgkmcnt(0)
	s_barrier
	v_add_f32_e32 v8, v5, v8
	ds_bpermute_b32 v9, v3, v8
	v_cndmask_b32_e64 v5, 0, 2, s[0:1]
	v_add_lshl_u32 v5, v5, v6, 2
	v_cmp_ne_u32_e64 s[0:1], 63, v7
	v_addc_co_u32_e64 v6, s[0:1], 0, v6, s[0:1]
	s_waitcnt lgkmcnt(0)
	v_add_f32_e32 v8, v8, v9
	ds_bpermute_b32 v9, v5, v8
	v_lshlrev_b32_e32 v6, 2, v6
	v_cmp_eq_u32_e64 s[0:1], 0, v4
	s_waitcnt lgkmcnt(0)
	v_add_f32_e32 v7, v8, v9
	ds_bpermute_b32 v8, v6, v7
	s_and_saveexec_b64 s[2:3], s[0:1]
	s_cbranch_execz .LBB167_8
; %bb.7:
	s_waitcnt lgkmcnt(0)
	v_add_f32_e32 v4, v7, v8
	v_lshrrev_b32_e32 v7, 4, v0
	v_and_b32_e32 v7, 60, v7
	ds_write_b32 v7, v4
.LBB167_8:
	s_or_b64 exec, exec, s[2:3]
	v_cmp_gt_u32_e64 s[0:1], 16, v0
	v_mov_b32_e32 v4, 0
	s_waitcnt lgkmcnt(0)
	s_barrier
	s_and_saveexec_b64 s[2:3], s[0:1]
	s_cbranch_execnz .LBB167_12
; %bb.9:
	s_or_b64 exec, exec, s[2:3]
	s_and_saveexec_b64 s[0:1], vcc
	s_cbranch_execnz .LBB167_13
.LBB167_10:
	s_or_b64 exec, exec, s[0:1]
	v_cmp_eq_u32_e32 vcc, 0, v0
	s_and_saveexec_b64 s[0:1], vcc
	s_cbranch_execnz .LBB167_14
.LBB167_11:
	s_endpgm
.LBB167_12:
	ds_read_b32 v4, v1
	s_or_b64 exec, exec, s[2:3]
	s_and_saveexec_b64 s[0:1], vcc
	s_cbranch_execz .LBB167_10
.LBB167_13:
	s_waitcnt lgkmcnt(0)
	ds_bpermute_b32 v1, v2, v4
	s_waitcnt lgkmcnt(0)
	v_add_f32_e32 v1, v4, v1
	ds_bpermute_b32 v2, v3, v1
	s_waitcnt lgkmcnt(0)
	v_add_f32_e32 v1, v1, v2
	;; [unrolled: 3-line block ×4, first 2 shown]
	s_or_b64 exec, exec, s[0:1]
	v_cmp_eq_u32_e32 vcc, 0, v0
	s_and_saveexec_b64 s[0:1], vcc
	s_cbranch_execz .LBB167_11
.LBB167_14:
	s_waitcnt lgkmcnt(0)
	v_cvt_f16_f32_e32 v0, v4
	s_lshl_b64 s[0:1], s[6:7], 1
	s_add_u32 s0, s8, s0
	s_addc_u32 s1, s9, s1
	v_mov_b32_e32 v1, 0
	global_store_short v1, v0, s[0:1]
	s_endpgm
	.section	.rodata,"a",@progbits
	.p2align	6, 0x0
	.amdhsa_kernel _ZL18rocblas_dot_kernelIiLb1ELi1024ELi32ELb1EDF16_PKPKDF16_fEviT5_lT_lS4_lS5_liPT6_PT4_
		.amdhsa_group_segment_fixed_size 256
		.amdhsa_private_segment_fixed_size 0
		.amdhsa_kernarg_size 352
		.amdhsa_user_sgpr_count 6
		.amdhsa_user_sgpr_private_segment_buffer 1
		.amdhsa_user_sgpr_dispatch_ptr 0
		.amdhsa_user_sgpr_queue_ptr 0
		.amdhsa_user_sgpr_kernarg_segment_ptr 1
		.amdhsa_user_sgpr_dispatch_id 0
		.amdhsa_user_sgpr_flat_scratch_init 0
		.amdhsa_user_sgpr_private_segment_size 0
		.amdhsa_uses_dynamic_stack 0
		.amdhsa_system_sgpr_private_segment_wavefront_offset 0
		.amdhsa_system_sgpr_workgroup_id_x 1
		.amdhsa_system_sgpr_workgroup_id_y 0
		.amdhsa_system_sgpr_workgroup_id_z 1
		.amdhsa_system_sgpr_workgroup_info 0
		.amdhsa_system_vgpr_workitem_id 0
		.amdhsa_next_free_vgpr 11
		.amdhsa_next_free_sgpr 24
		.amdhsa_reserve_vcc 1
		.amdhsa_reserve_flat_scratch 0
		.amdhsa_float_round_mode_32 0
		.amdhsa_float_round_mode_16_64 0
		.amdhsa_float_denorm_mode_32 3
		.amdhsa_float_denorm_mode_16_64 3
		.amdhsa_dx10_clamp 1
		.amdhsa_ieee_mode 1
		.amdhsa_fp16_overflow 0
		.amdhsa_exception_fp_ieee_invalid_op 0
		.amdhsa_exception_fp_denorm_src 0
		.amdhsa_exception_fp_ieee_div_zero 0
		.amdhsa_exception_fp_ieee_overflow 0
		.amdhsa_exception_fp_ieee_underflow 0
		.amdhsa_exception_fp_ieee_inexact 0
		.amdhsa_exception_int_div_zero 0
	.end_amdhsa_kernel
	.section	.text._ZL18rocblas_dot_kernelIiLb1ELi1024ELi32ELb1EDF16_PKPKDF16_fEviT5_lT_lS4_lS5_liPT6_PT4_,"axG",@progbits,_ZL18rocblas_dot_kernelIiLb1ELi1024ELi32ELb1EDF16_PKPKDF16_fEviT5_lT_lS4_lS5_liPT6_PT4_,comdat
.Lfunc_end167:
	.size	_ZL18rocblas_dot_kernelIiLb1ELi1024ELi32ELb1EDF16_PKPKDF16_fEviT5_lT_lS4_lS5_liPT6_PT4_, .Lfunc_end167-_ZL18rocblas_dot_kernelIiLb1ELi1024ELi32ELb1EDF16_PKPKDF16_fEviT5_lT_lS4_lS5_liPT6_PT4_
                                        ; -- End function
	.set _ZL18rocblas_dot_kernelIiLb1ELi1024ELi32ELb1EDF16_PKPKDF16_fEviT5_lT_lS4_lS5_liPT6_PT4_.num_vgpr, 11
	.set _ZL18rocblas_dot_kernelIiLb1ELi1024ELi32ELb1EDF16_PKPKDF16_fEviT5_lT_lS4_lS5_liPT6_PT4_.num_agpr, 0
	.set _ZL18rocblas_dot_kernelIiLb1ELi1024ELi32ELb1EDF16_PKPKDF16_fEviT5_lT_lS4_lS5_liPT6_PT4_.numbered_sgpr, 24
	.set _ZL18rocblas_dot_kernelIiLb1ELi1024ELi32ELb1EDF16_PKPKDF16_fEviT5_lT_lS4_lS5_liPT6_PT4_.num_named_barrier, 0
	.set _ZL18rocblas_dot_kernelIiLb1ELi1024ELi32ELb1EDF16_PKPKDF16_fEviT5_lT_lS4_lS5_liPT6_PT4_.private_seg_size, 0
	.set _ZL18rocblas_dot_kernelIiLb1ELi1024ELi32ELb1EDF16_PKPKDF16_fEviT5_lT_lS4_lS5_liPT6_PT4_.uses_vcc, 1
	.set _ZL18rocblas_dot_kernelIiLb1ELi1024ELi32ELb1EDF16_PKPKDF16_fEviT5_lT_lS4_lS5_liPT6_PT4_.uses_flat_scratch, 0
	.set _ZL18rocblas_dot_kernelIiLb1ELi1024ELi32ELb1EDF16_PKPKDF16_fEviT5_lT_lS4_lS5_liPT6_PT4_.has_dyn_sized_stack, 0
	.set _ZL18rocblas_dot_kernelIiLb1ELi1024ELi32ELb1EDF16_PKPKDF16_fEviT5_lT_lS4_lS5_liPT6_PT4_.has_recursion, 0
	.set _ZL18rocblas_dot_kernelIiLb1ELi1024ELi32ELb1EDF16_PKPKDF16_fEviT5_lT_lS4_lS5_liPT6_PT4_.has_indirect_call, 0
	.section	.AMDGPU.csdata,"",@progbits
; Kernel info:
; codeLenInByte = 896
; TotalNumSgprs: 28
; NumVgprs: 11
; ScratchSize: 0
; MemoryBound: 0
; FloatMode: 240
; IeeeMode: 1
; LDSByteSize: 256 bytes/workgroup (compile time only)
; SGPRBlocks: 3
; VGPRBlocks: 2
; NumSGPRsForWavesPerEU: 28
; NumVGPRsForWavesPerEU: 11
; Occupancy: 10
; WaveLimiterHint : 0
; COMPUTE_PGM_RSRC2:SCRATCH_EN: 0
; COMPUTE_PGM_RSRC2:USER_SGPR: 6
; COMPUTE_PGM_RSRC2:TRAP_HANDLER: 0
; COMPUTE_PGM_RSRC2:TGID_X_EN: 1
; COMPUTE_PGM_RSRC2:TGID_Y_EN: 0
; COMPUTE_PGM_RSRC2:TGID_Z_EN: 1
; COMPUTE_PGM_RSRC2:TIDIG_COMP_CNT: 0
	.section	.text._ZL24rocblas_dot_kernel_magsqIiLb1ELi1024ELi32ELb1EDF16_PKPKDF16_fEviT5_lT_liPT6_PT4_,"axG",@progbits,_ZL24rocblas_dot_kernel_magsqIiLb1ELi1024ELi32ELb1EDF16_PKPKDF16_fEviT5_lT_liPT6_PT4_,comdat
	.globl	_ZL24rocblas_dot_kernel_magsqIiLb1ELi1024ELi32ELb1EDF16_PKPKDF16_fEviT5_lT_liPT6_PT4_ ; -- Begin function _ZL24rocblas_dot_kernel_magsqIiLb1ELi1024ELi32ELb1EDF16_PKPKDF16_fEviT5_lT_liPT6_PT4_
	.p2align	8
	.type	_ZL24rocblas_dot_kernel_magsqIiLb1ELi1024ELi32ELb1EDF16_PKPKDF16_fEviT5_lT_liPT6_PT4_,@function
_ZL24rocblas_dot_kernel_magsqIiLb1ELi1024ELi32ELb1EDF16_PKPKDF16_fEviT5_lT_liPT6_PT4_: ; @_ZL24rocblas_dot_kernel_magsqIiLb1ELi1024ELi32ELb1EDF16_PKPKDF16_fEviT5_lT_liPT6_PT4_
; %bb.0:
	s_mov_b32 s2, s7
	s_load_dword s12, s[4:5], 0x0
	s_load_dwordx2 s[6:7], s[4:5], 0x38
	s_mov_b32 s3, 0
	v_mov_b32_e32 v3, 0
	s_waitcnt lgkmcnt(0)
	v_cmp_gt_i32_e32 vcc, s12, v0
	s_and_saveexec_b64 s[8:9], vcc
	s_cbranch_execz .LBB168_4
; %bb.1:
	s_load_dwordx4 s[16:19], s[4:5], 0x8
	s_lshl_b64 s[0:1], s[2:3], 3
	s_load_dword s10, s[4:5], 0x18
	s_load_dword s11, s[4:5], 0x40
	s_waitcnt lgkmcnt(0)
	s_add_u32 s0, s16, s0
	s_addc_u32 s1, s17, s1
	s_load_dwordx2 s[0:1], s[0:1], 0x0
	v_mad_i64_i32 v[1:2], s[4:5], s10, v0, 0
	s_lshl_b32 s13, s11, 10
	s_lshl_b64 s[4:5], s[18:19], 1
	v_lshlrev_b64 v[1:2], 1, v[1:2]
	s_waitcnt lgkmcnt(0)
	s_add_u32 s0, s0, s4
	s_addc_u32 s1, s1, s5
	v_mov_b32_e32 v3, s1
	v_add_co_u32_e32 v1, vcc, s0, v1
	s_mul_hi_i32 s1, s10, s13
	s_mul_i32 s0, s10, s13
	s_lshl_b64 s[4:5], s[0:1], 1
	v_or_b32_e32 v4, s13, v0
	v_addc_co_u32_e32 v2, vcc, v3, v2, vcc
	v_mov_b32_e32 v3, 0
	s_mov_b64 s[10:11], 0
	v_mov_b32_e32 v5, s5
	s_mov_b32 s5, s3
.LBB168_2:                              ; =>This Inner Loop Header: Depth=1
	flat_load_ushort v6, v[1:2]
	s_add_i32 s14, s5, 1
	v_add_co_u32_e64 v1, s[0:1], s4, v1
	v_addc_co_u32_e64 v2, s[0:1], v2, v5, s[0:1]
	s_cmp_gt_u32 s5, 30
	v_cmp_le_i32_e32 vcc, s12, v4
	s_cselect_b64 s[0:1], -1, 0
	s_or_b64 s[0:1], s[0:1], vcc
	s_and_b64 s[0:1], exec, s[0:1]
	v_add_u32_e32 v4, s13, v4
	s_mov_b32 s5, s14
	s_or_b64 s[10:11], s[0:1], s[10:11]
	s_waitcnt vmcnt(0) lgkmcnt(0)
	v_fma_mix_f32 v3, v6, v6, v3 op_sel_hi:[1,1,0]
	s_andn2_b64 exec, exec, s[10:11]
	s_cbranch_execnz .LBB168_2
; %bb.3:
	s_or_b64 exec, exec, s[10:11]
.LBB168_4:
	s_or_b64 exec, exec, s[8:9]
	v_and_b32_e32 v4, 63, v0
	v_cmp_gt_u32_e32 vcc, 64, v0
	v_lshlrev_b32_e32 v1, 2, v4
	s_and_saveexec_b64 s[0:1], vcc
; %bb.5:
	v_mov_b32_e32 v2, 0
	ds_write_b32 v1, v2
; %bb.6:
	s_or_b64 exec, exec, s[0:1]
	v_mbcnt_lo_u32_b32 v2, -1, 0
	v_mbcnt_hi_u32_b32 v6, -1, v2
	v_mov_b32_e32 v2, 0x80
	v_lshl_or_b32 v2, v6, 2, v2
	ds_bpermute_b32 v2, v2, v3
	v_and_b32_e32 v7, 63, v6
	v_cmp_gt_u32_e64 s[0:1], 48, v7
	v_cndmask_b32_e64 v5, 0, 16, s[0:1]
	v_cmp_gt_u32_e64 s[0:1], 56, v7
	s_waitcnt lgkmcnt(0)
	v_add_f32_e32 v3, v3, v2
	v_add_lshl_u32 v2, v5, v6, 2
	ds_bpermute_b32 v5, v2, v3
	v_cndmask_b32_e64 v2, 0, 8, s[0:1]
	v_add_lshl_u32 v2, v2, v6, 2
	v_cmp_gt_u32_e64 s[0:1], 60, v7
	s_waitcnt lgkmcnt(0)
	v_add_f32_e32 v5, v3, v5
	ds_bpermute_b32 v8, v2, v5
	v_cndmask_b32_e64 v3, 0, 4, s[0:1]
	v_add_lshl_u32 v3, v3, v6, 2
	v_cmp_gt_u32_e64 s[0:1], 62, v7
	s_waitcnt lgkmcnt(0)
	s_barrier
	v_add_f32_e32 v8, v5, v8
	ds_bpermute_b32 v9, v3, v8
	v_cndmask_b32_e64 v5, 0, 2, s[0:1]
	v_add_lshl_u32 v5, v5, v6, 2
	v_cmp_ne_u32_e64 s[0:1], 63, v7
	v_addc_co_u32_e64 v6, s[0:1], 0, v6, s[0:1]
	s_waitcnt lgkmcnt(0)
	v_add_f32_e32 v8, v8, v9
	ds_bpermute_b32 v9, v5, v8
	v_lshlrev_b32_e32 v6, 2, v6
	v_cmp_eq_u32_e64 s[0:1], 0, v4
	s_waitcnt lgkmcnt(0)
	v_add_f32_e32 v7, v8, v9
	ds_bpermute_b32 v8, v6, v7
	s_and_saveexec_b64 s[4:5], s[0:1]
	s_cbranch_execz .LBB168_8
; %bb.7:
	s_waitcnt lgkmcnt(0)
	v_add_f32_e32 v4, v7, v8
	v_lshrrev_b32_e32 v7, 4, v0
	v_and_b32_e32 v7, 60, v7
	ds_write_b32 v7, v4
.LBB168_8:
	s_or_b64 exec, exec, s[4:5]
	v_cmp_gt_u32_e64 s[0:1], 16, v0
	v_mov_b32_e32 v4, 0
	s_waitcnt lgkmcnt(0)
	s_barrier
	s_and_saveexec_b64 s[4:5], s[0:1]
	s_cbranch_execnz .LBB168_12
; %bb.9:
	s_or_b64 exec, exec, s[4:5]
	s_and_saveexec_b64 s[0:1], vcc
	s_cbranch_execnz .LBB168_13
.LBB168_10:
	s_or_b64 exec, exec, s[0:1]
	v_cmp_eq_u32_e32 vcc, 0, v0
	s_and_saveexec_b64 s[0:1], vcc
	s_cbranch_execnz .LBB168_14
.LBB168_11:
	s_endpgm
.LBB168_12:
	ds_read_b32 v4, v1
	s_or_b64 exec, exec, s[4:5]
	s_and_saveexec_b64 s[0:1], vcc
	s_cbranch_execz .LBB168_10
.LBB168_13:
	s_waitcnt lgkmcnt(0)
	ds_bpermute_b32 v1, v2, v4
	s_waitcnt lgkmcnt(0)
	v_add_f32_e32 v1, v4, v1
	ds_bpermute_b32 v2, v3, v1
	s_waitcnt lgkmcnt(0)
	v_add_f32_e32 v1, v1, v2
	;; [unrolled: 3-line block ×4, first 2 shown]
	s_or_b64 exec, exec, s[0:1]
	v_cmp_eq_u32_e32 vcc, 0, v0
	s_and_saveexec_b64 s[0:1], vcc
	s_cbranch_execz .LBB168_11
.LBB168_14:
	s_waitcnt lgkmcnt(0)
	v_cvt_f16_f32_e32 v0, v4
	s_lshl_b64 s[0:1], s[2:3], 1
	s_add_u32 s0, s6, s0
	s_addc_u32 s1, s7, s1
	v_mov_b32_e32 v1, 0
	global_store_short v1, v0, s[0:1]
	s_endpgm
	.section	.rodata,"a",@progbits
	.p2align	6, 0x0
	.amdhsa_kernel _ZL24rocblas_dot_kernel_magsqIiLb1ELi1024ELi32ELb1EDF16_PKPKDF16_fEviT5_lT_liPT6_PT4_
		.amdhsa_group_segment_fixed_size 256
		.amdhsa_private_segment_fixed_size 0
		.amdhsa_kernarg_size 320
		.amdhsa_user_sgpr_count 6
		.amdhsa_user_sgpr_private_segment_buffer 1
		.amdhsa_user_sgpr_dispatch_ptr 0
		.amdhsa_user_sgpr_queue_ptr 0
		.amdhsa_user_sgpr_kernarg_segment_ptr 1
		.amdhsa_user_sgpr_dispatch_id 0
		.amdhsa_user_sgpr_flat_scratch_init 0
		.amdhsa_user_sgpr_private_segment_size 0
		.amdhsa_uses_dynamic_stack 0
		.amdhsa_system_sgpr_private_segment_wavefront_offset 0
		.amdhsa_system_sgpr_workgroup_id_x 1
		.amdhsa_system_sgpr_workgroup_id_y 0
		.amdhsa_system_sgpr_workgroup_id_z 1
		.amdhsa_system_sgpr_workgroup_info 0
		.amdhsa_system_vgpr_workitem_id 0
		.amdhsa_next_free_vgpr 10
		.amdhsa_next_free_sgpr 20
		.amdhsa_reserve_vcc 1
		.amdhsa_reserve_flat_scratch 0
		.amdhsa_float_round_mode_32 0
		.amdhsa_float_round_mode_16_64 0
		.amdhsa_float_denorm_mode_32 3
		.amdhsa_float_denorm_mode_16_64 3
		.amdhsa_dx10_clamp 1
		.amdhsa_ieee_mode 1
		.amdhsa_fp16_overflow 0
		.amdhsa_exception_fp_ieee_invalid_op 0
		.amdhsa_exception_fp_denorm_src 0
		.amdhsa_exception_fp_ieee_div_zero 0
		.amdhsa_exception_fp_ieee_overflow 0
		.amdhsa_exception_fp_ieee_underflow 0
		.amdhsa_exception_fp_ieee_inexact 0
		.amdhsa_exception_int_div_zero 0
	.end_amdhsa_kernel
	.section	.text._ZL24rocblas_dot_kernel_magsqIiLb1ELi1024ELi32ELb1EDF16_PKPKDF16_fEviT5_lT_liPT6_PT4_,"axG",@progbits,_ZL24rocblas_dot_kernel_magsqIiLb1ELi1024ELi32ELb1EDF16_PKPKDF16_fEviT5_lT_liPT6_PT4_,comdat
.Lfunc_end168:
	.size	_ZL24rocblas_dot_kernel_magsqIiLb1ELi1024ELi32ELb1EDF16_PKPKDF16_fEviT5_lT_liPT6_PT4_, .Lfunc_end168-_ZL24rocblas_dot_kernel_magsqIiLb1ELi1024ELi32ELb1EDF16_PKPKDF16_fEviT5_lT_liPT6_PT4_
                                        ; -- End function
	.set _ZL24rocblas_dot_kernel_magsqIiLb1ELi1024ELi32ELb1EDF16_PKPKDF16_fEviT5_lT_liPT6_PT4_.num_vgpr, 10
	.set _ZL24rocblas_dot_kernel_magsqIiLb1ELi1024ELi32ELb1EDF16_PKPKDF16_fEviT5_lT_liPT6_PT4_.num_agpr, 0
	.set _ZL24rocblas_dot_kernel_magsqIiLb1ELi1024ELi32ELb1EDF16_PKPKDF16_fEviT5_lT_liPT6_PT4_.numbered_sgpr, 20
	.set _ZL24rocblas_dot_kernel_magsqIiLb1ELi1024ELi32ELb1EDF16_PKPKDF16_fEviT5_lT_liPT6_PT4_.num_named_barrier, 0
	.set _ZL24rocblas_dot_kernel_magsqIiLb1ELi1024ELi32ELb1EDF16_PKPKDF16_fEviT5_lT_liPT6_PT4_.private_seg_size, 0
	.set _ZL24rocblas_dot_kernel_magsqIiLb1ELi1024ELi32ELb1EDF16_PKPKDF16_fEviT5_lT_liPT6_PT4_.uses_vcc, 1
	.set _ZL24rocblas_dot_kernel_magsqIiLb1ELi1024ELi32ELb1EDF16_PKPKDF16_fEviT5_lT_liPT6_PT4_.uses_flat_scratch, 0
	.set _ZL24rocblas_dot_kernel_magsqIiLb1ELi1024ELi32ELb1EDF16_PKPKDF16_fEviT5_lT_liPT6_PT4_.has_dyn_sized_stack, 0
	.set _ZL24rocblas_dot_kernel_magsqIiLb1ELi1024ELi32ELb1EDF16_PKPKDF16_fEviT5_lT_liPT6_PT4_.has_recursion, 0
	.set _ZL24rocblas_dot_kernel_magsqIiLb1ELi1024ELi32ELb1EDF16_PKPKDF16_fEviT5_lT_liPT6_PT4_.has_indirect_call, 0
	.section	.AMDGPU.csdata,"",@progbits
; Kernel info:
; codeLenInByte = 780
; TotalNumSgprs: 24
; NumVgprs: 10
; ScratchSize: 0
; MemoryBound: 0
; FloatMode: 240
; IeeeMode: 1
; LDSByteSize: 256 bytes/workgroup (compile time only)
; SGPRBlocks: 2
; VGPRBlocks: 2
; NumSGPRsForWavesPerEU: 24
; NumVGPRsForWavesPerEU: 10
; Occupancy: 10
; WaveLimiterHint : 0
; COMPUTE_PGM_RSRC2:SCRATCH_EN: 0
; COMPUTE_PGM_RSRC2:USER_SGPR: 6
; COMPUTE_PGM_RSRC2:TRAP_HANDLER: 0
; COMPUTE_PGM_RSRC2:TGID_X_EN: 1
; COMPUTE_PGM_RSRC2:TGID_Y_EN: 0
; COMPUTE_PGM_RSRC2:TGID_Z_EN: 1
; COMPUTE_PGM_RSRC2:TIDIG_COMP_CNT: 0
	.section	.text._ZL23rocblas_dot_kernel_inc1ILb0ELi512ELi8ELb1EDF16_PKPKDF16_fEviT4_llS4_lliPT5_PT3_,"axG",@progbits,_ZL23rocblas_dot_kernel_inc1ILb0ELi512ELi8ELb1EDF16_PKPKDF16_fEviT4_llS4_lliPT5_PT3_,comdat
	.globl	_ZL23rocblas_dot_kernel_inc1ILb0ELi512ELi8ELb1EDF16_PKPKDF16_fEviT4_llS4_lliPT5_PT3_ ; -- Begin function _ZL23rocblas_dot_kernel_inc1ILb0ELi512ELi8ELb1EDF16_PKPKDF16_fEviT4_llS4_lliPT5_PT3_
	.p2align	8
	.type	_ZL23rocblas_dot_kernel_inc1ILb0ELi512ELi8ELb1EDF16_PKPKDF16_fEviT4_llS4_lliPT5_PT3_,@function
_ZL23rocblas_dot_kernel_inc1ILb0ELi512ELi8ELb1EDF16_PKPKDF16_fEviT4_llS4_lliPT5_PT3_: ; @_ZL23rocblas_dot_kernel_inc1ILb0ELi512ELi8ELb1EDF16_PKPKDF16_fEviT4_llS4_lliPT5_PT3_
; %bb.0:
	s_mov_b32 s2, s7
	s_load_dword s18, s[4:5], 0x50
	s_load_dword s7, s[4:5], 0x0
	s_load_dwordx4 s[8:11], s[4:5], 0x40
	v_lshl_or_b32 v3, s6, 9, v0
	s_mov_b32 s3, 0
	v_mov_b32_e32 v5, 0
	s_waitcnt lgkmcnt(0)
	v_cmp_gt_i32_e32 vcc, s7, v3
	s_and_saveexec_b64 s[12:13], vcc
	s_cbranch_execz .LBB169_4
; %bb.1:
	s_load_dwordx4 s[20:23], s[4:5], 0x8
	s_load_dwordx4 s[24:27], s[4:5], 0x20
	s_lshl_b64 s[0:1], s[2:3], 3
	v_ashrrev_i32_e32 v4, 31, v3
	v_lshlrev_b64 v[1:2], 1, v[3:4]
	s_waitcnt lgkmcnt(0)
	s_add_u32 s4, s20, s0
	s_addc_u32 s5, s21, s1
	s_load_dwordx2 s[4:5], s[4:5], 0x0
	s_lshl_b64 s[14:15], s[22:23], 1
	v_mov_b32_e32 v5, 0
	s_waitcnt lgkmcnt(0)
	s_add_u32 s19, s4, s14
	s_addc_u32 s14, s5, s15
	s_add_u32 s0, s24, s0
	s_addc_u32 s1, s25, s1
	s_load_dwordx2 s[0:1], s[0:1], 0x0
	v_mov_b32_e32 v4, s14
	s_lshl_b64 s[14:15], s[26:27], 1
	s_mov_b64 s[4:5], 0
	s_waitcnt lgkmcnt(0)
	s_add_u32 s20, s0, s14
	s_addc_u32 s0, s1, s15
	s_lshl_b32 s14, s18, 9
	s_ashr_i32 s15, s14, 31
	s_lshl_b64 s[16:17], s[14:15], 1
	v_add_u32_e32 v3, s14, v3
	v_mov_b32_e32 v6, s0
	v_mov_b32_e32 v7, s17
	s_mov_b32 s15, s3
.LBB169_2:                              ; =>This Inner Loop Header: Depth=1
	v_add_co_u32_e32 v8, vcc, s20, v1
	v_addc_co_u32_e32 v9, vcc, v6, v2, vcc
	v_add_co_u32_e32 v10, vcc, s19, v1
	v_addc_co_u32_e32 v11, vcc, v4, v2, vcc
	flat_load_ushort v12, v[8:9]
	flat_load_ushort v13, v[10:11]
	s_add_i32 s17, s15, 1
	v_add_co_u32_e64 v1, s[0:1], s16, v1
	v_addc_co_u32_e64 v2, s[0:1], v2, v7, s[0:1]
	s_cmp_gt_u32 s15, 6
	v_cmp_le_i32_e32 vcc, s7, v3
	s_cselect_b64 s[0:1], -1, 0
	s_or_b64 s[0:1], s[0:1], vcc
	s_and_b64 s[0:1], exec, s[0:1]
	v_add_u32_e32 v3, s14, v3
	s_mov_b32 s15, s17
	s_or_b64 s[4:5], s[0:1], s[4:5]
	s_waitcnt vmcnt(0) lgkmcnt(0)
	v_fma_mix_f32 v5, v12, v13, v5 op_sel_hi:[1,1,0]
	s_andn2_b64 exec, exec, s[4:5]
	s_cbranch_execnz .LBB169_2
; %bb.3:
	s_or_b64 exec, exec, s[4:5]
.LBB169_4:
	s_or_b64 exec, exec, s[12:13]
	v_and_b32_e32 v2, 63, v0
	v_cmp_gt_u32_e32 vcc, 64, v0
	v_lshlrev_b32_e32 v1, 2, v2
	s_and_saveexec_b64 s[0:1], vcc
; %bb.5:
	v_mov_b32_e32 v3, 0
	ds_write_b32 v1, v3
; %bb.6:
	s_or_b64 exec, exec, s[0:1]
	v_mbcnt_lo_u32_b32 v3, -1, 0
	v_mbcnt_hi_u32_b32 v6, -1, v3
	v_mov_b32_e32 v3, 0x80
	v_lshl_or_b32 v3, v6, 2, v3
	ds_bpermute_b32 v3, v3, v5
	v_and_b32_e32 v7, 63, v6
	v_cmp_gt_u32_e64 s[0:1], 48, v7
	v_cndmask_b32_e64 v4, 0, 16, s[0:1]
	v_add_lshl_u32 v4, v4, v6, 2
	s_waitcnt lgkmcnt(0)
	v_add_f32_e32 v3, v5, v3
	ds_bpermute_b32 v4, v4, v3
	v_cmp_gt_u32_e64 s[0:1], 56, v7
	v_cndmask_b32_e64 v5, 0, 8, s[0:1]
	v_add_lshl_u32 v5, v5, v6, 2
	v_cmp_gt_u32_e64 s[0:1], 60, v7
	s_waitcnt lgkmcnt(0)
	v_add_f32_e32 v4, v3, v4
	ds_bpermute_b32 v5, v5, v4
	v_cndmask_b32_e64 v3, 0, 4, s[0:1]
	v_add_lshl_u32 v3, v3, v6, 2
	v_cmp_gt_u32_e64 s[0:1], 62, v7
	s_waitcnt lgkmcnt(0)
	v_add_f32_e32 v5, v4, v5
	ds_bpermute_b32 v8, v3, v5
	v_cndmask_b32_e64 v4, 0, 2, s[0:1]
	v_add_lshl_u32 v4, v4, v6, 2
	v_cmp_ne_u32_e64 s[0:1], 63, v7
	v_addc_co_u32_e64 v7, s[0:1], 0, v6, s[0:1]
	s_waitcnt lgkmcnt(0)
	v_add_f32_e32 v5, v5, v8
	ds_bpermute_b32 v8, v4, v5
	v_cmp_eq_u32_e64 s[0:1], 0, v2
	s_waitcnt lgkmcnt(0)
	s_barrier
	v_add_f32_e32 v6, v5, v8
	v_lshlrev_b32_e32 v5, 2, v7
	ds_bpermute_b32 v7, v5, v6
	s_and_saveexec_b64 s[4:5], s[0:1]
	s_cbranch_execz .LBB169_8
; %bb.7:
	s_waitcnt lgkmcnt(0)
	v_add_f32_e32 v2, v6, v7
	v_lshrrev_b32_e32 v6, 4, v0
	v_and_b32_e32 v6, 28, v6
	ds_write_b32 v6, v2
.LBB169_8:
	s_or_b64 exec, exec, s[4:5]
	v_cmp_gt_u32_e64 s[0:1], 8, v0
	v_mov_b32_e32 v2, 0
	s_waitcnt lgkmcnt(0)
	s_barrier
	s_and_saveexec_b64 s[4:5], s[0:1]
	s_cbranch_execnz .LBB169_12
; %bb.9:
	s_or_b64 exec, exec, s[4:5]
	s_and_saveexec_b64 s[0:1], vcc
	s_cbranch_execnz .LBB169_13
.LBB169_10:
	s_or_b64 exec, exec, s[0:1]
	v_cmp_eq_u32_e32 vcc, 0, v0
	s_and_saveexec_b64 s[0:1], vcc
	s_cbranch_execnz .LBB169_14
.LBB169_11:
	s_endpgm
.LBB169_12:
	ds_read_b32 v2, v1
	s_or_b64 exec, exec, s[4:5]
	s_and_saveexec_b64 s[0:1], vcc
	s_cbranch_execz .LBB169_10
.LBB169_13:
	s_waitcnt lgkmcnt(0)
	ds_bpermute_b32 v1, v3, v2
	s_waitcnt lgkmcnt(0)
	v_add_f32_e32 v1, v2, v1
	ds_bpermute_b32 v2, v4, v1
	s_waitcnt lgkmcnt(0)
	v_add_f32_e32 v1, v1, v2
	;; [unrolled: 3-line block ×3, first 2 shown]
	s_or_b64 exec, exec, s[0:1]
	v_cmp_eq_u32_e32 vcc, 0, v0
	s_and_saveexec_b64 s[0:1], vcc
	s_cbranch_execz .LBB169_11
.LBB169_14:
	s_cmp_lg_u32 s18, 1
	s_mov_b64 s[0:1], -1
	s_cbranch_scc0 .LBB169_16
; %bb.15:
	s_mul_hi_u32 s1, s18, s2
	s_mul_i32 s0, s18, s2
	s_lshl_b64 s[0:1], s[0:1], 2
	s_mov_b32 s7, 0
	s_add_u32 s4, s8, s0
	s_addc_u32 s5, s9, s1
	s_lshl_b64 s[0:1], s[6:7], 2
	s_add_u32 s0, s4, s0
	s_addc_u32 s1, s5, s1
	v_mov_b32_e32 v0, 0
	s_waitcnt lgkmcnt(0)
	global_store_dword v0, v2, s[0:1]
	s_mov_b64 s[0:1], 0
.LBB169_16:
	s_andn2_b64 vcc, exec, s[0:1]
	s_cbranch_vccnz .LBB169_11
; %bb.17:
	s_waitcnt lgkmcnt(0)
	v_cvt_f16_f32_e32 v0, v2
	s_lshl_b64 s[0:1], s[2:3], 1
	s_add_u32 s0, s10, s0
	s_addc_u32 s1, s11, s1
	v_mov_b32_e32 v1, 0
	global_store_short v1, v0, s[0:1]
	s_endpgm
	.section	.rodata,"a",@progbits
	.p2align	6, 0x0
	.amdhsa_kernel _ZL23rocblas_dot_kernel_inc1ILb0ELi512ELi8ELb1EDF16_PKPKDF16_fEviT4_llS4_lliPT5_PT3_
		.amdhsa_group_segment_fixed_size 256
		.amdhsa_private_segment_fixed_size 0
		.amdhsa_kernarg_size 336
		.amdhsa_user_sgpr_count 6
		.amdhsa_user_sgpr_private_segment_buffer 1
		.amdhsa_user_sgpr_dispatch_ptr 0
		.amdhsa_user_sgpr_queue_ptr 0
		.amdhsa_user_sgpr_kernarg_segment_ptr 1
		.amdhsa_user_sgpr_dispatch_id 0
		.amdhsa_user_sgpr_flat_scratch_init 0
		.amdhsa_user_sgpr_private_segment_size 0
		.amdhsa_uses_dynamic_stack 0
		.amdhsa_system_sgpr_private_segment_wavefront_offset 0
		.amdhsa_system_sgpr_workgroup_id_x 1
		.amdhsa_system_sgpr_workgroup_id_y 0
		.amdhsa_system_sgpr_workgroup_id_z 1
		.amdhsa_system_sgpr_workgroup_info 0
		.amdhsa_system_vgpr_workitem_id 0
		.amdhsa_next_free_vgpr 14
		.amdhsa_next_free_sgpr 28
		.amdhsa_reserve_vcc 1
		.amdhsa_reserve_flat_scratch 0
		.amdhsa_float_round_mode_32 0
		.amdhsa_float_round_mode_16_64 0
		.amdhsa_float_denorm_mode_32 3
		.amdhsa_float_denorm_mode_16_64 3
		.amdhsa_dx10_clamp 1
		.amdhsa_ieee_mode 1
		.amdhsa_fp16_overflow 0
		.amdhsa_exception_fp_ieee_invalid_op 0
		.amdhsa_exception_fp_denorm_src 0
		.amdhsa_exception_fp_ieee_div_zero 0
		.amdhsa_exception_fp_ieee_overflow 0
		.amdhsa_exception_fp_ieee_underflow 0
		.amdhsa_exception_fp_ieee_inexact 0
		.amdhsa_exception_int_div_zero 0
	.end_amdhsa_kernel
	.section	.text._ZL23rocblas_dot_kernel_inc1ILb0ELi512ELi8ELb1EDF16_PKPKDF16_fEviT4_llS4_lliPT5_PT3_,"axG",@progbits,_ZL23rocblas_dot_kernel_inc1ILb0ELi512ELi8ELb1EDF16_PKPKDF16_fEviT4_llS4_lliPT5_PT3_,comdat
.Lfunc_end169:
	.size	_ZL23rocblas_dot_kernel_inc1ILb0ELi512ELi8ELb1EDF16_PKPKDF16_fEviT4_llS4_lliPT5_PT3_, .Lfunc_end169-_ZL23rocblas_dot_kernel_inc1ILb0ELi512ELi8ELb1EDF16_PKPKDF16_fEviT4_llS4_lliPT5_PT3_
                                        ; -- End function
	.set _ZL23rocblas_dot_kernel_inc1ILb0ELi512ELi8ELb1EDF16_PKPKDF16_fEviT4_llS4_lliPT5_PT3_.num_vgpr, 14
	.set _ZL23rocblas_dot_kernel_inc1ILb0ELi512ELi8ELb1EDF16_PKPKDF16_fEviT4_llS4_lliPT5_PT3_.num_agpr, 0
	.set _ZL23rocblas_dot_kernel_inc1ILb0ELi512ELi8ELb1EDF16_PKPKDF16_fEviT4_llS4_lliPT5_PT3_.numbered_sgpr, 28
	.set _ZL23rocblas_dot_kernel_inc1ILb0ELi512ELi8ELb1EDF16_PKPKDF16_fEviT4_llS4_lliPT5_PT3_.num_named_barrier, 0
	.set _ZL23rocblas_dot_kernel_inc1ILb0ELi512ELi8ELb1EDF16_PKPKDF16_fEviT4_llS4_lliPT5_PT3_.private_seg_size, 0
	.set _ZL23rocblas_dot_kernel_inc1ILb0ELi512ELi8ELb1EDF16_PKPKDF16_fEviT4_llS4_lliPT5_PT3_.uses_vcc, 1
	.set _ZL23rocblas_dot_kernel_inc1ILb0ELi512ELi8ELb1EDF16_PKPKDF16_fEviT4_llS4_lliPT5_PT3_.uses_flat_scratch, 0
	.set _ZL23rocblas_dot_kernel_inc1ILb0ELi512ELi8ELb1EDF16_PKPKDF16_fEviT4_llS4_lliPT5_PT3_.has_dyn_sized_stack, 0
	.set _ZL23rocblas_dot_kernel_inc1ILb0ELi512ELi8ELb1EDF16_PKPKDF16_fEviT4_llS4_lliPT5_PT3_.has_recursion, 0
	.set _ZL23rocblas_dot_kernel_inc1ILb0ELi512ELi8ELb1EDF16_PKPKDF16_fEviT4_llS4_lliPT5_PT3_.has_indirect_call, 0
	.section	.AMDGPU.csdata,"",@progbits
; Kernel info:
; codeLenInByte = 892
; TotalNumSgprs: 32
; NumVgprs: 14
; ScratchSize: 0
; MemoryBound: 0
; FloatMode: 240
; IeeeMode: 1
; LDSByteSize: 256 bytes/workgroup (compile time only)
; SGPRBlocks: 3
; VGPRBlocks: 3
; NumSGPRsForWavesPerEU: 32
; NumVGPRsForWavesPerEU: 14
; Occupancy: 10
; WaveLimiterHint : 1
; COMPUTE_PGM_RSRC2:SCRATCH_EN: 0
; COMPUTE_PGM_RSRC2:USER_SGPR: 6
; COMPUTE_PGM_RSRC2:TRAP_HANDLER: 0
; COMPUTE_PGM_RSRC2:TGID_X_EN: 1
; COMPUTE_PGM_RSRC2:TGID_Y_EN: 0
; COMPUTE_PGM_RSRC2:TGID_Z_EN: 1
; COMPUTE_PGM_RSRC2:TIDIG_COMP_CNT: 0
	.section	.text._ZL18rocblas_dot_kernelIiLb0ELi512ELi8ELb1EDF16_PKPKDF16_fEviT5_lT_lS4_lS5_liPT6_PT4_,"axG",@progbits,_ZL18rocblas_dot_kernelIiLb0ELi512ELi8ELb1EDF16_PKPKDF16_fEviT5_lT_lS4_lS5_liPT6_PT4_,comdat
	.globl	_ZL18rocblas_dot_kernelIiLb0ELi512ELi8ELb1EDF16_PKPKDF16_fEviT5_lT_lS4_lS5_liPT6_PT4_ ; -- Begin function _ZL18rocblas_dot_kernelIiLb0ELi512ELi8ELb1EDF16_PKPKDF16_fEviT5_lT_lS4_lS5_liPT6_PT4_
	.p2align	8
	.type	_ZL18rocblas_dot_kernelIiLb0ELi512ELi8ELb1EDF16_PKPKDF16_fEviT5_lT_lS4_lS5_liPT6_PT4_,@function
_ZL18rocblas_dot_kernelIiLb0ELi512ELi8ELb1EDF16_PKPKDF16_fEviT5_lT_lS4_lS5_liPT6_PT4_: ; @_ZL18rocblas_dot_kernelIiLb0ELi512ELi8ELb1EDF16_PKPKDF16_fEviT5_lT_lS4_lS5_liPT6_PT4_
; %bb.0:
	s_mov_b32 s2, s7
	s_load_dword s18, s[4:5], 0x60
	s_load_dword s7, s[4:5], 0x0
	s_load_dwordx4 s[8:11], s[4:5], 0x50
	v_lshl_or_b32 v3, s6, 9, v0
	s_mov_b32 s3, 0
	v_mov_b32_e32 v5, 0
	s_waitcnt lgkmcnt(0)
	v_cmp_gt_i32_e32 vcc, s7, v3
	s_and_saveexec_b64 s[12:13], vcc
	s_cbranch_execz .LBB170_4
; %bb.1:
	s_load_dwordx4 s[20:23], s[4:5], 0x8
	s_load_dword s16, s[4:5], 0x18
	s_load_dwordx4 s[24:27], s[4:5], 0x28
	s_load_dword s17, s[4:5], 0x38
	s_lshl_b64 s[0:1], s[2:3], 3
	s_waitcnt lgkmcnt(0)
	s_add_u32 s4, s20, s0
	s_addc_u32 s5, s21, s1
	s_load_dwordx2 s[4:5], s[4:5], 0x0
	v_mad_i64_i32 v[1:2], s[14:15], s16, v3, 0
	s_add_u32 s0, s24, s0
	s_addc_u32 s1, s25, s1
	s_lshl_b32 s19, s18, 9
	s_lshl_b64 s[14:15], s[22:23], 1
	v_lshlrev_b64 v[1:2], 1, v[1:2]
	s_waitcnt lgkmcnt(0)
	s_add_u32 s4, s4, s14
	s_addc_u32 s5, s5, s15
	s_load_dwordx2 s[0:1], s[0:1], 0x0
	v_mov_b32_e32 v4, s5
	v_add_co_u32_e32 v1, vcc, s4, v1
	v_add_u32_e32 v6, s19, v3
	v_addc_co_u32_e32 v2, vcc, v4, v2, vcc
	v_mad_i64_i32 v[3:4], s[4:5], s17, v3, 0
	s_mul_hi_i32 s5, s16, s19
	s_mul_i32 s4, s16, s19
	s_lshl_b64 s[4:5], s[4:5], 1
	s_lshl_b64 s[14:15], s[26:27], 1
	v_lshlrev_b64 v[3:4], 1, v[3:4]
	s_waitcnt lgkmcnt(0)
	s_add_u32 s0, s0, s14
	s_addc_u32 s1, s1, s15
	v_mov_b32_e32 v5, s1
	v_add_co_u32_e32 v3, vcc, s0, v3
	s_mul_hi_i32 s1, s17, s19
	s_mul_i32 s0, s17, s19
	s_lshl_b64 s[14:15], s[0:1], 1
	v_addc_co_u32_e32 v4, vcc, v5, v4, vcc
	v_mov_b32_e32 v5, 0
	s_mov_b64 s[16:17], 0
	v_mov_b32_e32 v7, s5
	v_mov_b32_e32 v8, s15
	s_mov_b32 s5, s3
.LBB170_2:                              ; =>This Inner Loop Header: Depth=1
	flat_load_ushort v9, v[3:4]
	flat_load_ushort v10, v[1:2]
	v_add_co_u32_e64 v1, s[0:1], s4, v1
	v_addc_co_u32_e64 v2, s[0:1], v2, v7, s[0:1]
	s_add_i32 s15, s5, 1
	v_add_co_u32_e64 v3, s[0:1], s14, v3
	v_addc_co_u32_e64 v4, s[0:1], v4, v8, s[0:1]
	s_cmp_gt_u32 s5, 6
	v_cmp_le_i32_e32 vcc, s7, v6
	s_cselect_b64 s[0:1], -1, 0
	s_or_b64 s[0:1], s[0:1], vcc
	s_and_b64 s[0:1], exec, s[0:1]
	v_add_u32_e32 v6, s19, v6
	s_mov_b32 s5, s15
	s_or_b64 s[16:17], s[0:1], s[16:17]
	s_waitcnt vmcnt(0) lgkmcnt(0)
	v_fma_mix_f32 v5, v9, v10, v5 op_sel_hi:[1,1,0]
	s_andn2_b64 exec, exec, s[16:17]
	s_cbranch_execnz .LBB170_2
; %bb.3:
	s_or_b64 exec, exec, s[16:17]
.LBB170_4:
	s_or_b64 exec, exec, s[12:13]
	v_and_b32_e32 v2, 63, v0
	v_cmp_gt_u32_e32 vcc, 64, v0
	v_lshlrev_b32_e32 v1, 2, v2
	s_and_saveexec_b64 s[0:1], vcc
; %bb.5:
	v_mov_b32_e32 v3, 0
	ds_write_b32 v1, v3
; %bb.6:
	s_or_b64 exec, exec, s[0:1]
	v_mbcnt_lo_u32_b32 v3, -1, 0
	v_mbcnt_hi_u32_b32 v6, -1, v3
	v_mov_b32_e32 v3, 0x80
	v_lshl_or_b32 v3, v6, 2, v3
	ds_bpermute_b32 v3, v3, v5
	v_and_b32_e32 v7, 63, v6
	v_cmp_gt_u32_e64 s[0:1], 48, v7
	v_cndmask_b32_e64 v4, 0, 16, s[0:1]
	v_add_lshl_u32 v4, v4, v6, 2
	s_waitcnt lgkmcnt(0)
	v_add_f32_e32 v3, v5, v3
	ds_bpermute_b32 v4, v4, v3
	v_cmp_gt_u32_e64 s[0:1], 56, v7
	v_cndmask_b32_e64 v5, 0, 8, s[0:1]
	v_add_lshl_u32 v5, v5, v6, 2
	v_cmp_gt_u32_e64 s[0:1], 60, v7
	s_waitcnt lgkmcnt(0)
	v_add_f32_e32 v4, v3, v4
	ds_bpermute_b32 v5, v5, v4
	v_cndmask_b32_e64 v3, 0, 4, s[0:1]
	v_add_lshl_u32 v3, v3, v6, 2
	v_cmp_gt_u32_e64 s[0:1], 62, v7
	s_waitcnt lgkmcnt(0)
	v_add_f32_e32 v5, v4, v5
	ds_bpermute_b32 v8, v3, v5
	v_cndmask_b32_e64 v4, 0, 2, s[0:1]
	v_add_lshl_u32 v4, v4, v6, 2
	v_cmp_ne_u32_e64 s[0:1], 63, v7
	v_addc_co_u32_e64 v7, s[0:1], 0, v6, s[0:1]
	s_waitcnt lgkmcnt(0)
	v_add_f32_e32 v5, v5, v8
	ds_bpermute_b32 v8, v4, v5
	v_cmp_eq_u32_e64 s[0:1], 0, v2
	s_waitcnt lgkmcnt(0)
	s_barrier
	v_add_f32_e32 v6, v5, v8
	v_lshlrev_b32_e32 v5, 2, v7
	ds_bpermute_b32 v7, v5, v6
	s_and_saveexec_b64 s[4:5], s[0:1]
	s_cbranch_execz .LBB170_8
; %bb.7:
	s_waitcnt lgkmcnt(0)
	v_add_f32_e32 v2, v6, v7
	v_lshrrev_b32_e32 v6, 4, v0
	v_and_b32_e32 v6, 28, v6
	ds_write_b32 v6, v2
.LBB170_8:
	s_or_b64 exec, exec, s[4:5]
	v_cmp_gt_u32_e64 s[0:1], 8, v0
	v_mov_b32_e32 v2, 0
	s_waitcnt lgkmcnt(0)
	s_barrier
	s_and_saveexec_b64 s[4:5], s[0:1]
	s_cbranch_execnz .LBB170_12
; %bb.9:
	s_or_b64 exec, exec, s[4:5]
	s_and_saveexec_b64 s[0:1], vcc
	s_cbranch_execnz .LBB170_13
.LBB170_10:
	s_or_b64 exec, exec, s[0:1]
	v_cmp_eq_u32_e32 vcc, 0, v0
	s_and_saveexec_b64 s[0:1], vcc
	s_cbranch_execnz .LBB170_14
.LBB170_11:
	s_endpgm
.LBB170_12:
	ds_read_b32 v2, v1
	s_or_b64 exec, exec, s[4:5]
	s_and_saveexec_b64 s[0:1], vcc
	s_cbranch_execz .LBB170_10
.LBB170_13:
	s_waitcnt lgkmcnt(0)
	ds_bpermute_b32 v1, v3, v2
	s_waitcnt lgkmcnt(0)
	v_add_f32_e32 v1, v2, v1
	ds_bpermute_b32 v2, v4, v1
	s_waitcnt lgkmcnt(0)
	v_add_f32_e32 v1, v1, v2
	;; [unrolled: 3-line block ×3, first 2 shown]
	s_or_b64 exec, exec, s[0:1]
	v_cmp_eq_u32_e32 vcc, 0, v0
	s_and_saveexec_b64 s[0:1], vcc
	s_cbranch_execz .LBB170_11
.LBB170_14:
	s_cmp_lg_u32 s18, 1
	s_mov_b64 s[0:1], -1
	s_cbranch_scc0 .LBB170_16
; %bb.15:
	s_mul_hi_u32 s1, s18, s2
	s_mul_i32 s0, s18, s2
	s_lshl_b64 s[0:1], s[0:1], 2
	s_mov_b32 s7, 0
	s_add_u32 s4, s8, s0
	s_addc_u32 s5, s9, s1
	s_lshl_b64 s[0:1], s[6:7], 2
	s_add_u32 s0, s4, s0
	s_addc_u32 s1, s5, s1
	v_mov_b32_e32 v0, 0
	s_waitcnt lgkmcnt(0)
	global_store_dword v0, v2, s[0:1]
	s_mov_b64 s[0:1], 0
.LBB170_16:
	s_andn2_b64 vcc, exec, s[0:1]
	s_cbranch_vccnz .LBB170_11
; %bb.17:
	s_waitcnt lgkmcnt(0)
	v_cvt_f16_f32_e32 v0, v2
	s_lshl_b64 s[0:1], s[2:3], 1
	s_add_u32 s0, s10, s0
	s_addc_u32 s1, s11, s1
	v_mov_b32_e32 v1, 0
	global_store_short v1, v0, s[0:1]
	s_endpgm
	.section	.rodata,"a",@progbits
	.p2align	6, 0x0
	.amdhsa_kernel _ZL18rocblas_dot_kernelIiLb0ELi512ELi8ELb1EDF16_PKPKDF16_fEviT5_lT_lS4_lS5_liPT6_PT4_
		.amdhsa_group_segment_fixed_size 256
		.amdhsa_private_segment_fixed_size 0
		.amdhsa_kernarg_size 352
		.amdhsa_user_sgpr_count 6
		.amdhsa_user_sgpr_private_segment_buffer 1
		.amdhsa_user_sgpr_dispatch_ptr 0
		.amdhsa_user_sgpr_queue_ptr 0
		.amdhsa_user_sgpr_kernarg_segment_ptr 1
		.amdhsa_user_sgpr_dispatch_id 0
		.amdhsa_user_sgpr_flat_scratch_init 0
		.amdhsa_user_sgpr_private_segment_size 0
		.amdhsa_uses_dynamic_stack 0
		.amdhsa_system_sgpr_private_segment_wavefront_offset 0
		.amdhsa_system_sgpr_workgroup_id_x 1
		.amdhsa_system_sgpr_workgroup_id_y 0
		.amdhsa_system_sgpr_workgroup_id_z 1
		.amdhsa_system_sgpr_workgroup_info 0
		.amdhsa_system_vgpr_workitem_id 0
		.amdhsa_next_free_vgpr 11
		.amdhsa_next_free_sgpr 28
		.amdhsa_reserve_vcc 1
		.amdhsa_reserve_flat_scratch 0
		.amdhsa_float_round_mode_32 0
		.amdhsa_float_round_mode_16_64 0
		.amdhsa_float_denorm_mode_32 3
		.amdhsa_float_denorm_mode_16_64 3
		.amdhsa_dx10_clamp 1
		.amdhsa_ieee_mode 1
		.amdhsa_fp16_overflow 0
		.amdhsa_exception_fp_ieee_invalid_op 0
		.amdhsa_exception_fp_denorm_src 0
		.amdhsa_exception_fp_ieee_div_zero 0
		.amdhsa_exception_fp_ieee_overflow 0
		.amdhsa_exception_fp_ieee_underflow 0
		.amdhsa_exception_fp_ieee_inexact 0
		.amdhsa_exception_int_div_zero 0
	.end_amdhsa_kernel
	.section	.text._ZL18rocblas_dot_kernelIiLb0ELi512ELi8ELb1EDF16_PKPKDF16_fEviT5_lT_lS4_lS5_liPT6_PT4_,"axG",@progbits,_ZL18rocblas_dot_kernelIiLb0ELi512ELi8ELb1EDF16_PKPKDF16_fEviT5_lT_lS4_lS5_liPT6_PT4_,comdat
.Lfunc_end170:
	.size	_ZL18rocblas_dot_kernelIiLb0ELi512ELi8ELb1EDF16_PKPKDF16_fEviT5_lT_lS4_lS5_liPT6_PT4_, .Lfunc_end170-_ZL18rocblas_dot_kernelIiLb0ELi512ELi8ELb1EDF16_PKPKDF16_fEviT5_lT_lS4_lS5_liPT6_PT4_
                                        ; -- End function
	.set _ZL18rocblas_dot_kernelIiLb0ELi512ELi8ELb1EDF16_PKPKDF16_fEviT5_lT_lS4_lS5_liPT6_PT4_.num_vgpr, 11
	.set _ZL18rocblas_dot_kernelIiLb0ELi512ELi8ELb1EDF16_PKPKDF16_fEviT5_lT_lS4_lS5_liPT6_PT4_.num_agpr, 0
	.set _ZL18rocblas_dot_kernelIiLb0ELi512ELi8ELb1EDF16_PKPKDF16_fEviT5_lT_lS4_lS5_liPT6_PT4_.numbered_sgpr, 28
	.set _ZL18rocblas_dot_kernelIiLb0ELi512ELi8ELb1EDF16_PKPKDF16_fEviT5_lT_lS4_lS5_liPT6_PT4_.num_named_barrier, 0
	.set _ZL18rocblas_dot_kernelIiLb0ELi512ELi8ELb1EDF16_PKPKDF16_fEviT5_lT_lS4_lS5_liPT6_PT4_.private_seg_size, 0
	.set _ZL18rocblas_dot_kernelIiLb0ELi512ELi8ELb1EDF16_PKPKDF16_fEviT5_lT_lS4_lS5_liPT6_PT4_.uses_vcc, 1
	.set _ZL18rocblas_dot_kernelIiLb0ELi512ELi8ELb1EDF16_PKPKDF16_fEviT5_lT_lS4_lS5_liPT6_PT4_.uses_flat_scratch, 0
	.set _ZL18rocblas_dot_kernelIiLb0ELi512ELi8ELb1EDF16_PKPKDF16_fEviT5_lT_lS4_lS5_liPT6_PT4_.has_dyn_sized_stack, 0
	.set _ZL18rocblas_dot_kernelIiLb0ELi512ELi8ELb1EDF16_PKPKDF16_fEviT5_lT_lS4_lS5_liPT6_PT4_.has_recursion, 0
	.set _ZL18rocblas_dot_kernelIiLb0ELi512ELi8ELb1EDF16_PKPKDF16_fEviT5_lT_lS4_lS5_liPT6_PT4_.has_indirect_call, 0
	.section	.AMDGPU.csdata,"",@progbits
; Kernel info:
; codeLenInByte = 964
; TotalNumSgprs: 32
; NumVgprs: 11
; ScratchSize: 0
; MemoryBound: 0
; FloatMode: 240
; IeeeMode: 1
; LDSByteSize: 256 bytes/workgroup (compile time only)
; SGPRBlocks: 3
; VGPRBlocks: 2
; NumSGPRsForWavesPerEU: 32
; NumVGPRsForWavesPerEU: 11
; Occupancy: 10
; WaveLimiterHint : 0
; COMPUTE_PGM_RSRC2:SCRATCH_EN: 0
; COMPUTE_PGM_RSRC2:USER_SGPR: 6
; COMPUTE_PGM_RSRC2:TRAP_HANDLER: 0
; COMPUTE_PGM_RSRC2:TGID_X_EN: 1
; COMPUTE_PGM_RSRC2:TGID_Y_EN: 0
; COMPUTE_PGM_RSRC2:TGID_Z_EN: 1
; COMPUTE_PGM_RSRC2:TIDIG_COMP_CNT: 0
	.section	.text._ZL24rocblas_dot_kernel_magsqIiLb0ELi512ELi8ELb1EDF16_PKPKDF16_fEviT5_lT_liPT6_PT4_,"axG",@progbits,_ZL24rocblas_dot_kernel_magsqIiLb0ELi512ELi8ELb1EDF16_PKPKDF16_fEviT5_lT_liPT6_PT4_,comdat
	.globl	_ZL24rocblas_dot_kernel_magsqIiLb0ELi512ELi8ELb1EDF16_PKPKDF16_fEviT5_lT_liPT6_PT4_ ; -- Begin function _ZL24rocblas_dot_kernel_magsqIiLb0ELi512ELi8ELb1EDF16_PKPKDF16_fEviT5_lT_liPT6_PT4_
	.p2align	8
	.type	_ZL24rocblas_dot_kernel_magsqIiLb0ELi512ELi8ELb1EDF16_PKPKDF16_fEviT5_lT_liPT6_PT4_,@function
_ZL24rocblas_dot_kernel_magsqIiLb0ELi512ELi8ELb1EDF16_PKPKDF16_fEviT5_lT_liPT6_PT4_: ; @_ZL24rocblas_dot_kernel_magsqIiLb0ELi512ELi8ELb1EDF16_PKPKDF16_fEviT5_lT_liPT6_PT4_
; %bb.0:
	s_mov_b32 s2, s7
	s_load_dword s7, s[4:5], 0x0
	s_load_dwordx4 s[8:11], s[4:5], 0x30
	s_load_dword s16, s[4:5], 0x40
	v_lshl_or_b32 v1, s6, 9, v0
	s_mov_b32 s3, 0
	s_waitcnt lgkmcnt(0)
	v_cmp_gt_i32_e32 vcc, s7, v1
	v_mov_b32_e32 v3, 0
	s_and_saveexec_b64 s[12:13], vcc
	s_cbranch_execz .LBB171_4
; %bb.1:
	s_load_dwordx4 s[20:23], s[4:5], 0x8
	s_load_dword s14, s[4:5], 0x18
	s_lshl_b64 s[0:1], s[2:3], 3
	s_waitcnt lgkmcnt(0)
	s_add_u32 s0, s20, s0
	s_addc_u32 s1, s21, s1
	s_load_dwordx2 s[0:1], s[0:1], 0x0
	v_mad_i64_i32 v[2:3], s[4:5], s14, v1, 0
	s_lshl_b32 s17, s16, 9
	s_lshl_b64 s[4:5], s[22:23], 1
	v_add_u32_e32 v4, s17, v1
	v_lshlrev_b64 v[1:2], 1, v[2:3]
	s_waitcnt lgkmcnt(0)
	s_add_u32 s0, s0, s4
	s_addc_u32 s1, s1, s5
	v_mov_b32_e32 v3, s1
	v_add_co_u32_e32 v1, vcc, s0, v1
	s_mul_hi_i32 s1, s14, s17
	s_mul_i32 s0, s14, s17
	s_lshl_b64 s[4:5], s[0:1], 1
	v_addc_co_u32_e32 v2, vcc, v3, v2, vcc
	v_mov_b32_e32 v3, 0
	s_mov_b64 s[14:15], 0
	v_mov_b32_e32 v5, s5
	s_mov_b32 s5, s3
.LBB171_2:                              ; =>This Inner Loop Header: Depth=1
	flat_load_ushort v6, v[1:2]
	s_add_i32 s18, s5, 1
	v_add_co_u32_e64 v1, s[0:1], s4, v1
	v_addc_co_u32_e64 v2, s[0:1], v2, v5, s[0:1]
	s_cmp_gt_u32 s5, 6
	v_cmp_le_i32_e32 vcc, s7, v4
	s_cselect_b64 s[0:1], -1, 0
	s_or_b64 s[0:1], s[0:1], vcc
	s_and_b64 s[0:1], exec, s[0:1]
	v_add_u32_e32 v4, s17, v4
	s_mov_b32 s5, s18
	s_or_b64 s[14:15], s[0:1], s[14:15]
	s_waitcnt vmcnt(0) lgkmcnt(0)
	v_fma_mix_f32 v3, v6, v6, v3 op_sel_hi:[1,1,0]
	s_andn2_b64 exec, exec, s[14:15]
	s_cbranch_execnz .LBB171_2
; %bb.3:
	s_or_b64 exec, exec, s[14:15]
.LBB171_4:
	s_or_b64 exec, exec, s[12:13]
	v_and_b32_e32 v2, 63, v0
	v_cmp_gt_u32_e32 vcc, 64, v0
	v_lshlrev_b32_e32 v1, 2, v2
	s_and_saveexec_b64 s[0:1], vcc
; %bb.5:
	v_mov_b32_e32 v4, 0
	ds_write_b32 v1, v4
; %bb.6:
	s_or_b64 exec, exec, s[0:1]
	v_mbcnt_lo_u32_b32 v4, -1, 0
	v_mbcnt_hi_u32_b32 v5, -1, v4
	v_mov_b32_e32 v4, 0x80
	v_lshl_or_b32 v4, v5, 2, v4
	ds_bpermute_b32 v4, v4, v3
	v_and_b32_e32 v6, 63, v5
	v_cmp_gt_u32_e64 s[0:1], 48, v6
	v_cndmask_b32_e64 v7, 0, 16, s[0:1]
	v_cmp_gt_u32_e64 s[0:1], 56, v6
	s_waitcnt lgkmcnt(0)
	v_add_f32_e32 v3, v3, v4
	v_add_lshl_u32 v4, v7, v5, 2
	ds_bpermute_b32 v4, v4, v3
	v_cndmask_b32_e64 v7, 0, 8, s[0:1]
	v_add_lshl_u32 v7, v7, v5, 2
	v_cmp_gt_u32_e64 s[0:1], 60, v6
	s_waitcnt lgkmcnt(0)
	v_add_f32_e32 v4, v3, v4
	ds_bpermute_b32 v7, v7, v4
	v_cndmask_b32_e64 v3, 0, 4, s[0:1]
	v_add_lshl_u32 v3, v3, v5, 2
	v_cmp_gt_u32_e64 s[0:1], 62, v6
	s_waitcnt lgkmcnt(0)
	s_barrier
	v_add_f32_e32 v7, v4, v7
	ds_bpermute_b32 v8, v3, v7
	v_cndmask_b32_e64 v4, 0, 2, s[0:1]
	v_add_lshl_u32 v4, v4, v5, 2
	v_cmp_ne_u32_e64 s[0:1], 63, v6
	v_addc_co_u32_e64 v5, s[0:1], 0, v5, s[0:1]
	s_waitcnt lgkmcnt(0)
	v_add_f32_e32 v7, v7, v8
	ds_bpermute_b32 v8, v4, v7
	v_lshlrev_b32_e32 v5, 2, v5
	v_cmp_eq_u32_e64 s[0:1], 0, v2
	s_waitcnt lgkmcnt(0)
	v_add_f32_e32 v6, v7, v8
	ds_bpermute_b32 v7, v5, v6
	s_and_saveexec_b64 s[4:5], s[0:1]
	s_cbranch_execz .LBB171_8
; %bb.7:
	s_waitcnt lgkmcnt(0)
	v_add_f32_e32 v2, v6, v7
	v_lshrrev_b32_e32 v6, 4, v0
	v_and_b32_e32 v6, 28, v6
	ds_write_b32 v6, v2
.LBB171_8:
	s_or_b64 exec, exec, s[4:5]
	v_cmp_gt_u32_e64 s[0:1], 8, v0
	v_mov_b32_e32 v2, 0
	s_waitcnt lgkmcnt(0)
	s_barrier
	s_and_saveexec_b64 s[4:5], s[0:1]
	s_cbranch_execnz .LBB171_12
; %bb.9:
	s_or_b64 exec, exec, s[4:5]
	s_and_saveexec_b64 s[0:1], vcc
	s_cbranch_execnz .LBB171_13
.LBB171_10:
	s_or_b64 exec, exec, s[0:1]
	v_cmp_eq_u32_e32 vcc, 0, v0
	s_and_saveexec_b64 s[0:1], vcc
	s_cbranch_execnz .LBB171_14
.LBB171_11:
	s_endpgm
.LBB171_12:
	ds_read_b32 v2, v1
	s_or_b64 exec, exec, s[4:5]
	s_and_saveexec_b64 s[0:1], vcc
	s_cbranch_execz .LBB171_10
.LBB171_13:
	s_waitcnt lgkmcnt(0)
	ds_bpermute_b32 v1, v3, v2
	s_waitcnt lgkmcnt(0)
	v_add_f32_e32 v1, v2, v1
	ds_bpermute_b32 v2, v4, v1
	s_waitcnt lgkmcnt(0)
	v_add_f32_e32 v1, v1, v2
	;; [unrolled: 3-line block ×3, first 2 shown]
	s_or_b64 exec, exec, s[0:1]
	v_cmp_eq_u32_e32 vcc, 0, v0
	s_and_saveexec_b64 s[0:1], vcc
	s_cbranch_execz .LBB171_11
.LBB171_14:
	s_cmp_lg_u32 s16, 1
	s_mov_b64 s[0:1], -1
	s_cbranch_scc0 .LBB171_16
; %bb.15:
	s_mul_hi_u32 s1, s16, s2
	s_mul_i32 s0, s16, s2
	s_lshl_b64 s[0:1], s[0:1], 2
	s_mov_b32 s7, 0
	s_add_u32 s4, s8, s0
	s_addc_u32 s5, s9, s1
	s_lshl_b64 s[0:1], s[6:7], 2
	s_add_u32 s0, s4, s0
	s_addc_u32 s1, s5, s1
	v_mov_b32_e32 v0, 0
	s_waitcnt lgkmcnt(0)
	global_store_dword v0, v2, s[0:1]
	s_mov_b64 s[0:1], 0
.LBB171_16:
	s_andn2_b64 vcc, exec, s[0:1]
	s_cbranch_vccnz .LBB171_11
; %bb.17:
	s_waitcnt lgkmcnt(0)
	v_cvt_f16_f32_e32 v0, v2
	s_lshl_b64 s[0:1], s[2:3], 1
	s_add_u32 s0, s10, s0
	s_addc_u32 s1, s11, s1
	v_mov_b32_e32 v1, 0
	global_store_short v1, v0, s[0:1]
	s_endpgm
	.section	.rodata,"a",@progbits
	.p2align	6, 0x0
	.amdhsa_kernel _ZL24rocblas_dot_kernel_magsqIiLb0ELi512ELi8ELb1EDF16_PKPKDF16_fEviT5_lT_liPT6_PT4_
		.amdhsa_group_segment_fixed_size 256
		.amdhsa_private_segment_fixed_size 0
		.amdhsa_kernarg_size 320
		.amdhsa_user_sgpr_count 6
		.amdhsa_user_sgpr_private_segment_buffer 1
		.amdhsa_user_sgpr_dispatch_ptr 0
		.amdhsa_user_sgpr_queue_ptr 0
		.amdhsa_user_sgpr_kernarg_segment_ptr 1
		.amdhsa_user_sgpr_dispatch_id 0
		.amdhsa_user_sgpr_flat_scratch_init 0
		.amdhsa_user_sgpr_private_segment_size 0
		.amdhsa_uses_dynamic_stack 0
		.amdhsa_system_sgpr_private_segment_wavefront_offset 0
		.amdhsa_system_sgpr_workgroup_id_x 1
		.amdhsa_system_sgpr_workgroup_id_y 0
		.amdhsa_system_sgpr_workgroup_id_z 1
		.amdhsa_system_sgpr_workgroup_info 0
		.amdhsa_system_vgpr_workitem_id 0
		.amdhsa_next_free_vgpr 9
		.amdhsa_next_free_sgpr 24
		.amdhsa_reserve_vcc 1
		.amdhsa_reserve_flat_scratch 0
		.amdhsa_float_round_mode_32 0
		.amdhsa_float_round_mode_16_64 0
		.amdhsa_float_denorm_mode_32 3
		.amdhsa_float_denorm_mode_16_64 3
		.amdhsa_dx10_clamp 1
		.amdhsa_ieee_mode 1
		.amdhsa_fp16_overflow 0
		.amdhsa_exception_fp_ieee_invalid_op 0
		.amdhsa_exception_fp_denorm_src 0
		.amdhsa_exception_fp_ieee_div_zero 0
		.amdhsa_exception_fp_ieee_overflow 0
		.amdhsa_exception_fp_ieee_underflow 0
		.amdhsa_exception_fp_ieee_inexact 0
		.amdhsa_exception_int_div_zero 0
	.end_amdhsa_kernel
	.section	.text._ZL24rocblas_dot_kernel_magsqIiLb0ELi512ELi8ELb1EDF16_PKPKDF16_fEviT5_lT_liPT6_PT4_,"axG",@progbits,_ZL24rocblas_dot_kernel_magsqIiLb0ELi512ELi8ELb1EDF16_PKPKDF16_fEviT5_lT_liPT6_PT4_,comdat
.Lfunc_end171:
	.size	_ZL24rocblas_dot_kernel_magsqIiLb0ELi512ELi8ELb1EDF16_PKPKDF16_fEviT5_lT_liPT6_PT4_, .Lfunc_end171-_ZL24rocblas_dot_kernel_magsqIiLb0ELi512ELi8ELb1EDF16_PKPKDF16_fEviT5_lT_liPT6_PT4_
                                        ; -- End function
	.set _ZL24rocblas_dot_kernel_magsqIiLb0ELi512ELi8ELb1EDF16_PKPKDF16_fEviT5_lT_liPT6_PT4_.num_vgpr, 9
	.set _ZL24rocblas_dot_kernel_magsqIiLb0ELi512ELi8ELb1EDF16_PKPKDF16_fEviT5_lT_liPT6_PT4_.num_agpr, 0
	.set _ZL24rocblas_dot_kernel_magsqIiLb0ELi512ELi8ELb1EDF16_PKPKDF16_fEviT5_lT_liPT6_PT4_.numbered_sgpr, 24
	.set _ZL24rocblas_dot_kernel_magsqIiLb0ELi512ELi8ELb1EDF16_PKPKDF16_fEviT5_lT_liPT6_PT4_.num_named_barrier, 0
	.set _ZL24rocblas_dot_kernel_magsqIiLb0ELi512ELi8ELb1EDF16_PKPKDF16_fEviT5_lT_liPT6_PT4_.private_seg_size, 0
	.set _ZL24rocblas_dot_kernel_magsqIiLb0ELi512ELi8ELb1EDF16_PKPKDF16_fEviT5_lT_liPT6_PT4_.uses_vcc, 1
	.set _ZL24rocblas_dot_kernel_magsqIiLb0ELi512ELi8ELb1EDF16_PKPKDF16_fEviT5_lT_liPT6_PT4_.uses_flat_scratch, 0
	.set _ZL24rocblas_dot_kernel_magsqIiLb0ELi512ELi8ELb1EDF16_PKPKDF16_fEviT5_lT_liPT6_PT4_.has_dyn_sized_stack, 0
	.set _ZL24rocblas_dot_kernel_magsqIiLb0ELi512ELi8ELb1EDF16_PKPKDF16_fEviT5_lT_liPT6_PT4_.has_recursion, 0
	.set _ZL24rocblas_dot_kernel_magsqIiLb0ELi512ELi8ELb1EDF16_PKPKDF16_fEviT5_lT_liPT6_PT4_.has_indirect_call, 0
	.section	.AMDGPU.csdata,"",@progbits
; Kernel info:
; codeLenInByte = 848
; TotalNumSgprs: 28
; NumVgprs: 9
; ScratchSize: 0
; MemoryBound: 0
; FloatMode: 240
; IeeeMode: 1
; LDSByteSize: 256 bytes/workgroup (compile time only)
; SGPRBlocks: 3
; VGPRBlocks: 2
; NumSGPRsForWavesPerEU: 28
; NumVGPRsForWavesPerEU: 9
; Occupancy: 10
; WaveLimiterHint : 0
; COMPUTE_PGM_RSRC2:SCRATCH_EN: 0
; COMPUTE_PGM_RSRC2:USER_SGPR: 6
; COMPUTE_PGM_RSRC2:TRAP_HANDLER: 0
; COMPUTE_PGM_RSRC2:TGID_X_EN: 1
; COMPUTE_PGM_RSRC2:TGID_Y_EN: 0
; COMPUTE_PGM_RSRC2:TGID_Z_EN: 1
; COMPUTE_PGM_RSRC2:TIDIG_COMP_CNT: 0
	.section	.text._ZL28rocblas_dot_batched_4_kernelIiLi32ELi4ELb1EDF16_DF16_PKDF16_EviT5_lT_lS2_lS3_liPT4_,"axG",@progbits,_ZL28rocblas_dot_batched_4_kernelIiLi32ELi4ELb1EDF16_DF16_PKDF16_EviT5_lT_lS2_lS3_liPT4_,comdat
	.globl	_ZL28rocblas_dot_batched_4_kernelIiLi32ELi4ELb1EDF16_DF16_PKDF16_EviT5_lT_lS2_lS3_liPT4_ ; -- Begin function _ZL28rocblas_dot_batched_4_kernelIiLi32ELi4ELb1EDF16_DF16_PKDF16_EviT5_lT_lS2_lS3_liPT4_
	.p2align	8
	.type	_ZL28rocblas_dot_batched_4_kernelIiLi32ELi4ELb1EDF16_DF16_PKDF16_EviT5_lT_lS2_lS3_liPT4_,@function
_ZL28rocblas_dot_batched_4_kernelIiLi32ELi4ELb1EDF16_DF16_PKDF16_EviT5_lT_lS2_lS3_liPT4_: ; @_ZL28rocblas_dot_batched_4_kernelIiLi32ELi4ELb1EDF16_DF16_PKDF16_EviT5_lT_lS2_lS3_liPT4_
; %bb.0:
	s_load_dword s0, s[4:5], 0x48
	v_lshl_add_u32 v1, s6, 2, v1
	s_waitcnt lgkmcnt(0)
	v_cmp_gt_u32_e32 vcc, s0, v1
	s_and_saveexec_b64 s[0:1], vcc
	s_cbranch_execz .LBB172_7
; %bb.1:
	s_load_dword s12, s[4:5], 0x0
	s_load_dwordx2 s[6:7], s[4:5], 0x50
	v_mov_b32_e32 v2, 0
	v_mov_b32_e32 v7, v2
	s_waitcnt lgkmcnt(0)
	v_cmp_gt_i32_e32 vcc, s12, v0
	s_and_saveexec_b64 s[8:9], vcc
	s_cbranch_execz .LBB172_5
; %bb.2:
	s_load_dwordx4 s[0:3], s[4:5], 0x20
	s_load_dwordx4 s[16:19], s[4:5], 0x8
	s_load_dword s10, s[4:5], 0x18
	s_load_dwordx2 s[14:15], s[4:5], 0x30
	s_waitcnt lgkmcnt(0)
	v_mad_u64_u32 v[3:4], s[20:21], s0, v1, 0
	s_load_dword s0, s[4:5], 0x38
	s_load_dwordx2 s[20:21], s[4:5], 0x40
	v_mad_i64_i32 v[5:6], s[4:5], s10, v0, 0
	s_ashr_i32 s11, s10, 31
	v_mad_u64_u32 v[7:8], s[4:5], s1, v1, v[4:5]
	v_lshlrev_b64 v[5:6], 1, v[5:6]
	s_waitcnt lgkmcnt(0)
	s_ashr_i32 s1, s0, 31
	v_mov_b32_e32 v4, v7
	v_lshlrev_b64 v[3:4], 1, v[3:4]
	s_lshl_b64 s[4:5], s[18:19], 1
	v_add_co_u32_e32 v11, vcc, v5, v3
	s_add_u32 s13, s16, s4
	v_addc_co_u32_e32 v4, vcc, v6, v4, vcc
	s_addc_u32 s16, s17, s5
	v_mad_u64_u32 v[5:6], s[4:5], s20, v1, 0
	v_mad_i64_i32 v[7:8], s[4:5], s0, v0, 0
	v_mov_b32_e32 v3, v6
	v_mad_u64_u32 v[9:10], s[4:5], s21, v1, v[3:4]
	v_mov_b32_e32 v12, s16
	v_add_co_u32_e32 v3, vcc, s13, v11
	v_mov_b32_e32 v6, v9
	v_lshlrev_b64 v[7:8], 1, v[7:8]
	v_lshlrev_b64 v[5:6], 1, v[5:6]
	v_addc_co_u32_e32 v4, vcc, v12, v4, vcc
	s_lshl_b64 s[4:5], s[10:11], 6
	s_lshl_b64 s[10:11], s[14:15], 1
	v_add_co_u32_e32 v5, vcc, v7, v5
	s_add_u32 s2, s2, s10
	v_addc_co_u32_e32 v6, vcc, v8, v6, vcc
	s_addc_u32 s3, s3, s11
	v_mov_b32_e32 v7, s3
	v_add_co_u32_e32 v5, vcc, s2, v5
	v_addc_co_u32_e32 v6, vcc, v7, v6, vcc
	s_lshl_b64 s[2:3], s[0:1], 6
	v_mov_b32_e32 v7, 0
	s_mov_b64 s[10:11], 0
	v_mov_b32_e32 v8, v0
.LBB172_3:                              ; =>This Inner Loop Header: Depth=1
	global_load_ushort v9, v[3:4], off
	global_load_ushort v10, v[5:6], off
	v_mov_b32_e32 v12, s3
	v_add_co_u32_e32 v5, vcc, s2, v5
	v_add_u32_e32 v8, 32, v8
	v_addc_co_u32_e32 v6, vcc, v6, v12, vcc
	v_mov_b32_e32 v11, s5
	v_add_co_u32_e64 v3, s[0:1], s4, v3
	v_cmp_le_i32_e32 vcc, s12, v8
	v_addc_co_u32_e64 v4, s[0:1], v4, v11, s[0:1]
	s_or_b64 s[10:11], vcc, s[10:11]
	s_waitcnt vmcnt(0)
	v_fma_f16 v7, v9, v10, v7
	s_andn2_b64 exec, exec, s[10:11]
	s_cbranch_execnz .LBB172_3
; %bb.4:
	s_or_b64 exec, exec, s[10:11]
.LBB172_5:
	s_or_b64 exec, exec, s[8:9]
	v_mbcnt_lo_u32_b32 v3, -1, 0
	v_mbcnt_hi_u32_b32 v3, -1, v3
	v_and_b32_e32 v4, 63, v3
	v_cmp_gt_u32_e32 vcc, 48, v4
	v_cndmask_b32_e64 v6, 0, 16, vcc
	v_and_b32_e32 v5, 0xffff, v7
	v_add_lshl_u32 v6, v6, v3, 2
	ds_bpermute_b32 v5, v6, v5
	v_cmp_gt_u32_e32 vcc, 56, v4
	s_mov_b32 s0, 0xffff0000
	s_waitcnt lgkmcnt(0)
	s_barrier
	v_add_f16_e32 v6, v7, v5
	v_cndmask_b32_e64 v7, 0, 8, vcc
	v_and_or_b32 v5, v5, s0, v6
	v_add_lshl_u32 v7, v7, v3, 2
	ds_bpermute_b32 v5, v7, v5
	v_cmp_gt_u32_e32 vcc, 60, v4
	v_cndmask_b32_e64 v7, 0, 4, vcc
	v_add_lshl_u32 v7, v7, v3, 2
	v_cmp_gt_u32_e32 vcc, 62, v4
	s_waitcnt lgkmcnt(0)
	v_add_f16_e32 v6, v6, v5
	v_and_or_b32 v5, v5, s0, v6
	ds_bpermute_b32 v5, v7, v5
	v_cndmask_b32_e64 v7, 0, 2, vcc
	v_add_lshl_u32 v7, v7, v3, 2
	v_cmp_ne_u32_e32 vcc, 63, v4
	v_addc_co_u32_e32 v4, vcc, 0, v3, vcc
	s_waitcnt lgkmcnt(0)
	v_add_f16_e32 v6, v6, v5
	v_and_or_b32 v5, v5, s0, v6
	ds_bpermute_b32 v5, v7, v5
	v_lshlrev_b32_e32 v4, 2, v4
	v_cmp_eq_u32_e32 vcc, 0, v0
	s_waitcnt lgkmcnt(0)
	v_add_f16_e32 v3, v6, v5
	v_and_or_b32 v5, v5, s0, v3
	ds_bpermute_b32 v4, v4, v5
	s_and_b64 exec, exec, vcc
	s_cbranch_execz .LBB172_7
; %bb.6:
	v_lshlrev_b64 v[0:1], 1, v[1:2]
	v_mov_b32_e32 v2, s7
	v_add_co_u32_e32 v0, vcc, s6, v0
	v_addc_co_u32_e32 v1, vcc, v2, v1, vcc
	s_waitcnt lgkmcnt(0)
	v_add_f16_e32 v2, v3, v4
	global_store_short v[0:1], v2, off
.LBB172_7:
	s_endpgm
	.section	.rodata,"a",@progbits
	.p2align	6, 0x0
	.amdhsa_kernel _ZL28rocblas_dot_batched_4_kernelIiLi32ELi4ELb1EDF16_DF16_PKDF16_EviT5_lT_lS2_lS3_liPT4_
		.amdhsa_group_segment_fixed_size 0
		.amdhsa_private_segment_fixed_size 0
		.amdhsa_kernarg_size 88
		.amdhsa_user_sgpr_count 6
		.amdhsa_user_sgpr_private_segment_buffer 1
		.amdhsa_user_sgpr_dispatch_ptr 0
		.amdhsa_user_sgpr_queue_ptr 0
		.amdhsa_user_sgpr_kernarg_segment_ptr 1
		.amdhsa_user_sgpr_dispatch_id 0
		.amdhsa_user_sgpr_flat_scratch_init 0
		.amdhsa_user_sgpr_private_segment_size 0
		.amdhsa_uses_dynamic_stack 0
		.amdhsa_system_sgpr_private_segment_wavefront_offset 0
		.amdhsa_system_sgpr_workgroup_id_x 1
		.amdhsa_system_sgpr_workgroup_id_y 0
		.amdhsa_system_sgpr_workgroup_id_z 0
		.amdhsa_system_sgpr_workgroup_info 0
		.amdhsa_system_vgpr_workitem_id 1
		.amdhsa_next_free_vgpr 13
		.amdhsa_next_free_sgpr 22
		.amdhsa_reserve_vcc 1
		.amdhsa_reserve_flat_scratch 0
		.amdhsa_float_round_mode_32 0
		.amdhsa_float_round_mode_16_64 0
		.amdhsa_float_denorm_mode_32 3
		.amdhsa_float_denorm_mode_16_64 3
		.amdhsa_dx10_clamp 1
		.amdhsa_ieee_mode 1
		.amdhsa_fp16_overflow 0
		.amdhsa_exception_fp_ieee_invalid_op 0
		.amdhsa_exception_fp_denorm_src 0
		.amdhsa_exception_fp_ieee_div_zero 0
		.amdhsa_exception_fp_ieee_overflow 0
		.amdhsa_exception_fp_ieee_underflow 0
		.amdhsa_exception_fp_ieee_inexact 0
		.amdhsa_exception_int_div_zero 0
	.end_amdhsa_kernel
	.section	.text._ZL28rocblas_dot_batched_4_kernelIiLi32ELi4ELb1EDF16_DF16_PKDF16_EviT5_lT_lS2_lS3_liPT4_,"axG",@progbits,_ZL28rocblas_dot_batched_4_kernelIiLi32ELi4ELb1EDF16_DF16_PKDF16_EviT5_lT_lS2_lS3_liPT4_,comdat
.Lfunc_end172:
	.size	_ZL28rocblas_dot_batched_4_kernelIiLi32ELi4ELb1EDF16_DF16_PKDF16_EviT5_lT_lS2_lS3_liPT4_, .Lfunc_end172-_ZL28rocblas_dot_batched_4_kernelIiLi32ELi4ELb1EDF16_DF16_PKDF16_EviT5_lT_lS2_lS3_liPT4_
                                        ; -- End function
	.set _ZL28rocblas_dot_batched_4_kernelIiLi32ELi4ELb1EDF16_DF16_PKDF16_EviT5_lT_lS2_lS3_liPT4_.num_vgpr, 13
	.set _ZL28rocblas_dot_batched_4_kernelIiLi32ELi4ELb1EDF16_DF16_PKDF16_EviT5_lT_lS2_lS3_liPT4_.num_agpr, 0
	.set _ZL28rocblas_dot_batched_4_kernelIiLi32ELi4ELb1EDF16_DF16_PKDF16_EviT5_lT_lS2_lS3_liPT4_.numbered_sgpr, 22
	.set _ZL28rocblas_dot_batched_4_kernelIiLi32ELi4ELb1EDF16_DF16_PKDF16_EviT5_lT_lS2_lS3_liPT4_.num_named_barrier, 0
	.set _ZL28rocblas_dot_batched_4_kernelIiLi32ELi4ELb1EDF16_DF16_PKDF16_EviT5_lT_lS2_lS3_liPT4_.private_seg_size, 0
	.set _ZL28rocblas_dot_batched_4_kernelIiLi32ELi4ELb1EDF16_DF16_PKDF16_EviT5_lT_lS2_lS3_liPT4_.uses_vcc, 1
	.set _ZL28rocblas_dot_batched_4_kernelIiLi32ELi4ELb1EDF16_DF16_PKDF16_EviT5_lT_lS2_lS3_liPT4_.uses_flat_scratch, 0
	.set _ZL28rocblas_dot_batched_4_kernelIiLi32ELi4ELb1EDF16_DF16_PKDF16_EviT5_lT_lS2_lS3_liPT4_.has_dyn_sized_stack, 0
	.set _ZL28rocblas_dot_batched_4_kernelIiLi32ELi4ELb1EDF16_DF16_PKDF16_EviT5_lT_lS2_lS3_liPT4_.has_recursion, 0
	.set _ZL28rocblas_dot_batched_4_kernelIiLi32ELi4ELb1EDF16_DF16_PKDF16_EviT5_lT_lS2_lS3_liPT4_.has_indirect_call, 0
	.section	.AMDGPU.csdata,"",@progbits
; Kernel info:
; codeLenInByte = 688
; TotalNumSgprs: 26
; NumVgprs: 13
; ScratchSize: 0
; MemoryBound: 0
; FloatMode: 240
; IeeeMode: 1
; LDSByteSize: 0 bytes/workgroup (compile time only)
; SGPRBlocks: 3
; VGPRBlocks: 3
; NumSGPRsForWavesPerEU: 26
; NumVGPRsForWavesPerEU: 13
; Occupancy: 10
; WaveLimiterHint : 0
; COMPUTE_PGM_RSRC2:SCRATCH_EN: 0
; COMPUTE_PGM_RSRC2:USER_SGPR: 6
; COMPUTE_PGM_RSRC2:TRAP_HANDLER: 0
; COMPUTE_PGM_RSRC2:TGID_X_EN: 1
; COMPUTE_PGM_RSRC2:TGID_Y_EN: 0
; COMPUTE_PGM_RSRC2:TGID_Z_EN: 0
; COMPUTE_PGM_RSRC2:TIDIG_COMP_CNT: 1
	.section	.text._ZL28rocblas_dot_batched_4_kernelIiLi64ELi4ELb1EDF16_DF16_PKDF16_EviT5_lT_lS2_lS3_liPT4_,"axG",@progbits,_ZL28rocblas_dot_batched_4_kernelIiLi64ELi4ELb1EDF16_DF16_PKDF16_EviT5_lT_lS2_lS3_liPT4_,comdat
	.globl	_ZL28rocblas_dot_batched_4_kernelIiLi64ELi4ELb1EDF16_DF16_PKDF16_EviT5_lT_lS2_lS3_liPT4_ ; -- Begin function _ZL28rocblas_dot_batched_4_kernelIiLi64ELi4ELb1EDF16_DF16_PKDF16_EviT5_lT_lS2_lS3_liPT4_
	.p2align	8
	.type	_ZL28rocblas_dot_batched_4_kernelIiLi64ELi4ELb1EDF16_DF16_PKDF16_EviT5_lT_lS2_lS3_liPT4_,@function
_ZL28rocblas_dot_batched_4_kernelIiLi64ELi4ELb1EDF16_DF16_PKDF16_EviT5_lT_lS2_lS3_liPT4_: ; @_ZL28rocblas_dot_batched_4_kernelIiLi64ELi4ELb1EDF16_DF16_PKDF16_EviT5_lT_lS2_lS3_liPT4_
; %bb.0:
	s_load_dword s0, s[4:5], 0x48
	v_lshl_add_u32 v1, s6, 2, v1
	s_waitcnt lgkmcnt(0)
	v_cmp_gt_u32_e32 vcc, s0, v1
	s_and_saveexec_b64 s[0:1], vcc
	s_cbranch_execz .LBB173_7
; %bb.1:
	s_load_dword s12, s[4:5], 0x0
	s_load_dwordx2 s[6:7], s[4:5], 0x50
	v_mov_b32_e32 v2, 0
	v_mov_b32_e32 v7, v2
	s_waitcnt lgkmcnt(0)
	v_cmp_gt_i32_e32 vcc, s12, v0
	s_and_saveexec_b64 s[8:9], vcc
	s_cbranch_execz .LBB173_5
; %bb.2:
	s_load_dwordx4 s[0:3], s[4:5], 0x20
	s_load_dwordx4 s[16:19], s[4:5], 0x8
	s_load_dword s10, s[4:5], 0x18
	s_load_dwordx2 s[14:15], s[4:5], 0x30
	s_waitcnt lgkmcnt(0)
	v_mad_u64_u32 v[3:4], s[20:21], s0, v1, 0
	s_load_dword s0, s[4:5], 0x38
	s_load_dwordx2 s[20:21], s[4:5], 0x40
	v_mad_i64_i32 v[5:6], s[4:5], s10, v0, 0
	s_ashr_i32 s11, s10, 31
	v_mad_u64_u32 v[7:8], s[4:5], s1, v1, v[4:5]
	v_lshlrev_b64 v[5:6], 1, v[5:6]
	s_waitcnt lgkmcnt(0)
	s_ashr_i32 s1, s0, 31
	v_mov_b32_e32 v4, v7
	v_lshlrev_b64 v[3:4], 1, v[3:4]
	s_lshl_b64 s[4:5], s[18:19], 1
	v_add_co_u32_e32 v11, vcc, v5, v3
	s_add_u32 s13, s16, s4
	v_addc_co_u32_e32 v4, vcc, v6, v4, vcc
	s_addc_u32 s16, s17, s5
	v_mad_u64_u32 v[5:6], s[4:5], s20, v1, 0
	v_mad_i64_i32 v[7:8], s[4:5], s0, v0, 0
	v_mov_b32_e32 v3, v6
	v_mad_u64_u32 v[9:10], s[4:5], s21, v1, v[3:4]
	v_mov_b32_e32 v12, s16
	v_add_co_u32_e32 v3, vcc, s13, v11
	v_mov_b32_e32 v6, v9
	v_lshlrev_b64 v[7:8], 1, v[7:8]
	v_lshlrev_b64 v[5:6], 1, v[5:6]
	v_addc_co_u32_e32 v4, vcc, v12, v4, vcc
	s_lshl_b64 s[4:5], s[10:11], 7
	s_lshl_b64 s[10:11], s[14:15], 1
	v_add_co_u32_e32 v5, vcc, v7, v5
	s_add_u32 s2, s2, s10
	v_addc_co_u32_e32 v6, vcc, v8, v6, vcc
	s_addc_u32 s3, s3, s11
	v_mov_b32_e32 v7, s3
	v_add_co_u32_e32 v5, vcc, s2, v5
	v_addc_co_u32_e32 v6, vcc, v7, v6, vcc
	s_lshl_b64 s[2:3], s[0:1], 7
	v_mov_b32_e32 v7, 0
	s_mov_b64 s[10:11], 0
	v_mov_b32_e32 v8, v0
.LBB173_3:                              ; =>This Inner Loop Header: Depth=1
	global_load_ushort v9, v[3:4], off
	global_load_ushort v10, v[5:6], off
	v_mov_b32_e32 v12, s3
	v_add_co_u32_e32 v5, vcc, s2, v5
	v_add_u32_e32 v8, 64, v8
	v_addc_co_u32_e32 v6, vcc, v6, v12, vcc
	v_mov_b32_e32 v11, s5
	v_add_co_u32_e64 v3, s[0:1], s4, v3
	v_cmp_le_i32_e32 vcc, s12, v8
	v_addc_co_u32_e64 v4, s[0:1], v4, v11, s[0:1]
	s_or_b64 s[10:11], vcc, s[10:11]
	s_waitcnt vmcnt(0)
	v_fma_f16 v7, v9, v10, v7
	s_andn2_b64 exec, exec, s[10:11]
	s_cbranch_execnz .LBB173_3
; %bb.4:
	s_or_b64 exec, exec, s[10:11]
.LBB173_5:
	s_or_b64 exec, exec, s[8:9]
	v_mbcnt_lo_u32_b32 v3, -1, 0
	v_mbcnt_hi_u32_b32 v3, -1, v3
	v_mov_b32_e32 v5, 0x80
	v_and_b32_e32 v4, 0xffff, v7
	v_lshl_or_b32 v5, v3, 2, v5
	ds_bpermute_b32 v4, v5, v4
	v_and_b32_e32 v5, 63, v3
	v_cmp_gt_u32_e32 vcc, 48, v5
	s_mov_b32 s0, 0xffff0000
	s_waitcnt lgkmcnt(0)
	v_add_f16_e32 v6, v7, v4
	v_cndmask_b32_e64 v7, 0, 16, vcc
	v_and_or_b32 v4, v4, s0, v6
	v_add_lshl_u32 v7, v7, v3, 2
	ds_bpermute_b32 v4, v7, v4
	v_cmp_gt_u32_e32 vcc, 56, v5
	v_cndmask_b32_e64 v7, 0, 8, vcc
	v_add_lshl_u32 v7, v7, v3, 2
	v_cmp_gt_u32_e32 vcc, 60, v5
	s_waitcnt lgkmcnt(0)
	v_add_f16_e32 v6, v6, v4
	v_and_or_b32 v4, v4, s0, v6
	ds_bpermute_b32 v4, v7, v4
	v_cndmask_b32_e64 v7, 0, 4, vcc
	v_add_lshl_u32 v7, v7, v3, 2
	v_cmp_gt_u32_e32 vcc, 62, v5
	s_waitcnt lgkmcnt(0)
	s_barrier
	v_add_f16_e32 v6, v6, v4
	v_and_or_b32 v4, v4, s0, v6
	ds_bpermute_b32 v4, v7, v4
	v_cndmask_b32_e64 v7, 0, 2, vcc
	v_add_lshl_u32 v7, v7, v3, 2
	v_cmp_ne_u32_e32 vcc, 63, v5
	v_addc_co_u32_e32 v5, vcc, 0, v3, vcc
	s_waitcnt lgkmcnt(0)
	v_add_f16_e32 v6, v6, v4
	v_and_or_b32 v4, v4, s0, v6
	ds_bpermute_b32 v4, v7, v4
	v_lshlrev_b32_e32 v5, 2, v5
	v_cmp_eq_u32_e32 vcc, 0, v0
	s_waitcnt lgkmcnt(0)
	v_add_f16_e32 v3, v6, v4
	v_and_or_b32 v4, v4, s0, v3
	ds_bpermute_b32 v4, v5, v4
	s_and_b64 exec, exec, vcc
	s_cbranch_execz .LBB173_7
; %bb.6:
	v_lshlrev_b64 v[0:1], 1, v[1:2]
	v_mov_b32_e32 v2, s7
	v_add_co_u32_e32 v0, vcc, s6, v0
	v_addc_co_u32_e32 v1, vcc, v2, v1, vcc
	s_waitcnt lgkmcnt(0)
	v_add_f16_e32 v2, v3, v4
	global_store_short v[0:1], v2, off
.LBB173_7:
	s_endpgm
	.section	.rodata,"a",@progbits
	.p2align	6, 0x0
	.amdhsa_kernel _ZL28rocblas_dot_batched_4_kernelIiLi64ELi4ELb1EDF16_DF16_PKDF16_EviT5_lT_lS2_lS3_liPT4_
		.amdhsa_group_segment_fixed_size 0
		.amdhsa_private_segment_fixed_size 0
		.amdhsa_kernarg_size 88
		.amdhsa_user_sgpr_count 6
		.amdhsa_user_sgpr_private_segment_buffer 1
		.amdhsa_user_sgpr_dispatch_ptr 0
		.amdhsa_user_sgpr_queue_ptr 0
		.amdhsa_user_sgpr_kernarg_segment_ptr 1
		.amdhsa_user_sgpr_dispatch_id 0
		.amdhsa_user_sgpr_flat_scratch_init 0
		.amdhsa_user_sgpr_private_segment_size 0
		.amdhsa_uses_dynamic_stack 0
		.amdhsa_system_sgpr_private_segment_wavefront_offset 0
		.amdhsa_system_sgpr_workgroup_id_x 1
		.amdhsa_system_sgpr_workgroup_id_y 0
		.amdhsa_system_sgpr_workgroup_id_z 0
		.amdhsa_system_sgpr_workgroup_info 0
		.amdhsa_system_vgpr_workitem_id 1
		.amdhsa_next_free_vgpr 13
		.amdhsa_next_free_sgpr 22
		.amdhsa_reserve_vcc 1
		.amdhsa_reserve_flat_scratch 0
		.amdhsa_float_round_mode_32 0
		.amdhsa_float_round_mode_16_64 0
		.amdhsa_float_denorm_mode_32 3
		.amdhsa_float_denorm_mode_16_64 3
		.amdhsa_dx10_clamp 1
		.amdhsa_ieee_mode 1
		.amdhsa_fp16_overflow 0
		.amdhsa_exception_fp_ieee_invalid_op 0
		.amdhsa_exception_fp_denorm_src 0
		.amdhsa_exception_fp_ieee_div_zero 0
		.amdhsa_exception_fp_ieee_overflow 0
		.amdhsa_exception_fp_ieee_underflow 0
		.amdhsa_exception_fp_ieee_inexact 0
		.amdhsa_exception_int_div_zero 0
	.end_amdhsa_kernel
	.section	.text._ZL28rocblas_dot_batched_4_kernelIiLi64ELi4ELb1EDF16_DF16_PKDF16_EviT5_lT_lS2_lS3_liPT4_,"axG",@progbits,_ZL28rocblas_dot_batched_4_kernelIiLi64ELi4ELb1EDF16_DF16_PKDF16_EviT5_lT_lS2_lS3_liPT4_,comdat
.Lfunc_end173:
	.size	_ZL28rocblas_dot_batched_4_kernelIiLi64ELi4ELb1EDF16_DF16_PKDF16_EviT5_lT_lS2_lS3_liPT4_, .Lfunc_end173-_ZL28rocblas_dot_batched_4_kernelIiLi64ELi4ELb1EDF16_DF16_PKDF16_EviT5_lT_lS2_lS3_liPT4_
                                        ; -- End function
	.set _ZL28rocblas_dot_batched_4_kernelIiLi64ELi4ELb1EDF16_DF16_PKDF16_EviT5_lT_lS2_lS3_liPT4_.num_vgpr, 13
	.set _ZL28rocblas_dot_batched_4_kernelIiLi64ELi4ELb1EDF16_DF16_PKDF16_EviT5_lT_lS2_lS3_liPT4_.num_agpr, 0
	.set _ZL28rocblas_dot_batched_4_kernelIiLi64ELi4ELb1EDF16_DF16_PKDF16_EviT5_lT_lS2_lS3_liPT4_.numbered_sgpr, 22
	.set _ZL28rocblas_dot_batched_4_kernelIiLi64ELi4ELb1EDF16_DF16_PKDF16_EviT5_lT_lS2_lS3_liPT4_.num_named_barrier, 0
	.set _ZL28rocblas_dot_batched_4_kernelIiLi64ELi4ELb1EDF16_DF16_PKDF16_EviT5_lT_lS2_lS3_liPT4_.private_seg_size, 0
	.set _ZL28rocblas_dot_batched_4_kernelIiLi64ELi4ELb1EDF16_DF16_PKDF16_EviT5_lT_lS2_lS3_liPT4_.uses_vcc, 1
	.set _ZL28rocblas_dot_batched_4_kernelIiLi64ELi4ELb1EDF16_DF16_PKDF16_EviT5_lT_lS2_lS3_liPT4_.uses_flat_scratch, 0
	.set _ZL28rocblas_dot_batched_4_kernelIiLi64ELi4ELb1EDF16_DF16_PKDF16_EviT5_lT_lS2_lS3_liPT4_.has_dyn_sized_stack, 0
	.set _ZL28rocblas_dot_batched_4_kernelIiLi64ELi4ELb1EDF16_DF16_PKDF16_EviT5_lT_lS2_lS3_liPT4_.has_recursion, 0
	.set _ZL28rocblas_dot_batched_4_kernelIiLi64ELi4ELb1EDF16_DF16_PKDF16_EviT5_lT_lS2_lS3_liPT4_.has_indirect_call, 0
	.section	.AMDGPU.csdata,"",@progbits
; Kernel info:
; codeLenInByte = 728
; TotalNumSgprs: 26
; NumVgprs: 13
; ScratchSize: 0
; MemoryBound: 0
; FloatMode: 240
; IeeeMode: 1
; LDSByteSize: 0 bytes/workgroup (compile time only)
; SGPRBlocks: 3
; VGPRBlocks: 3
; NumSGPRsForWavesPerEU: 26
; NumVGPRsForWavesPerEU: 13
; Occupancy: 10
; WaveLimiterHint : 0
; COMPUTE_PGM_RSRC2:SCRATCH_EN: 0
; COMPUTE_PGM_RSRC2:USER_SGPR: 6
; COMPUTE_PGM_RSRC2:TRAP_HANDLER: 0
; COMPUTE_PGM_RSRC2:TGID_X_EN: 1
; COMPUTE_PGM_RSRC2:TGID_Y_EN: 0
; COMPUTE_PGM_RSRC2:TGID_Z_EN: 0
; COMPUTE_PGM_RSRC2:TIDIG_COMP_CNT: 1
	.section	.text._ZL26rocblas_dot_kernel_inc1by2ILb1ELi1024ELi32ELb1EDF16_PKDF16_DF16_EviT4_llS2_lliPT5_PT3_,"axG",@progbits,_ZL26rocblas_dot_kernel_inc1by2ILb1ELi1024ELi32ELb1EDF16_PKDF16_DF16_EviT4_llS2_lliPT5_PT3_,comdat
	.globl	_ZL26rocblas_dot_kernel_inc1by2ILb1ELi1024ELi32ELb1EDF16_PKDF16_DF16_EviT4_llS2_lliPT5_PT3_ ; -- Begin function _ZL26rocblas_dot_kernel_inc1by2ILb1ELi1024ELi32ELb1EDF16_PKDF16_DF16_EviT4_llS2_lliPT5_PT3_
	.p2align	8
	.type	_ZL26rocblas_dot_kernel_inc1by2ILb1ELi1024ELi32ELb1EDF16_PKDF16_DF16_EviT4_llS2_lliPT5_PT3_,@function
_ZL26rocblas_dot_kernel_inc1by2ILb1ELi1024ELi32ELb1EDF16_PKDF16_DF16_EviT4_llS2_lliPT5_PT3_: ; @_ZL26rocblas_dot_kernel_inc1by2ILb1ELi1024ELi32ELb1EDF16_PKDF16_DF16_EviT4_llS2_lliPT5_PT3_
; %bb.0:
	s_mov_b32 s2, s7
	s_load_dword s24, s[4:5], 0x0
	s_load_dwordx2 s[18:19], s[4:5], 0x8
	s_load_dwordx4 s[12:15], s[4:5], 0x10
	s_load_dwordx2 s[16:17], s[4:5], 0x20
	s_load_dwordx2 s[6:7], s[4:5], 0x48
	s_load_dwordx4 s[8:11], s[4:5], 0x28
	v_lshlrev_b32_e32 v6, 1, v0
	s_waitcnt lgkmcnt(0)
	s_mul_i32 s0, s15, s2
	s_mul_hi_u32 s1, s14, s2
	s_add_i32 s15, s1, s0
	s_mul_i32 s0, s11, s2
	s_mul_hi_u32 s1, s10, s2
	s_add_i32 s4, s24, -1
	s_mov_b32 s3, 0
	s_mul_i32 s14, s14, s2
	s_add_i32 s11, s1, s0
	s_mul_i32 s10, s10, s2
	v_cmp_gt_i32_e32 vcc, s4, v6
	v_mov_b32_e32 v5, 0
	s_and_saveexec_b64 s[20:21], vcc
	s_cbranch_execz .LBB174_4
; %bb.1:
	s_lshl_b64 s[0:1], s[10:11], 1
	s_lshl_b64 s[22:23], s[8:9], 1
	s_add_u32 s5, s16, s22
	s_addc_u32 s22, s17, s23
	s_add_u32 s0, s5, s0
	v_lshlrev_b32_e32 v3, 2, v0
	s_addc_u32 s1, s22, s1
	v_mov_b32_e32 v2, s1
	v_add_co_u32_e32 v1, vcc, s0, v3
	s_lshl_b64 s[0:1], s[14:15], 1
	s_lshl_b64 s[22:23], s[12:13], 1
	s_add_u32 s5, s18, s22
	s_addc_u32 s22, s19, s23
	s_add_u32 s0, s5, s0
	v_addc_co_u32_e32 v2, vcc, 0, v2, vcc
	s_addc_u32 s1, s22, s1
	v_mov_b32_e32 v4, s1
	v_add_co_u32_e32 v3, vcc, s0, v3
	v_mov_b32_e32 v5, 0
	v_addc_co_u32_e32 v4, vcc, 0, v4, vcc
	s_mov_b64 s[22:23], 0
	s_mov_b32 s5, s3
.LBB174_2:                              ; =>This Inner Loop Header: Depth=1
	global_load_dword v7, v[1:2], off
	global_load_dword v8, v[3:4], off
	s_add_i32 s25, s5, 1
	v_add_u32_e32 v6, 0x800, v6
	s_cmp_gt_u32 s5, 30
	v_add_co_u32_e32 v1, vcc, 0x1000, v1
	v_cmp_le_i32_e64 s[0:1], s4, v6
	s_cselect_b64 s[26:27], -1, 0
	v_addc_co_u32_e32 v2, vcc, 0, v2, vcc
	s_or_b64 s[0:1], s[26:27], s[0:1]
	v_add_co_u32_e32 v3, vcc, 0x1000, v3
	s_and_b64 s[0:1], exec, s[0:1]
	s_mov_b32 s5, s25
	v_addc_co_u32_e32 v4, vcc, 0, v4, vcc
	s_or_b64 s[22:23], s[0:1], s[22:23]
	s_waitcnt vmcnt(0)
	v_pk_mul_f16 v7, v7, v8
	v_add_f16_e32 v5, v5, v7
	v_add_f16_sdwa v5, v5, v7 dst_sel:DWORD dst_unused:UNUSED_PAD src0_sel:DWORD src1_sel:WORD_1
	s_andn2_b64 exec, exec, s[22:23]
	s_cbranch_execnz .LBB174_2
; %bb.3:
	s_or_b64 exec, exec, s[22:23]
.LBB174_4:
	s_or_b64 exec, exec, s[20:21]
	s_bitcmp1_b32 s24, 0
	s_cselect_b64 s[0:1], -1, 0
	v_cmp_eq_u32_e32 vcc, s4, v6
	s_and_b64 s[20:21], s[0:1], vcc
	s_and_saveexec_b64 s[0:1], s[20:21]
	s_cbranch_execz .LBB174_6
; %bb.5:
	s_lshl_b64 s[14:15], s[14:15], 1
	s_add_u32 s5, s18, s14
	s_addc_u32 s14, s19, s15
	s_lshl_b64 s[12:13], s[12:13], 1
	s_add_u32 s12, s5, s12
	s_addc_u32 s13, s14, s13
	s_lshl_b64 s[10:11], s[10:11], 1
	s_add_u32 s5, s16, s10
	s_addc_u32 s10, s17, s11
	s_lshl_b64 s[8:9], s[8:9], 1
	s_add_u32 s11, s5, s8
	s_mov_b32 s5, 0
	s_addc_u32 s10, s10, s9
	s_lshl_b64 s[4:5], s[4:5], 1
	s_add_u32 s8, s12, s4
	s_addc_u32 s9, s13, s5
	s_add_u32 s4, s11, s4
	v_mov_b32_e32 v1, 0
	s_addc_u32 s5, s10, s5
	global_load_ushort v2, v1, s[4:5]
	global_load_ushort v3, v1, s[8:9]
	s_waitcnt vmcnt(0)
	v_fma_f16 v5, v2, v3, v5
.LBB174_6:
	s_or_b64 exec, exec, s[0:1]
	v_and_b32_e32 v3, 63, v0
	v_cmp_gt_u32_e32 vcc, 64, v0
	v_lshlrev_b32_e32 v1, 1, v3
	s_and_saveexec_b64 s[0:1], vcc
; %bb.7:
	v_mov_b32_e32 v2, 0
	ds_write_b16 v1, v2
; %bb.8:
	s_or_b64 exec, exec, s[0:1]
	v_mbcnt_lo_u32_b32 v2, -1, 0
	v_mbcnt_hi_u32_b32 v6, -1, v2
	v_mov_b32_e32 v4, 0x80
	v_and_b32_e32 v2, 0xffff, v5
	v_lshl_or_b32 v4, v6, 2, v4
	ds_bpermute_b32 v2, v4, v2
	v_and_b32_e32 v7, 63, v6
	v_cmp_gt_u32_e64 s[0:1], 48, v7
	s_mov_b32 s4, 0xffff0000
	s_waitcnt lgkmcnt(0)
	v_add_f16_e32 v4, v5, v2
	v_cndmask_b32_e64 v5, 0, 16, s[0:1]
	v_and_or_b32 v2, v2, s4, v4
	v_add_lshl_u32 v5, v5, v6, 2
	ds_bpermute_b32 v2, v5, v2
	v_cmp_gt_u32_e64 s[0:1], 56, v7
	s_waitcnt lgkmcnt(0)
	s_barrier
	v_add_f16_e32 v4, v4, v2
	v_and_or_b32 v5, v2, s4, v4
	v_cndmask_b32_e64 v2, 0, 8, s[0:1]
	v_add_lshl_u32 v2, v2, v6, 2
	ds_bpermute_b32 v5, v2, v5
	v_cmp_gt_u32_e64 s[0:1], 60, v7
	v_cndmask_b32_e64 v8, 0, 4, s[0:1]
	v_cmp_gt_u32_e64 s[0:1], 62, v7
	s_waitcnt lgkmcnt(0)
	v_add_f16_e32 v9, v4, v5
	v_and_or_b32 v5, v5, s4, v9
	v_add_lshl_u32 v4, v8, v6, 2
	ds_bpermute_b32 v8, v4, v5
	v_cndmask_b32_e64 v5, 0, 2, s[0:1]
	v_add_lshl_u32 v5, v5, v6, 2
	v_cmp_ne_u32_e64 s[0:1], 63, v7
	v_addc_co_u32_e64 v6, s[0:1], 0, v6, s[0:1]
	s_waitcnt lgkmcnt(0)
	v_add_f16_e32 v9, v9, v8
	v_and_or_b32 v8, v8, s4, v9
	ds_bpermute_b32 v8, v5, v8
	v_lshlrev_b32_e32 v6, 2, v6
	v_cmp_eq_u32_e64 s[0:1], 0, v3
	s_waitcnt lgkmcnt(0)
	v_add_f16_e32 v7, v9, v8
	v_and_or_b32 v8, v8, s4, v7
	ds_bpermute_b32 v8, v6, v8
	s_and_saveexec_b64 s[4:5], s[0:1]
	s_cbranch_execz .LBB174_10
; %bb.9:
	s_waitcnt lgkmcnt(0)
	v_add_f16_e32 v3, v7, v8
	v_lshrrev_b32_e32 v7, 5, v0
	v_and_b32_e32 v7, 30, v7
	ds_write_b16 v7, v3
.LBB174_10:
	s_or_b64 exec, exec, s[4:5]
	v_cmp_gt_u32_e64 s[0:1], 16, v0
	v_mov_b32_e32 v3, 0
	s_waitcnt lgkmcnt(0)
	s_barrier
	s_and_saveexec_b64 s[4:5], s[0:1]
	s_cbranch_execnz .LBB174_14
; %bb.11:
	s_or_b64 exec, exec, s[4:5]
	s_and_saveexec_b64 s[0:1], vcc
	s_cbranch_execnz .LBB174_15
.LBB174_12:
	s_or_b64 exec, exec, s[0:1]
	v_cmp_eq_u32_e32 vcc, 0, v0
	s_and_saveexec_b64 s[0:1], vcc
	s_cbranch_execnz .LBB174_16
.LBB174_13:
	s_endpgm
.LBB174_14:
	ds_read_u16 v3, v1
	s_or_b64 exec, exec, s[4:5]
	s_and_saveexec_b64 s[0:1], vcc
	s_cbranch_execz .LBB174_12
.LBB174_15:
	s_waitcnt lgkmcnt(0)
	v_and_b32_e32 v1, 0xffff, v3
	ds_bpermute_b32 v1, v2, v1
	s_mov_b32 s4, 0xffff0000
	s_waitcnt lgkmcnt(0)
	v_add_f16_e32 v2, v3, v1
	v_and_or_b32 v1, v1, s4, v2
	ds_bpermute_b32 v1, v4, v1
	s_waitcnt lgkmcnt(0)
	v_add_f16_e32 v2, v2, v1
	v_and_or_b32 v1, v1, s4, v2
	ds_bpermute_b32 v1, v5, v1
	;; [unrolled: 4-line block ×3, first 2 shown]
	s_waitcnt lgkmcnt(0)
	v_add_f16_e32 v3, v2, v1
	s_or_b64 exec, exec, s[0:1]
	v_cmp_eq_u32_e32 vcc, 0, v0
	s_and_saveexec_b64 s[0:1], vcc
	s_cbranch_execz .LBB174_13
.LBB174_16:
	s_lshl_b64 s[0:1], s[2:3], 1
	s_add_u32 s0, s6, s0
	s_addc_u32 s1, s7, s1
	v_mov_b32_e32 v0, 0
	s_waitcnt lgkmcnt(0)
	global_store_short v0, v3, s[0:1]
	s_endpgm
	.section	.rodata,"a",@progbits
	.p2align	6, 0x0
	.amdhsa_kernel _ZL26rocblas_dot_kernel_inc1by2ILb1ELi1024ELi32ELb1EDF16_PKDF16_DF16_EviT4_llS2_lliPT5_PT3_
		.amdhsa_group_segment_fixed_size 128
		.amdhsa_private_segment_fixed_size 0
		.amdhsa_kernarg_size 80
		.amdhsa_user_sgpr_count 6
		.amdhsa_user_sgpr_private_segment_buffer 1
		.amdhsa_user_sgpr_dispatch_ptr 0
		.amdhsa_user_sgpr_queue_ptr 0
		.amdhsa_user_sgpr_kernarg_segment_ptr 1
		.amdhsa_user_sgpr_dispatch_id 0
		.amdhsa_user_sgpr_flat_scratch_init 0
		.amdhsa_user_sgpr_private_segment_size 0
		.amdhsa_uses_dynamic_stack 0
		.amdhsa_system_sgpr_private_segment_wavefront_offset 0
		.amdhsa_system_sgpr_workgroup_id_x 1
		.amdhsa_system_sgpr_workgroup_id_y 0
		.amdhsa_system_sgpr_workgroup_id_z 1
		.amdhsa_system_sgpr_workgroup_info 0
		.amdhsa_system_vgpr_workitem_id 0
		.amdhsa_next_free_vgpr 10
		.amdhsa_next_free_sgpr 28
		.amdhsa_reserve_vcc 1
		.amdhsa_reserve_flat_scratch 0
		.amdhsa_float_round_mode_32 0
		.amdhsa_float_round_mode_16_64 0
		.amdhsa_float_denorm_mode_32 3
		.amdhsa_float_denorm_mode_16_64 3
		.amdhsa_dx10_clamp 1
		.amdhsa_ieee_mode 1
		.amdhsa_fp16_overflow 0
		.amdhsa_exception_fp_ieee_invalid_op 0
		.amdhsa_exception_fp_denorm_src 0
		.amdhsa_exception_fp_ieee_div_zero 0
		.amdhsa_exception_fp_ieee_overflow 0
		.amdhsa_exception_fp_ieee_underflow 0
		.amdhsa_exception_fp_ieee_inexact 0
		.amdhsa_exception_int_div_zero 0
	.end_amdhsa_kernel
	.section	.text._ZL26rocblas_dot_kernel_inc1by2ILb1ELi1024ELi32ELb1EDF16_PKDF16_DF16_EviT4_llS2_lliPT5_PT3_,"axG",@progbits,_ZL26rocblas_dot_kernel_inc1by2ILb1ELi1024ELi32ELb1EDF16_PKDF16_DF16_EviT4_llS2_lliPT5_PT3_,comdat
.Lfunc_end174:
	.size	_ZL26rocblas_dot_kernel_inc1by2ILb1ELi1024ELi32ELb1EDF16_PKDF16_DF16_EviT4_llS2_lliPT5_PT3_, .Lfunc_end174-_ZL26rocblas_dot_kernel_inc1by2ILb1ELi1024ELi32ELb1EDF16_PKDF16_DF16_EviT4_llS2_lliPT5_PT3_
                                        ; -- End function
	.set _ZL26rocblas_dot_kernel_inc1by2ILb1ELi1024ELi32ELb1EDF16_PKDF16_DF16_EviT4_llS2_lliPT5_PT3_.num_vgpr, 10
	.set _ZL26rocblas_dot_kernel_inc1by2ILb1ELi1024ELi32ELb1EDF16_PKDF16_DF16_EviT4_llS2_lliPT5_PT3_.num_agpr, 0
	.set _ZL26rocblas_dot_kernel_inc1by2ILb1ELi1024ELi32ELb1EDF16_PKDF16_DF16_EviT4_llS2_lliPT5_PT3_.numbered_sgpr, 28
	.set _ZL26rocblas_dot_kernel_inc1by2ILb1ELi1024ELi32ELb1EDF16_PKDF16_DF16_EviT4_llS2_lliPT5_PT3_.num_named_barrier, 0
	.set _ZL26rocblas_dot_kernel_inc1by2ILb1ELi1024ELi32ELb1EDF16_PKDF16_DF16_EviT4_llS2_lliPT5_PT3_.private_seg_size, 0
	.set _ZL26rocblas_dot_kernel_inc1by2ILb1ELi1024ELi32ELb1EDF16_PKDF16_DF16_EviT4_llS2_lliPT5_PT3_.uses_vcc, 1
	.set _ZL26rocblas_dot_kernel_inc1by2ILb1ELi1024ELi32ELb1EDF16_PKDF16_DF16_EviT4_llS2_lliPT5_PT3_.uses_flat_scratch, 0
	.set _ZL26rocblas_dot_kernel_inc1by2ILb1ELi1024ELi32ELb1EDF16_PKDF16_DF16_EviT4_llS2_lliPT5_PT3_.has_dyn_sized_stack, 0
	.set _ZL26rocblas_dot_kernel_inc1by2ILb1ELi1024ELi32ELb1EDF16_PKDF16_DF16_EviT4_llS2_lliPT5_PT3_.has_recursion, 0
	.set _ZL26rocblas_dot_kernel_inc1by2ILb1ELi1024ELi32ELb1EDF16_PKDF16_DF16_EviT4_llS2_lliPT5_PT3_.has_indirect_call, 0
	.section	.AMDGPU.csdata,"",@progbits
; Kernel info:
; codeLenInByte = 1072
; TotalNumSgprs: 32
; NumVgprs: 10
; ScratchSize: 0
; MemoryBound: 0
; FloatMode: 240
; IeeeMode: 1
; LDSByteSize: 128 bytes/workgroup (compile time only)
; SGPRBlocks: 3
; VGPRBlocks: 2
; NumSGPRsForWavesPerEU: 32
; NumVGPRsForWavesPerEU: 10
; Occupancy: 10
; WaveLimiterHint : 0
; COMPUTE_PGM_RSRC2:SCRATCH_EN: 0
; COMPUTE_PGM_RSRC2:USER_SGPR: 6
; COMPUTE_PGM_RSRC2:TRAP_HANDLER: 0
; COMPUTE_PGM_RSRC2:TGID_X_EN: 1
; COMPUTE_PGM_RSRC2:TGID_Y_EN: 0
; COMPUTE_PGM_RSRC2:TGID_Z_EN: 1
; COMPUTE_PGM_RSRC2:TIDIG_COMP_CNT: 0
	.section	.text._ZL18rocblas_dot_kernelIiLb1ELi1024ELi32ELb1EDF16_PKDF16_DF16_EviT5_lT_lS2_lS3_liPT6_PT4_,"axG",@progbits,_ZL18rocblas_dot_kernelIiLb1ELi1024ELi32ELb1EDF16_PKDF16_DF16_EviT5_lT_lS2_lS3_liPT6_PT4_,comdat
	.globl	_ZL18rocblas_dot_kernelIiLb1ELi1024ELi32ELb1EDF16_PKDF16_DF16_EviT5_lT_lS2_lS3_liPT6_PT4_ ; -- Begin function _ZL18rocblas_dot_kernelIiLb1ELi1024ELi32ELb1EDF16_PKDF16_DF16_EviT5_lT_lS2_lS3_liPT6_PT4_
	.p2align	8
	.type	_ZL18rocblas_dot_kernelIiLb1ELi1024ELi32ELb1EDF16_PKDF16_DF16_EviT5_lT_lS2_lS3_liPT6_PT4_,@function
_ZL18rocblas_dot_kernelIiLb1ELi1024ELi32ELb1EDF16_PKDF16_DF16_EviT5_lT_lS2_lS3_liPT6_PT4_: ; @_ZL18rocblas_dot_kernelIiLb1ELi1024ELi32ELb1EDF16_PKDF16_DF16_EviT5_lT_lS2_lS3_liPT6_PT4_
; %bb.0:
	s_load_dword s14, s[4:5], 0x0
	s_load_dwordx2 s[8:9], s[4:5], 0x58
	s_mov_b32 s6, s7
	s_mov_b32 s7, 0
	v_mov_b32_e32 v6, 0
	s_waitcnt lgkmcnt(0)
	v_cmp_gt_i32_e32 vcc, s14, v0
	s_and_saveexec_b64 s[10:11], vcc
	s_cbranch_execz .LBB175_4
; %bb.1:
	s_load_dword s22, s[4:5], 0x38
	s_load_dwordx2 s[12:13], s[4:5], 0x40
	s_load_dword s15, s[4:5], 0x60
	s_load_dwordx4 s[0:3], s[4:5], 0x20
	s_load_dwordx4 s[16:19], s[4:5], 0x8
	s_load_dword s23, s[4:5], 0x18
	s_load_dwordx2 s[20:21], s[4:5], 0x30
	s_waitcnt lgkmcnt(0)
	s_lshl_b32 s15, s15, 10
	s_mul_i32 s1, s1, s6
	s_mul_hi_u32 s24, s0, s6
	v_mad_i64_i32 v[1:2], s[4:5], s23, v0, 0
	s_add_i32 s1, s24, s1
	s_mul_i32 s0, s0, s6
	s_lshl_b64 s[0:1], s[0:1], 1
	s_lshl_b64 s[4:5], s[18:19], 1
	s_add_u32 s4, s16, s4
	s_addc_u32 s5, s17, s5
	v_lshlrev_b64 v[1:2], 1, v[1:2]
	s_add_u32 s0, s4, s0
	s_addc_u32 s1, s5, s1
	v_mov_b32_e32 v3, s1
	v_add_co_u32_e32 v1, vcc, s0, v1
	s_mul_hi_i32 s1, s23, s15
	s_mul_i32 s0, s23, s15
	v_addc_co_u32_e32 v2, vcc, v3, v2, vcc
	s_lshl_b64 s[4:5], s[0:1], 1
	s_mul_i32 s13, s13, s6
	s_mul_hi_u32 s16, s12, s6
	v_mad_i64_i32 v[3:4], s[0:1], s22, v0, 0
	s_add_i32 s1, s16, s13
	s_mul_i32 s0, s12, s6
	s_lshl_b64 s[0:1], s[0:1], 1
	s_lshl_b64 s[12:13], s[20:21], 1
	s_add_u32 s2, s2, s12
	s_addc_u32 s3, s3, s13
	v_lshlrev_b64 v[3:4], 1, v[3:4]
	s_add_u32 s0, s2, s0
	s_addc_u32 s1, s3, s1
	v_mov_b32_e32 v6, s1
	v_add_co_u32_e32 v3, vcc, s0, v3
	s_mul_hi_i32 s1, s22, s15
	s_mul_i32 s0, s22, s15
	s_lshl_b64 s[2:3], s[0:1], 1
	v_or_b32_e32 v5, s15, v0
	v_addc_co_u32_e32 v4, vcc, v6, v4, vcc
	v_mov_b32_e32 v6, 0
	s_mov_b64 s[12:13], 0
	v_mov_b32_e32 v7, s5
	v_mov_b32_e32 v8, s3
	s_mov_b32 s3, s7
.LBB175_2:                              ; =>This Inner Loop Header: Depth=1
	global_load_ushort v9, v[3:4], off
	global_load_ushort v10, v[1:2], off
	v_add_co_u32_e64 v1, s[0:1], s4, v1
	v_addc_co_u32_e64 v2, s[0:1], v2, v7, s[0:1]
	s_add_i32 s5, s3, 1
	v_add_co_u32_e64 v3, s[0:1], s2, v3
	v_addc_co_u32_e64 v4, s[0:1], v4, v8, s[0:1]
	s_cmp_gt_u32 s3, 30
	v_cmp_le_i32_e32 vcc, s14, v5
	s_cselect_b64 s[0:1], -1, 0
	s_or_b64 s[0:1], s[0:1], vcc
	s_and_b64 s[0:1], exec, s[0:1]
	v_add_u32_e32 v5, s15, v5
	s_mov_b32 s3, s5
	s_or_b64 s[12:13], s[0:1], s[12:13]
	s_waitcnt vmcnt(0)
	v_fma_f16 v6, v9, v10, v6
	s_andn2_b64 exec, exec, s[12:13]
	s_cbranch_execnz .LBB175_2
; %bb.3:
	s_or_b64 exec, exec, s[12:13]
.LBB175_4:
	s_or_b64 exec, exec, s[10:11]
	v_and_b32_e32 v3, 63, v0
	v_cmp_gt_u32_e32 vcc, 64, v0
	v_lshlrev_b32_e32 v1, 1, v3
	s_and_saveexec_b64 s[0:1], vcc
; %bb.5:
	v_mov_b32_e32 v2, 0
	ds_write_b16 v1, v2
; %bb.6:
	s_or_b64 exec, exec, s[0:1]
	v_mbcnt_lo_u32_b32 v2, -1, 0
	v_mbcnt_hi_u32_b32 v7, -1, v2
	v_mov_b32_e32 v4, 0x80
	v_and_b32_e32 v2, 0xffff, v6
	v_lshl_or_b32 v4, v7, 2, v4
	ds_bpermute_b32 v2, v4, v2
	v_and_b32_e32 v8, 63, v7
	v_cmp_gt_u32_e64 s[0:1], 48, v8
	s_mov_b32 s2, 0xffff0000
	v_cndmask_b32_e64 v5, 0, 16, s[0:1]
	s_waitcnt lgkmcnt(0)
	v_add_f16_e32 v4, v6, v2
	v_and_or_b32 v2, v2, s2, v4
	v_add_lshl_u32 v5, v5, v7, 2
	ds_bpermute_b32 v2, v5, v2
	v_cmp_gt_u32_e64 s[0:1], 56, v8
	s_waitcnt lgkmcnt(0)
	s_barrier
	v_add_f16_e32 v4, v4, v2
	v_and_or_b32 v5, v2, s2, v4
	v_cndmask_b32_e64 v2, 0, 8, s[0:1]
	v_add_lshl_u32 v2, v2, v7, 2
	ds_bpermute_b32 v5, v2, v5
	v_cmp_gt_u32_e64 s[0:1], 60, v8
	v_cndmask_b32_e64 v6, 0, 4, s[0:1]
	v_cmp_gt_u32_e64 s[0:1], 62, v8
	s_waitcnt lgkmcnt(0)
	v_add_f16_e32 v9, v4, v5
	v_and_or_b32 v5, v5, s2, v9
	v_add_lshl_u32 v4, v6, v7, 2
	ds_bpermute_b32 v6, v4, v5
	v_cndmask_b32_e64 v5, 0, 2, s[0:1]
	v_add_lshl_u32 v5, v5, v7, 2
	v_cmp_ne_u32_e64 s[0:1], 63, v8
	v_addc_co_u32_e64 v8, s[0:1], 0, v7, s[0:1]
	s_waitcnt lgkmcnt(0)
	v_add_f16_e32 v9, v9, v6
	v_and_or_b32 v6, v6, s2, v9
	ds_bpermute_b32 v6, v5, v6
	v_cmp_eq_u32_e64 s[0:1], 0, v3
	s_waitcnt lgkmcnt(0)
	v_add_f16_e32 v7, v9, v6
	v_and_or_b32 v9, v6, s2, v7
	v_lshlrev_b32_e32 v6, 2, v8
	ds_bpermute_b32 v8, v6, v9
	s_and_saveexec_b64 s[2:3], s[0:1]
	s_cbranch_execz .LBB175_8
; %bb.7:
	s_waitcnt lgkmcnt(0)
	v_add_f16_e32 v3, v7, v8
	v_lshrrev_b32_e32 v7, 5, v0
	v_and_b32_e32 v7, 30, v7
	ds_write_b16 v7, v3
.LBB175_8:
	s_or_b64 exec, exec, s[2:3]
	v_cmp_gt_u32_e64 s[0:1], 16, v0
	v_mov_b32_e32 v3, 0
	s_waitcnt lgkmcnt(0)
	s_barrier
	s_and_saveexec_b64 s[2:3], s[0:1]
	s_cbranch_execnz .LBB175_12
; %bb.9:
	s_or_b64 exec, exec, s[2:3]
	s_and_saveexec_b64 s[0:1], vcc
	s_cbranch_execnz .LBB175_13
.LBB175_10:
	s_or_b64 exec, exec, s[0:1]
	v_cmp_eq_u32_e32 vcc, 0, v0
	s_and_saveexec_b64 s[0:1], vcc
	s_cbranch_execnz .LBB175_14
.LBB175_11:
	s_endpgm
.LBB175_12:
	ds_read_u16 v3, v1
	s_or_b64 exec, exec, s[2:3]
	s_and_saveexec_b64 s[0:1], vcc
	s_cbranch_execz .LBB175_10
.LBB175_13:
	s_waitcnt lgkmcnt(0)
	v_and_b32_e32 v1, 0xffff, v3
	ds_bpermute_b32 v1, v2, v1
	s_mov_b32 s2, 0xffff0000
	s_waitcnt lgkmcnt(0)
	v_add_f16_e32 v2, v3, v1
	v_and_or_b32 v1, v1, s2, v2
	ds_bpermute_b32 v1, v4, v1
	s_waitcnt lgkmcnt(0)
	v_add_f16_e32 v2, v2, v1
	v_and_or_b32 v1, v1, s2, v2
	ds_bpermute_b32 v1, v5, v1
	;; [unrolled: 4-line block ×3, first 2 shown]
	s_waitcnt lgkmcnt(0)
	v_add_f16_e32 v3, v2, v1
	s_or_b64 exec, exec, s[0:1]
	v_cmp_eq_u32_e32 vcc, 0, v0
	s_and_saveexec_b64 s[0:1], vcc
	s_cbranch_execz .LBB175_11
.LBB175_14:
	s_lshl_b64 s[0:1], s[6:7], 1
	s_add_u32 s0, s8, s0
	s_addc_u32 s1, s9, s1
	v_mov_b32_e32 v0, 0
	s_waitcnt lgkmcnt(0)
	global_store_short v0, v3, s[0:1]
	s_endpgm
	.section	.rodata,"a",@progbits
	.p2align	6, 0x0
	.amdhsa_kernel _ZL18rocblas_dot_kernelIiLb1ELi1024ELi32ELb1EDF16_PKDF16_DF16_EviT5_lT_lS2_lS3_liPT6_PT4_
		.amdhsa_group_segment_fixed_size 128
		.amdhsa_private_segment_fixed_size 0
		.amdhsa_kernarg_size 352
		.amdhsa_user_sgpr_count 6
		.amdhsa_user_sgpr_private_segment_buffer 1
		.amdhsa_user_sgpr_dispatch_ptr 0
		.amdhsa_user_sgpr_queue_ptr 0
		.amdhsa_user_sgpr_kernarg_segment_ptr 1
		.amdhsa_user_sgpr_dispatch_id 0
		.amdhsa_user_sgpr_flat_scratch_init 0
		.amdhsa_user_sgpr_private_segment_size 0
		.amdhsa_uses_dynamic_stack 0
		.amdhsa_system_sgpr_private_segment_wavefront_offset 0
		.amdhsa_system_sgpr_workgroup_id_x 1
		.amdhsa_system_sgpr_workgroup_id_y 0
		.amdhsa_system_sgpr_workgroup_id_z 1
		.amdhsa_system_sgpr_workgroup_info 0
		.amdhsa_system_vgpr_workitem_id 0
		.amdhsa_next_free_vgpr 11
		.amdhsa_next_free_sgpr 25
		.amdhsa_reserve_vcc 1
		.amdhsa_reserve_flat_scratch 0
		.amdhsa_float_round_mode_32 0
		.amdhsa_float_round_mode_16_64 0
		.amdhsa_float_denorm_mode_32 3
		.amdhsa_float_denorm_mode_16_64 3
		.amdhsa_dx10_clamp 1
		.amdhsa_ieee_mode 1
		.amdhsa_fp16_overflow 0
		.amdhsa_exception_fp_ieee_invalid_op 0
		.amdhsa_exception_fp_denorm_src 0
		.amdhsa_exception_fp_ieee_div_zero 0
		.amdhsa_exception_fp_ieee_overflow 0
		.amdhsa_exception_fp_ieee_underflow 0
		.amdhsa_exception_fp_ieee_inexact 0
		.amdhsa_exception_int_div_zero 0
	.end_amdhsa_kernel
	.section	.text._ZL18rocblas_dot_kernelIiLb1ELi1024ELi32ELb1EDF16_PKDF16_DF16_EviT5_lT_lS2_lS3_liPT6_PT4_,"axG",@progbits,_ZL18rocblas_dot_kernelIiLb1ELi1024ELi32ELb1EDF16_PKDF16_DF16_EviT5_lT_lS2_lS3_liPT6_PT4_,comdat
.Lfunc_end175:
	.size	_ZL18rocblas_dot_kernelIiLb1ELi1024ELi32ELb1EDF16_PKDF16_DF16_EviT5_lT_lS2_lS3_liPT6_PT4_, .Lfunc_end175-_ZL18rocblas_dot_kernelIiLb1ELi1024ELi32ELb1EDF16_PKDF16_DF16_EviT5_lT_lS2_lS3_liPT6_PT4_
                                        ; -- End function
	.set _ZL18rocblas_dot_kernelIiLb1ELi1024ELi32ELb1EDF16_PKDF16_DF16_EviT5_lT_lS2_lS3_liPT6_PT4_.num_vgpr, 11
	.set _ZL18rocblas_dot_kernelIiLb1ELi1024ELi32ELb1EDF16_PKDF16_DF16_EviT5_lT_lS2_lS3_liPT6_PT4_.num_agpr, 0
	.set _ZL18rocblas_dot_kernelIiLb1ELi1024ELi32ELb1EDF16_PKDF16_DF16_EviT5_lT_lS2_lS3_liPT6_PT4_.numbered_sgpr, 25
	.set _ZL18rocblas_dot_kernelIiLb1ELi1024ELi32ELb1EDF16_PKDF16_DF16_EviT5_lT_lS2_lS3_liPT6_PT4_.num_named_barrier, 0
	.set _ZL18rocblas_dot_kernelIiLb1ELi1024ELi32ELb1EDF16_PKDF16_DF16_EviT5_lT_lS2_lS3_liPT6_PT4_.private_seg_size, 0
	.set _ZL18rocblas_dot_kernelIiLb1ELi1024ELi32ELb1EDF16_PKDF16_DF16_EviT5_lT_lS2_lS3_liPT6_PT4_.uses_vcc, 1
	.set _ZL18rocblas_dot_kernelIiLb1ELi1024ELi32ELb1EDF16_PKDF16_DF16_EviT5_lT_lS2_lS3_liPT6_PT4_.uses_flat_scratch, 0
	.set _ZL18rocblas_dot_kernelIiLb1ELi1024ELi32ELb1EDF16_PKDF16_DF16_EviT5_lT_lS2_lS3_liPT6_PT4_.has_dyn_sized_stack, 0
	.set _ZL18rocblas_dot_kernelIiLb1ELi1024ELi32ELb1EDF16_PKDF16_DF16_EviT5_lT_lS2_lS3_liPT6_PT4_.has_recursion, 0
	.set _ZL18rocblas_dot_kernelIiLb1ELi1024ELi32ELb1EDF16_PKDF16_DF16_EviT5_lT_lS2_lS3_liPT6_PT4_.has_indirect_call, 0
	.section	.AMDGPU.csdata,"",@progbits
; Kernel info:
; codeLenInByte = 1016
; TotalNumSgprs: 29
; NumVgprs: 11
; ScratchSize: 0
; MemoryBound: 0
; FloatMode: 240
; IeeeMode: 1
; LDSByteSize: 128 bytes/workgroup (compile time only)
; SGPRBlocks: 3
; VGPRBlocks: 2
; NumSGPRsForWavesPerEU: 29
; NumVGPRsForWavesPerEU: 11
; Occupancy: 10
; WaveLimiterHint : 0
; COMPUTE_PGM_RSRC2:SCRATCH_EN: 0
; COMPUTE_PGM_RSRC2:USER_SGPR: 6
; COMPUTE_PGM_RSRC2:TRAP_HANDLER: 0
; COMPUTE_PGM_RSRC2:TGID_X_EN: 1
; COMPUTE_PGM_RSRC2:TGID_Y_EN: 0
; COMPUTE_PGM_RSRC2:TGID_Z_EN: 1
; COMPUTE_PGM_RSRC2:TIDIG_COMP_CNT: 0
	.section	.text._ZL24rocblas_dot_kernel_magsqIiLb1ELi1024ELi32ELb1EDF16_PKDF16_DF16_EviT5_lT_liPT6_PT4_,"axG",@progbits,_ZL24rocblas_dot_kernel_magsqIiLb1ELi1024ELi32ELb1EDF16_PKDF16_DF16_EviT5_lT_liPT6_PT4_,comdat
	.globl	_ZL24rocblas_dot_kernel_magsqIiLb1ELi1024ELi32ELb1EDF16_PKDF16_DF16_EviT5_lT_liPT6_PT4_ ; -- Begin function _ZL24rocblas_dot_kernel_magsqIiLb1ELi1024ELi32ELb1EDF16_PKDF16_DF16_EviT5_lT_liPT6_PT4_
	.p2align	8
	.type	_ZL24rocblas_dot_kernel_magsqIiLb1ELi1024ELi32ELb1EDF16_PKDF16_DF16_EviT5_lT_liPT6_PT4_,@function
_ZL24rocblas_dot_kernel_magsqIiLb1ELi1024ELi32ELb1EDF16_PKDF16_DF16_EviT5_lT_liPT6_PT4_: ; @_ZL24rocblas_dot_kernel_magsqIiLb1ELi1024ELi32ELb1EDF16_PKDF16_DF16_EviT5_lT_liPT6_PT4_
; %bb.0:
	s_mov_b32 s2, s7
	s_load_dword s12, s[4:5], 0x0
	s_load_dwordx2 s[6:7], s[4:5], 0x38
	s_mov_b32 s3, 0
	v_mov_b32_e32 v3, 0
	s_waitcnt lgkmcnt(0)
	v_cmp_gt_i32_e32 vcc, s12, v0
	s_and_saveexec_b64 s[8:9], vcc
	s_cbranch_execz .LBB176_4
; %bb.1:
	s_load_dword s10, s[4:5], 0x40
	s_load_dwordx2 s[0:1], s[4:5], 0x20
	s_load_dwordx4 s[16:19], s[4:5], 0x8
	s_load_dword s11, s[4:5], 0x18
	s_waitcnt lgkmcnt(0)
	s_lshl_b32 s13, s10, 10
	s_mul_i32 s1, s1, s2
	s_mul_hi_u32 s10, s0, s2
	v_mad_i64_i32 v[1:2], s[4:5], s11, v0, 0
	s_add_i32 s1, s10, s1
	s_mul_i32 s0, s0, s2
	s_lshl_b64 s[0:1], s[0:1], 1
	s_lshl_b64 s[4:5], s[18:19], 1
	s_add_u32 s4, s16, s4
	s_addc_u32 s5, s17, s5
	v_lshlrev_b64 v[1:2], 1, v[1:2]
	s_add_u32 s0, s4, s0
	s_addc_u32 s1, s5, s1
	v_mov_b32_e32 v3, s1
	v_add_co_u32_e32 v1, vcc, s0, v1
	s_mul_hi_i32 s1, s11, s13
	s_mul_i32 s0, s11, s13
	s_lshl_b64 s[4:5], s[0:1], 1
	v_or_b32_e32 v4, s13, v0
	v_addc_co_u32_e32 v2, vcc, v3, v2, vcc
	v_mov_b32_e32 v3, 0
	s_mov_b64 s[10:11], 0
	v_mov_b32_e32 v5, s5
	s_mov_b32 s5, s3
.LBB176_2:                              ; =>This Inner Loop Header: Depth=1
	global_load_ushort v6, v[1:2], off
	s_add_i32 s14, s5, 1
	v_add_co_u32_e64 v1, s[0:1], s4, v1
	v_addc_co_u32_e64 v2, s[0:1], v2, v5, s[0:1]
	s_cmp_gt_u32 s5, 30
	v_cmp_le_i32_e32 vcc, s12, v4
	s_cselect_b64 s[0:1], -1, 0
	s_or_b64 s[0:1], s[0:1], vcc
	s_and_b64 s[0:1], exec, s[0:1]
	v_add_u32_e32 v4, s13, v4
	s_mov_b32 s5, s14
	s_or_b64 s[10:11], s[0:1], s[10:11]
	s_waitcnt vmcnt(0)
	v_fma_f16 v3, v6, v6, v3
	s_andn2_b64 exec, exec, s[10:11]
	s_cbranch_execnz .LBB176_2
; %bb.3:
	s_or_b64 exec, exec, s[10:11]
.LBB176_4:
	s_or_b64 exec, exec, s[8:9]
	v_and_b32_e32 v4, 63, v0
	v_cmp_gt_u32_e32 vcc, 64, v0
	v_lshlrev_b32_e32 v1, 1, v4
	s_and_saveexec_b64 s[0:1], vcc
; %bb.5:
	v_mov_b32_e32 v2, 0
	ds_write_b16 v1, v2
; %bb.6:
	s_or_b64 exec, exec, s[0:1]
	v_mbcnt_lo_u32_b32 v2, -1, 0
	v_mbcnt_hi_u32_b32 v6, -1, v2
	v_mov_b32_e32 v5, 0x80
	v_and_b32_e32 v2, 0xffff, v3
	v_lshl_or_b32 v5, v6, 2, v5
	ds_bpermute_b32 v2, v5, v2
	v_and_b32_e32 v7, 63, v6
	v_cmp_gt_u32_e64 s[0:1], 48, v7
	s_mov_b32 s4, 0xffff0000
	v_cndmask_b32_e64 v5, 0, 16, s[0:1]
	s_waitcnt lgkmcnt(0)
	v_add_f16_e32 v3, v3, v2
	v_and_or_b32 v2, v2, s4, v3
	v_add_lshl_u32 v5, v5, v6, 2
	ds_bpermute_b32 v2, v5, v2
	v_cmp_gt_u32_e64 s[0:1], 56, v7
	s_waitcnt lgkmcnt(0)
	s_barrier
	v_add_f16_e32 v3, v3, v2
	v_and_or_b32 v5, v2, s4, v3
	v_cndmask_b32_e64 v2, 0, 8, s[0:1]
	v_add_lshl_u32 v2, v2, v6, 2
	ds_bpermute_b32 v5, v2, v5
	v_cmp_gt_u32_e64 s[0:1], 60, v7
	v_cndmask_b32_e64 v8, 0, 4, s[0:1]
	v_cmp_gt_u32_e64 s[0:1], 62, v7
	s_waitcnt lgkmcnt(0)
	v_add_f16_e32 v9, v3, v5
	v_and_or_b32 v5, v5, s4, v9
	v_add_lshl_u32 v3, v8, v6, 2
	ds_bpermute_b32 v8, v3, v5
	v_cndmask_b32_e64 v5, 0, 2, s[0:1]
	v_add_lshl_u32 v5, v5, v6, 2
	v_cmp_ne_u32_e64 s[0:1], 63, v7
	v_addc_co_u32_e64 v6, s[0:1], 0, v6, s[0:1]
	s_waitcnt lgkmcnt(0)
	v_add_f16_e32 v9, v9, v8
	v_and_or_b32 v8, v8, s4, v9
	ds_bpermute_b32 v8, v5, v8
	v_lshlrev_b32_e32 v6, 2, v6
	v_cmp_eq_u32_e64 s[0:1], 0, v4
	s_waitcnt lgkmcnt(0)
	v_add_f16_e32 v7, v9, v8
	v_and_or_b32 v8, v8, s4, v7
	ds_bpermute_b32 v8, v6, v8
	s_and_saveexec_b64 s[4:5], s[0:1]
	s_cbranch_execz .LBB176_8
; %bb.7:
	s_waitcnt lgkmcnt(0)
	v_add_f16_e32 v4, v7, v8
	v_lshrrev_b32_e32 v7, 5, v0
	v_and_b32_e32 v7, 30, v7
	ds_write_b16 v7, v4
.LBB176_8:
	s_or_b64 exec, exec, s[4:5]
	v_cmp_gt_u32_e64 s[0:1], 16, v0
	v_mov_b32_e32 v4, 0
	s_waitcnt lgkmcnt(0)
	s_barrier
	s_and_saveexec_b64 s[4:5], s[0:1]
	s_cbranch_execnz .LBB176_12
; %bb.9:
	s_or_b64 exec, exec, s[4:5]
	s_and_saveexec_b64 s[0:1], vcc
	s_cbranch_execnz .LBB176_13
.LBB176_10:
	s_or_b64 exec, exec, s[0:1]
	v_cmp_eq_u32_e32 vcc, 0, v0
	s_and_saveexec_b64 s[0:1], vcc
	s_cbranch_execnz .LBB176_14
.LBB176_11:
	s_endpgm
.LBB176_12:
	ds_read_u16 v4, v1
	s_or_b64 exec, exec, s[4:5]
	s_and_saveexec_b64 s[0:1], vcc
	s_cbranch_execz .LBB176_10
.LBB176_13:
	s_waitcnt lgkmcnt(0)
	v_and_b32_e32 v1, 0xffff, v4
	ds_bpermute_b32 v1, v2, v1
	s_mov_b32 s4, 0xffff0000
	s_waitcnt lgkmcnt(0)
	v_add_f16_e32 v2, v4, v1
	v_and_or_b32 v1, v1, s4, v2
	ds_bpermute_b32 v1, v3, v1
	s_waitcnt lgkmcnt(0)
	v_add_f16_e32 v2, v2, v1
	v_and_or_b32 v1, v1, s4, v2
	ds_bpermute_b32 v1, v5, v1
	;; [unrolled: 4-line block ×3, first 2 shown]
	s_waitcnt lgkmcnt(0)
	v_add_f16_e32 v4, v2, v1
	s_or_b64 exec, exec, s[0:1]
	v_cmp_eq_u32_e32 vcc, 0, v0
	s_and_saveexec_b64 s[0:1], vcc
	s_cbranch_execz .LBB176_11
.LBB176_14:
	s_lshl_b64 s[0:1], s[2:3], 1
	s_add_u32 s0, s6, s0
	s_addc_u32 s1, s7, s1
	v_mov_b32_e32 v0, 0
	s_waitcnt lgkmcnt(0)
	global_store_short v0, v4, s[0:1]
	s_endpgm
	.section	.rodata,"a",@progbits
	.p2align	6, 0x0
	.amdhsa_kernel _ZL24rocblas_dot_kernel_magsqIiLb1ELi1024ELi32ELb1EDF16_PKDF16_DF16_EviT5_lT_liPT6_PT4_
		.amdhsa_group_segment_fixed_size 128
		.amdhsa_private_segment_fixed_size 0
		.amdhsa_kernarg_size 320
		.amdhsa_user_sgpr_count 6
		.amdhsa_user_sgpr_private_segment_buffer 1
		.amdhsa_user_sgpr_dispatch_ptr 0
		.amdhsa_user_sgpr_queue_ptr 0
		.amdhsa_user_sgpr_kernarg_segment_ptr 1
		.amdhsa_user_sgpr_dispatch_id 0
		.amdhsa_user_sgpr_flat_scratch_init 0
		.amdhsa_user_sgpr_private_segment_size 0
		.amdhsa_uses_dynamic_stack 0
		.amdhsa_system_sgpr_private_segment_wavefront_offset 0
		.amdhsa_system_sgpr_workgroup_id_x 1
		.amdhsa_system_sgpr_workgroup_id_y 0
		.amdhsa_system_sgpr_workgroup_id_z 1
		.amdhsa_system_sgpr_workgroup_info 0
		.amdhsa_system_vgpr_workitem_id 0
		.amdhsa_next_free_vgpr 10
		.amdhsa_next_free_sgpr 20
		.amdhsa_reserve_vcc 1
		.amdhsa_reserve_flat_scratch 0
		.amdhsa_float_round_mode_32 0
		.amdhsa_float_round_mode_16_64 0
		.amdhsa_float_denorm_mode_32 3
		.amdhsa_float_denorm_mode_16_64 3
		.amdhsa_dx10_clamp 1
		.amdhsa_ieee_mode 1
		.amdhsa_fp16_overflow 0
		.amdhsa_exception_fp_ieee_invalid_op 0
		.amdhsa_exception_fp_denorm_src 0
		.amdhsa_exception_fp_ieee_div_zero 0
		.amdhsa_exception_fp_ieee_overflow 0
		.amdhsa_exception_fp_ieee_underflow 0
		.amdhsa_exception_fp_ieee_inexact 0
		.amdhsa_exception_int_div_zero 0
	.end_amdhsa_kernel
	.section	.text._ZL24rocblas_dot_kernel_magsqIiLb1ELi1024ELi32ELb1EDF16_PKDF16_DF16_EviT5_lT_liPT6_PT4_,"axG",@progbits,_ZL24rocblas_dot_kernel_magsqIiLb1ELi1024ELi32ELb1EDF16_PKDF16_DF16_EviT5_lT_liPT6_PT4_,comdat
.Lfunc_end176:
	.size	_ZL24rocblas_dot_kernel_magsqIiLb1ELi1024ELi32ELb1EDF16_PKDF16_DF16_EviT5_lT_liPT6_PT4_, .Lfunc_end176-_ZL24rocblas_dot_kernel_magsqIiLb1ELi1024ELi32ELb1EDF16_PKDF16_DF16_EviT5_lT_liPT6_PT4_
                                        ; -- End function
	.set _ZL24rocblas_dot_kernel_magsqIiLb1ELi1024ELi32ELb1EDF16_PKDF16_DF16_EviT5_lT_liPT6_PT4_.num_vgpr, 10
	.set _ZL24rocblas_dot_kernel_magsqIiLb1ELi1024ELi32ELb1EDF16_PKDF16_DF16_EviT5_lT_liPT6_PT4_.num_agpr, 0
	.set _ZL24rocblas_dot_kernel_magsqIiLb1ELi1024ELi32ELb1EDF16_PKDF16_DF16_EviT5_lT_liPT6_PT4_.numbered_sgpr, 20
	.set _ZL24rocblas_dot_kernel_magsqIiLb1ELi1024ELi32ELb1EDF16_PKDF16_DF16_EviT5_lT_liPT6_PT4_.num_named_barrier, 0
	.set _ZL24rocblas_dot_kernel_magsqIiLb1ELi1024ELi32ELb1EDF16_PKDF16_DF16_EviT5_lT_liPT6_PT4_.private_seg_size, 0
	.set _ZL24rocblas_dot_kernel_magsqIiLb1ELi1024ELi32ELb1EDF16_PKDF16_DF16_EviT5_lT_liPT6_PT4_.uses_vcc, 1
	.set _ZL24rocblas_dot_kernel_magsqIiLb1ELi1024ELi32ELb1EDF16_PKDF16_DF16_EviT5_lT_liPT6_PT4_.uses_flat_scratch, 0
	.set _ZL24rocblas_dot_kernel_magsqIiLb1ELi1024ELi32ELb1EDF16_PKDF16_DF16_EviT5_lT_liPT6_PT4_.has_dyn_sized_stack, 0
	.set _ZL24rocblas_dot_kernel_magsqIiLb1ELi1024ELi32ELb1EDF16_PKDF16_DF16_EviT5_lT_liPT6_PT4_.has_recursion, 0
	.set _ZL24rocblas_dot_kernel_magsqIiLb1ELi1024ELi32ELb1EDF16_PKDF16_DF16_EviT5_lT_liPT6_PT4_.has_indirect_call, 0
	.section	.AMDGPU.csdata,"",@progbits
; Kernel info:
; codeLenInByte = 884
; TotalNumSgprs: 24
; NumVgprs: 10
; ScratchSize: 0
; MemoryBound: 0
; FloatMode: 240
; IeeeMode: 1
; LDSByteSize: 128 bytes/workgroup (compile time only)
; SGPRBlocks: 2
; VGPRBlocks: 2
; NumSGPRsForWavesPerEU: 24
; NumVGPRsForWavesPerEU: 10
; Occupancy: 10
; WaveLimiterHint : 0
; COMPUTE_PGM_RSRC2:SCRATCH_EN: 0
; COMPUTE_PGM_RSRC2:USER_SGPR: 6
; COMPUTE_PGM_RSRC2:TRAP_HANDLER: 0
; COMPUTE_PGM_RSRC2:TGID_X_EN: 1
; COMPUTE_PGM_RSRC2:TGID_Y_EN: 0
; COMPUTE_PGM_RSRC2:TGID_Z_EN: 1
; COMPUTE_PGM_RSRC2:TIDIG_COMP_CNT: 0
	.section	.text._ZL38rocblas_dot_kernel_gfx942_float_doubleIiLi1024EDF16_PKDF16_DF16_EviT2_lT_lS2_lS3_lPT3_PT1_,"axG",@progbits,_ZL38rocblas_dot_kernel_gfx942_float_doubleIiLi1024EDF16_PKDF16_DF16_EviT2_lT_lS2_lS3_lPT3_PT1_,comdat
	.globl	_ZL38rocblas_dot_kernel_gfx942_float_doubleIiLi1024EDF16_PKDF16_DF16_EviT2_lT_lS2_lS3_lPT3_PT1_ ; -- Begin function _ZL38rocblas_dot_kernel_gfx942_float_doubleIiLi1024EDF16_PKDF16_DF16_EviT2_lT_lS2_lS3_lPT3_PT1_
	.p2align	8
	.type	_ZL38rocblas_dot_kernel_gfx942_float_doubleIiLi1024EDF16_PKDF16_DF16_EviT2_lT_lS2_lS3_lPT3_PT1_,@function
_ZL38rocblas_dot_kernel_gfx942_float_doubleIiLi1024EDF16_PKDF16_DF16_EviT2_lT_lS2_lS3_lPT3_PT1_: ; @_ZL38rocblas_dot_kernel_gfx942_float_doubleIiLi1024EDF16_PKDF16_DF16_EviT2_lT_lS2_lS3_lPT3_PT1_
; %bb.0:
	s_endpgm
	.section	.rodata,"a",@progbits
	.p2align	6, 0x0
	.amdhsa_kernel _ZL38rocblas_dot_kernel_gfx942_float_doubleIiLi1024EDF16_PKDF16_DF16_EviT2_lT_lS2_lS3_lPT3_PT1_
		.amdhsa_group_segment_fixed_size 0
		.amdhsa_private_segment_fixed_size 0
		.amdhsa_kernarg_size 88
		.amdhsa_user_sgpr_count 6
		.amdhsa_user_sgpr_private_segment_buffer 1
		.amdhsa_user_sgpr_dispatch_ptr 0
		.amdhsa_user_sgpr_queue_ptr 0
		.amdhsa_user_sgpr_kernarg_segment_ptr 1
		.amdhsa_user_sgpr_dispatch_id 0
		.amdhsa_user_sgpr_flat_scratch_init 0
		.amdhsa_user_sgpr_private_segment_size 0
		.amdhsa_uses_dynamic_stack 0
		.amdhsa_system_sgpr_private_segment_wavefront_offset 0
		.amdhsa_system_sgpr_workgroup_id_x 1
		.amdhsa_system_sgpr_workgroup_id_y 0
		.amdhsa_system_sgpr_workgroup_id_z 0
		.amdhsa_system_sgpr_workgroup_info 0
		.amdhsa_system_vgpr_workitem_id 0
		.amdhsa_next_free_vgpr 1
		.amdhsa_next_free_sgpr 0
		.amdhsa_reserve_vcc 0
		.amdhsa_reserve_flat_scratch 0
		.amdhsa_float_round_mode_32 0
		.amdhsa_float_round_mode_16_64 0
		.amdhsa_float_denorm_mode_32 3
		.amdhsa_float_denorm_mode_16_64 3
		.amdhsa_dx10_clamp 1
		.amdhsa_ieee_mode 1
		.amdhsa_fp16_overflow 0
		.amdhsa_exception_fp_ieee_invalid_op 0
		.amdhsa_exception_fp_denorm_src 0
		.amdhsa_exception_fp_ieee_div_zero 0
		.amdhsa_exception_fp_ieee_overflow 0
		.amdhsa_exception_fp_ieee_underflow 0
		.amdhsa_exception_fp_ieee_inexact 0
		.amdhsa_exception_int_div_zero 0
	.end_amdhsa_kernel
	.section	.text._ZL38rocblas_dot_kernel_gfx942_float_doubleIiLi1024EDF16_PKDF16_DF16_EviT2_lT_lS2_lS3_lPT3_PT1_,"axG",@progbits,_ZL38rocblas_dot_kernel_gfx942_float_doubleIiLi1024EDF16_PKDF16_DF16_EviT2_lT_lS2_lS3_lPT3_PT1_,comdat
.Lfunc_end177:
	.size	_ZL38rocblas_dot_kernel_gfx942_float_doubleIiLi1024EDF16_PKDF16_DF16_EviT2_lT_lS2_lS3_lPT3_PT1_, .Lfunc_end177-_ZL38rocblas_dot_kernel_gfx942_float_doubleIiLi1024EDF16_PKDF16_DF16_EviT2_lT_lS2_lS3_lPT3_PT1_
                                        ; -- End function
	.set _ZL38rocblas_dot_kernel_gfx942_float_doubleIiLi1024EDF16_PKDF16_DF16_EviT2_lT_lS2_lS3_lPT3_PT1_.num_vgpr, 0
	.set _ZL38rocblas_dot_kernel_gfx942_float_doubleIiLi1024EDF16_PKDF16_DF16_EviT2_lT_lS2_lS3_lPT3_PT1_.num_agpr, 0
	.set _ZL38rocblas_dot_kernel_gfx942_float_doubleIiLi1024EDF16_PKDF16_DF16_EviT2_lT_lS2_lS3_lPT3_PT1_.numbered_sgpr, 0
	.set _ZL38rocblas_dot_kernel_gfx942_float_doubleIiLi1024EDF16_PKDF16_DF16_EviT2_lT_lS2_lS3_lPT3_PT1_.num_named_barrier, 0
	.set _ZL38rocblas_dot_kernel_gfx942_float_doubleIiLi1024EDF16_PKDF16_DF16_EviT2_lT_lS2_lS3_lPT3_PT1_.private_seg_size, 0
	.set _ZL38rocblas_dot_kernel_gfx942_float_doubleIiLi1024EDF16_PKDF16_DF16_EviT2_lT_lS2_lS3_lPT3_PT1_.uses_vcc, 0
	.set _ZL38rocblas_dot_kernel_gfx942_float_doubleIiLi1024EDF16_PKDF16_DF16_EviT2_lT_lS2_lS3_lPT3_PT1_.uses_flat_scratch, 0
	.set _ZL38rocblas_dot_kernel_gfx942_float_doubleIiLi1024EDF16_PKDF16_DF16_EviT2_lT_lS2_lS3_lPT3_PT1_.has_dyn_sized_stack, 0
	.set _ZL38rocblas_dot_kernel_gfx942_float_doubleIiLi1024EDF16_PKDF16_DF16_EviT2_lT_lS2_lS3_lPT3_PT1_.has_recursion, 0
	.set _ZL38rocblas_dot_kernel_gfx942_float_doubleIiLi1024EDF16_PKDF16_DF16_EviT2_lT_lS2_lS3_lPT3_PT1_.has_indirect_call, 0
	.section	.AMDGPU.csdata,"",@progbits
; Kernel info:
; codeLenInByte = 4
; TotalNumSgprs: 4
; NumVgprs: 0
; ScratchSize: 0
; MemoryBound: 0
; FloatMode: 240
; IeeeMode: 1
; LDSByteSize: 0 bytes/workgroup (compile time only)
; SGPRBlocks: 0
; VGPRBlocks: 0
; NumSGPRsForWavesPerEU: 4
; NumVGPRsForWavesPerEU: 1
; Occupancy: 10
; WaveLimiterHint : 0
; COMPUTE_PGM_RSRC2:SCRATCH_EN: 0
; COMPUTE_PGM_RSRC2:USER_SGPR: 6
; COMPUTE_PGM_RSRC2:TRAP_HANDLER: 0
; COMPUTE_PGM_RSRC2:TGID_X_EN: 1
; COMPUTE_PGM_RSRC2:TGID_Y_EN: 0
; COMPUTE_PGM_RSRC2:TGID_Z_EN: 0
; COMPUTE_PGM_RSRC2:TIDIG_COMP_CNT: 0
	.section	.text._ZL30rocblas_reduction_kernel_part2ILi1024ELi4E25rocblas_finalize_identityDF16_DF16_EviPT2_PT3_,"axG",@progbits,_ZL30rocblas_reduction_kernel_part2ILi1024ELi4E25rocblas_finalize_identityDF16_DF16_EviPT2_PT3_,comdat
	.globl	_ZL30rocblas_reduction_kernel_part2ILi1024ELi4E25rocblas_finalize_identityDF16_DF16_EviPT2_PT3_ ; -- Begin function _ZL30rocblas_reduction_kernel_part2ILi1024ELi4E25rocblas_finalize_identityDF16_DF16_EviPT2_PT3_
	.p2align	8
	.type	_ZL30rocblas_reduction_kernel_part2ILi1024ELi4E25rocblas_finalize_identityDF16_DF16_EviPT2_PT3_,@function
_ZL30rocblas_reduction_kernel_part2ILi1024ELi4E25rocblas_finalize_identityDF16_DF16_EviPT2_PT3_: ; @_ZL30rocblas_reduction_kernel_part2ILi1024ELi4E25rocblas_finalize_identityDF16_DF16_EviPT2_PT3_
; %bb.0:
	s_load_dword s12, s[4:5], 0x0
	s_load_dwordx4 s[0:3], s[4:5], 0x8
	v_lshlrev_b32_e32 v4, 2, v0
	s_mov_b32 s7, 0
	v_mov_b32_e32 v3, 0
	s_waitcnt lgkmcnt(0)
	s_ashr_i32 s8, s12, 31
	s_mul_i32 s5, s8, s6
	s_lshr_b32 s8, s8, 30
	s_add_i32 s8, s12, s8
	s_mul_hi_u32 s4, s12, s6
	s_and_b32 s13, s8, -4
	s_add_i32 s5, s4, s5
	s_mul_i32 s4, s12, s6
	v_cmp_gt_i32_e32 vcc, s13, v4
	s_and_saveexec_b64 s[8:9], vcc
	s_cbranch_execz .LBB178_4
; %bb.1:
	s_lshl_b64 s[10:11], s[4:5], 1
	s_add_u32 s10, s0, s10
	v_lshlrev_b32_e32 v1, 3, v0
	s_addc_u32 s11, s1, s11
	v_mov_b32_e32 v2, s11
	v_add_co_u32_e32 v1, vcc, s10, v1
	v_addc_co_u32_e32 v2, vcc, 0, v2, vcc
	v_add_co_u32_e32 v1, vcc, 4, v1
	v_mov_b32_e32 v3, 0
	v_addc_co_u32_e32 v2, vcc, 0, v2, vcc
	s_mov_b64 s[10:11], 0
.LBB178_2:                              ; =>This Inner Loop Header: Depth=1
	global_load_dwordx2 v[5:6], v[1:2], off offset:-4
	v_add_co_u32_e32 v1, vcc, 0x2000, v1
	v_add_u32_e32 v4, 0x1000, v4
	v_addc_co_u32_e32 v2, vcc, 0, v2, vcc
	v_cmp_le_i32_e32 vcc, s13, v4
	s_or_b64 s[10:11], vcc, s[10:11]
	s_waitcnt vmcnt(0)
	v_add_f16_e32 v3, v3, v5
	v_add_f16_sdwa v3, v3, v5 dst_sel:DWORD dst_unused:UNUSED_PAD src0_sel:DWORD src1_sel:WORD_1
	v_add_f16_e32 v3, v3, v6
	v_add_f16_sdwa v3, v3, v6 dst_sel:DWORD dst_unused:UNUSED_PAD src0_sel:DWORD src1_sel:WORD_1
	s_andn2_b64 exec, exec, s[10:11]
	s_cbranch_execnz .LBB178_2
; %bb.3:
	s_or_b64 exec, exec, s[10:11]
.LBB178_4:
	s_or_b64 exec, exec, s[8:9]
	s_sub_i32 s8, s12, s13
	v_cmp_gt_u32_e32 vcc, s8, v0
	s_and_saveexec_b64 s[8:9], vcc
	s_cbranch_execz .LBB178_6
; %bb.5:
	s_lshl_b64 s[4:5], s[4:5], 1
	v_xad_u32 v1, v0, -1, s12
	v_mov_b32_e32 v2, 0
	s_add_u32 s0, s0, s4
	v_lshlrev_b64 v[1:2], 1, v[1:2]
	s_addc_u32 s1, s1, s5
	v_mov_b32_e32 v4, s1
	v_add_co_u32_e32 v1, vcc, s0, v1
	v_addc_co_u32_e32 v2, vcc, v4, v2, vcc
	global_load_ushort v1, v[1:2], off
	s_waitcnt vmcnt(0)
	v_add_f16_e32 v3, v3, v1
.LBB178_6:
	s_or_b64 exec, exec, s[8:9]
	v_and_b32_e32 v4, 63, v0
	v_cmp_gt_u32_e32 vcc, 64, v0
	v_lshlrev_b32_e32 v1, 1, v4
	s_and_saveexec_b64 s[0:1], vcc
; %bb.7:
	v_mov_b32_e32 v2, 0
	ds_write_b16 v1, v2
; %bb.8:
	s_or_b64 exec, exec, s[0:1]
	v_mbcnt_lo_u32_b32 v2, -1, 0
	v_mbcnt_hi_u32_b32 v6, -1, v2
	v_mov_b32_e32 v5, 0x80
	v_and_b32_e32 v2, 0xffff, v3
	v_lshl_or_b32 v5, v6, 2, v5
	ds_bpermute_b32 v2, v5, v2
	v_and_b32_e32 v7, 63, v6
	v_cmp_gt_u32_e64 s[0:1], 48, v7
	s_mov_b32 s4, 0xffff0000
	v_cndmask_b32_e64 v5, 0, 16, s[0:1]
	s_waitcnt lgkmcnt(0)
	v_add_f16_e32 v3, v3, v2
	v_and_or_b32 v2, v2, s4, v3
	v_add_lshl_u32 v5, v5, v6, 2
	ds_bpermute_b32 v2, v5, v2
	v_cmp_gt_u32_e64 s[0:1], 56, v7
	s_waitcnt lgkmcnt(0)
	s_barrier
	v_add_f16_e32 v3, v3, v2
	v_and_or_b32 v5, v2, s4, v3
	v_cndmask_b32_e64 v2, 0, 8, s[0:1]
	v_add_lshl_u32 v2, v2, v6, 2
	ds_bpermute_b32 v5, v2, v5
	v_cmp_gt_u32_e64 s[0:1], 60, v7
	v_cndmask_b32_e64 v8, 0, 4, s[0:1]
	v_cmp_gt_u32_e64 s[0:1], 62, v7
	s_waitcnt lgkmcnt(0)
	v_add_f16_e32 v9, v3, v5
	v_and_or_b32 v5, v5, s4, v9
	v_add_lshl_u32 v3, v8, v6, 2
	ds_bpermute_b32 v8, v3, v5
	v_cndmask_b32_e64 v5, 0, 2, s[0:1]
	v_add_lshl_u32 v5, v5, v6, 2
	v_cmp_ne_u32_e64 s[0:1], 63, v7
	v_addc_co_u32_e64 v6, s[0:1], 0, v6, s[0:1]
	s_waitcnt lgkmcnt(0)
	v_add_f16_e32 v9, v9, v8
	v_and_or_b32 v8, v8, s4, v9
	ds_bpermute_b32 v8, v5, v8
	v_lshlrev_b32_e32 v6, 2, v6
	v_cmp_eq_u32_e64 s[0:1], 0, v4
	s_waitcnt lgkmcnt(0)
	v_add_f16_e32 v7, v9, v8
	v_and_or_b32 v8, v8, s4, v7
	ds_bpermute_b32 v8, v6, v8
	s_and_saveexec_b64 s[4:5], s[0:1]
	s_cbranch_execz .LBB178_10
; %bb.9:
	s_waitcnt lgkmcnt(0)
	v_add_f16_e32 v4, v7, v8
	v_lshrrev_b32_e32 v7, 5, v0
	v_and_b32_e32 v7, 30, v7
	ds_write_b16 v7, v4
.LBB178_10:
	s_or_b64 exec, exec, s[4:5]
	v_cmp_gt_u32_e64 s[0:1], 16, v0
	v_mov_b32_e32 v4, 0
	s_waitcnt lgkmcnt(0)
	s_barrier
	s_and_saveexec_b64 s[4:5], s[0:1]
	s_cbranch_execnz .LBB178_14
; %bb.11:
	s_or_b64 exec, exec, s[4:5]
	s_and_saveexec_b64 s[0:1], vcc
	s_cbranch_execnz .LBB178_15
.LBB178_12:
	s_or_b64 exec, exec, s[0:1]
	v_cmp_eq_u32_e32 vcc, 0, v0
	s_and_saveexec_b64 s[0:1], vcc
	s_cbranch_execnz .LBB178_16
.LBB178_13:
	s_endpgm
.LBB178_14:
	ds_read_u16 v4, v1
	s_or_b64 exec, exec, s[4:5]
	s_and_saveexec_b64 s[0:1], vcc
	s_cbranch_execz .LBB178_12
.LBB178_15:
	s_waitcnt lgkmcnt(0)
	v_and_b32_e32 v1, 0xffff, v4
	ds_bpermute_b32 v1, v2, v1
	s_mov_b32 s4, 0xffff0000
	s_waitcnt lgkmcnt(0)
	v_add_f16_e32 v2, v4, v1
	v_and_or_b32 v1, v1, s4, v2
	ds_bpermute_b32 v1, v3, v1
	s_waitcnt lgkmcnt(0)
	v_add_f16_e32 v2, v2, v1
	v_and_or_b32 v1, v1, s4, v2
	ds_bpermute_b32 v1, v5, v1
	;; [unrolled: 4-line block ×3, first 2 shown]
	s_waitcnt lgkmcnt(0)
	v_add_f16_e32 v4, v2, v1
	s_or_b64 exec, exec, s[0:1]
	v_cmp_eq_u32_e32 vcc, 0, v0
	s_and_saveexec_b64 s[0:1], vcc
	s_cbranch_execz .LBB178_13
.LBB178_16:
	s_lshl_b64 s[0:1], s[6:7], 1
	s_add_u32 s0, s2, s0
	s_addc_u32 s1, s3, s1
	v_mov_b32_e32 v0, 0
	s_waitcnt lgkmcnt(0)
	global_store_short v0, v4, s[0:1]
	s_endpgm
	.section	.rodata,"a",@progbits
	.p2align	6, 0x0
	.amdhsa_kernel _ZL30rocblas_reduction_kernel_part2ILi1024ELi4E25rocblas_finalize_identityDF16_DF16_EviPT2_PT3_
		.amdhsa_group_segment_fixed_size 128
		.amdhsa_private_segment_fixed_size 0
		.amdhsa_kernarg_size 24
		.amdhsa_user_sgpr_count 6
		.amdhsa_user_sgpr_private_segment_buffer 1
		.amdhsa_user_sgpr_dispatch_ptr 0
		.amdhsa_user_sgpr_queue_ptr 0
		.amdhsa_user_sgpr_kernarg_segment_ptr 1
		.amdhsa_user_sgpr_dispatch_id 0
		.amdhsa_user_sgpr_flat_scratch_init 0
		.amdhsa_user_sgpr_private_segment_size 0
		.amdhsa_uses_dynamic_stack 0
		.amdhsa_system_sgpr_private_segment_wavefront_offset 0
		.amdhsa_system_sgpr_workgroup_id_x 1
		.amdhsa_system_sgpr_workgroup_id_y 0
		.amdhsa_system_sgpr_workgroup_id_z 0
		.amdhsa_system_sgpr_workgroup_info 0
		.amdhsa_system_vgpr_workitem_id 0
		.amdhsa_next_free_vgpr 10
		.amdhsa_next_free_sgpr 14
		.amdhsa_reserve_vcc 1
		.amdhsa_reserve_flat_scratch 0
		.amdhsa_float_round_mode_32 0
		.amdhsa_float_round_mode_16_64 0
		.amdhsa_float_denorm_mode_32 3
		.amdhsa_float_denorm_mode_16_64 3
		.amdhsa_dx10_clamp 1
		.amdhsa_ieee_mode 1
		.amdhsa_fp16_overflow 0
		.amdhsa_exception_fp_ieee_invalid_op 0
		.amdhsa_exception_fp_denorm_src 0
		.amdhsa_exception_fp_ieee_div_zero 0
		.amdhsa_exception_fp_ieee_overflow 0
		.amdhsa_exception_fp_ieee_underflow 0
		.amdhsa_exception_fp_ieee_inexact 0
		.amdhsa_exception_int_div_zero 0
	.end_amdhsa_kernel
	.section	.text._ZL30rocblas_reduction_kernel_part2ILi1024ELi4E25rocblas_finalize_identityDF16_DF16_EviPT2_PT3_,"axG",@progbits,_ZL30rocblas_reduction_kernel_part2ILi1024ELi4E25rocblas_finalize_identityDF16_DF16_EviPT2_PT3_,comdat
.Lfunc_end178:
	.size	_ZL30rocblas_reduction_kernel_part2ILi1024ELi4E25rocblas_finalize_identityDF16_DF16_EviPT2_PT3_, .Lfunc_end178-_ZL30rocblas_reduction_kernel_part2ILi1024ELi4E25rocblas_finalize_identityDF16_DF16_EviPT2_PT3_
                                        ; -- End function
	.set _ZL30rocblas_reduction_kernel_part2ILi1024ELi4E25rocblas_finalize_identityDF16_DF16_EviPT2_PT3_.num_vgpr, 10
	.set _ZL30rocblas_reduction_kernel_part2ILi1024ELi4E25rocblas_finalize_identityDF16_DF16_EviPT2_PT3_.num_agpr, 0
	.set _ZL30rocblas_reduction_kernel_part2ILi1024ELi4E25rocblas_finalize_identityDF16_DF16_EviPT2_PT3_.numbered_sgpr, 14
	.set _ZL30rocblas_reduction_kernel_part2ILi1024ELi4E25rocblas_finalize_identityDF16_DF16_EviPT2_PT3_.num_named_barrier, 0
	.set _ZL30rocblas_reduction_kernel_part2ILi1024ELi4E25rocblas_finalize_identityDF16_DF16_EviPT2_PT3_.private_seg_size, 0
	.set _ZL30rocblas_reduction_kernel_part2ILi1024ELi4E25rocblas_finalize_identityDF16_DF16_EviPT2_PT3_.uses_vcc, 1
	.set _ZL30rocblas_reduction_kernel_part2ILi1024ELi4E25rocblas_finalize_identityDF16_DF16_EviPT2_PT3_.uses_flat_scratch, 0
	.set _ZL30rocblas_reduction_kernel_part2ILi1024ELi4E25rocblas_finalize_identityDF16_DF16_EviPT2_PT3_.has_dyn_sized_stack, 0
	.set _ZL30rocblas_reduction_kernel_part2ILi1024ELi4E25rocblas_finalize_identityDF16_DF16_EviPT2_PT3_.has_recursion, 0
	.set _ZL30rocblas_reduction_kernel_part2ILi1024ELi4E25rocblas_finalize_identityDF16_DF16_EviPT2_PT3_.has_indirect_call, 0
	.section	.AMDGPU.csdata,"",@progbits
; Kernel info:
; codeLenInByte = 892
; TotalNumSgprs: 18
; NumVgprs: 10
; ScratchSize: 0
; MemoryBound: 0
; FloatMode: 240
; IeeeMode: 1
; LDSByteSize: 128 bytes/workgroup (compile time only)
; SGPRBlocks: 2
; VGPRBlocks: 2
; NumSGPRsForWavesPerEU: 18
; NumVGPRsForWavesPerEU: 10
; Occupancy: 10
; WaveLimiterHint : 0
; COMPUTE_PGM_RSRC2:SCRATCH_EN: 0
; COMPUTE_PGM_RSRC2:USER_SGPR: 6
; COMPUTE_PGM_RSRC2:TRAP_HANDLER: 0
; COMPUTE_PGM_RSRC2:TGID_X_EN: 1
; COMPUTE_PGM_RSRC2:TGID_Y_EN: 0
; COMPUTE_PGM_RSRC2:TGID_Z_EN: 0
; COMPUTE_PGM_RSRC2:TIDIG_COMP_CNT: 0
	.section	.text._ZL23rocblas_dot_kernel_inc1ILb0ELi512ELi8ELb1EDF16_PKDF16_DF16_EviT4_llS2_lliPT5_PT3_,"axG",@progbits,_ZL23rocblas_dot_kernel_inc1ILb0ELi512ELi8ELb1EDF16_PKDF16_DF16_EviT4_llS2_lliPT5_PT3_,comdat
	.globl	_ZL23rocblas_dot_kernel_inc1ILb0ELi512ELi8ELb1EDF16_PKDF16_DF16_EviT4_llS2_lliPT5_PT3_ ; -- Begin function _ZL23rocblas_dot_kernel_inc1ILb0ELi512ELi8ELb1EDF16_PKDF16_DF16_EviT4_llS2_lliPT5_PT3_
	.p2align	8
	.type	_ZL23rocblas_dot_kernel_inc1ILb0ELi512ELi8ELb1EDF16_PKDF16_DF16_EviT4_llS2_lliPT5_PT3_,@function
_ZL23rocblas_dot_kernel_inc1ILb0ELi512ELi8ELb1EDF16_PKDF16_DF16_EviT4_llS2_lliPT5_PT3_: ; @_ZL23rocblas_dot_kernel_inc1ILb0ELi512ELi8ELb1EDF16_PKDF16_DF16_EviT4_llS2_lliPT5_PT3_
; %bb.0:
	s_mov_b32 s2, s7
	s_load_dword s18, s[4:5], 0x50
	s_load_dword s7, s[4:5], 0x0
	s_load_dwordx4 s[8:11], s[4:5], 0x40
	v_lshl_or_b32 v1, s6, 9, v0
	s_mov_b32 s3, 0
	v_mov_b32_e32 v3, 0
	s_waitcnt lgkmcnt(0)
	v_cmp_gt_i32_e32 vcc, s7, v1
	s_and_saveexec_b64 s[12:13], vcc
	s_cbranch_execz .LBB179_4
; %bb.1:
	s_load_dwordx4 s[20:23], s[4:5], 0x10
	s_load_dwordx2 s[0:1], s[4:5], 0x8
	s_load_dwordx2 s[14:15], s[4:5], 0x20
	s_load_dwordx4 s[24:27], s[4:5], 0x28
	v_ashrrev_i32_e32 v2, 31, v1
	s_waitcnt lgkmcnt(0)
	s_mul_i32 s4, s23, s2
	s_mul_hi_u32 s5, s22, s2
	s_add_i32 s5, s5, s4
	s_mul_i32 s4, s22, s2
	s_lshl_b64 s[4:5], s[4:5], 1
	s_add_u32 s4, s0, s4
	s_addc_u32 s5, s1, s5
	s_lshl_b64 s[0:1], s[20:21], 1
	s_add_u32 s19, s4, s0
	s_addc_u32 s21, s5, s1
	s_mul_i32 s0, s27, s2
	s_mul_hi_u32 s1, s26, s2
	s_add_i32 s1, s1, s0
	s_mul_i32 s0, s26, s2
	s_lshl_b64 s[0:1], s[0:1], 1
	s_add_u32 s4, s14, s0
	s_addc_u32 s5, s15, s1
	s_lshl_b64 s[0:1], s[24:25], 1
	s_add_u32 s20, s4, s0
	s_addc_u32 s0, s5, s1
	s_lshl_b32 s4, s18, 9
	s_ashr_i32 s5, s4, 31
	v_add_u32_e32 v4, s4, v1
	v_lshlrev_b64 v[1:2], 1, v[1:2]
	s_lshl_b64 s[14:15], s[4:5], 1
	v_mov_b32_e32 v3, 0
	s_mov_b64 s[16:17], 0
	v_mov_b32_e32 v5, s0
	v_mov_b32_e32 v6, s21
	;; [unrolled: 1-line block ×3, first 2 shown]
	s_mov_b32 s5, s3
.LBB179_2:                              ; =>This Inner Loop Header: Depth=1
	v_add_co_u32_e32 v8, vcc, s20, v1
	v_addc_co_u32_e32 v9, vcc, v5, v2, vcc
	v_add_co_u32_e32 v10, vcc, s19, v1
	v_addc_co_u32_e32 v11, vcc, v6, v2, vcc
	global_load_ushort v12, v[8:9], off
	global_load_ushort v13, v[10:11], off
	s_add_i32 s15, s5, 1
	v_add_co_u32_e64 v1, s[0:1], s14, v1
	v_addc_co_u32_e64 v2, s[0:1], v2, v7, s[0:1]
	s_cmp_gt_u32 s5, 6
	v_cmp_le_i32_e32 vcc, s7, v4
	s_cselect_b64 s[0:1], -1, 0
	s_or_b64 s[0:1], s[0:1], vcc
	s_and_b64 s[0:1], exec, s[0:1]
	v_add_u32_e32 v4, s4, v4
	s_mov_b32 s5, s15
	s_or_b64 s[16:17], s[0:1], s[16:17]
	s_waitcnt vmcnt(0)
	v_fma_f16 v3, v12, v13, v3
	s_andn2_b64 exec, exec, s[16:17]
	s_cbranch_execnz .LBB179_2
; %bb.3:
	s_or_b64 exec, exec, s[16:17]
.LBB179_4:
	s_or_b64 exec, exec, s[12:13]
	v_and_b32_e32 v2, 63, v0
	v_cmp_gt_u32_e32 vcc, 64, v0
	v_lshlrev_b32_e32 v1, 1, v2
	s_and_saveexec_b64 s[0:1], vcc
; %bb.5:
	v_mov_b32_e32 v4, 0
	ds_write_b16 v1, v4
; %bb.6:
	s_or_b64 exec, exec, s[0:1]
	v_mbcnt_lo_u32_b32 v4, -1, 0
	v_mbcnt_hi_u32_b32 v5, -1, v4
	v_mov_b32_e32 v6, 0x80
	v_and_b32_e32 v4, 0xffff, v3
	v_lshl_or_b32 v6, v5, 2, v6
	ds_bpermute_b32 v4, v6, v4
	v_and_b32_e32 v6, 63, v5
	v_cmp_gt_u32_e64 s[0:1], 48, v6
	s_mov_b32 s4, 0xffff0000
	v_cndmask_b32_e64 v7, 0, 16, s[0:1]
	s_waitcnt lgkmcnt(0)
	v_add_f16_e32 v3, v3, v4
	v_and_or_b32 v4, v4, s4, v3
	v_add_lshl_u32 v7, v7, v5, 2
	ds_bpermute_b32 v4, v7, v4
	v_cmp_gt_u32_e64 s[0:1], 56, v6
	v_cndmask_b32_e64 v7, 0, 8, s[0:1]
	v_add_lshl_u32 v7, v7, v5, 2
	v_cmp_gt_u32_e64 s[0:1], 60, v6
	s_waitcnt lgkmcnt(0)
	v_add_f16_e32 v3, v3, v4
	v_and_or_b32 v4, v4, s4, v3
	ds_bpermute_b32 v4, v7, v4
	v_cndmask_b32_e64 v7, 0, 4, s[0:1]
	v_cmp_gt_u32_e64 s[0:1], 62, v6
	s_waitcnt lgkmcnt(0)
	s_barrier
	v_add_f16_e32 v8, v3, v4
	v_and_or_b32 v4, v4, s4, v8
	v_add_lshl_u32 v3, v7, v5, 2
	ds_bpermute_b32 v7, v3, v4
	v_cndmask_b32_e64 v4, 0, 2, s[0:1]
	v_add_lshl_u32 v4, v4, v5, 2
	v_cmp_ne_u32_e64 s[0:1], 63, v6
	v_addc_co_u32_e64 v5, s[0:1], 0, v5, s[0:1]
	s_waitcnt lgkmcnt(0)
	v_add_f16_e32 v8, v8, v7
	v_and_or_b32 v7, v7, s4, v8
	ds_bpermute_b32 v7, v4, v7
	v_lshlrev_b32_e32 v5, 2, v5
	v_cmp_eq_u32_e64 s[0:1], 0, v2
	s_waitcnt lgkmcnt(0)
	v_add_f16_e32 v6, v8, v7
	v_and_or_b32 v7, v7, s4, v6
	ds_bpermute_b32 v7, v5, v7
	s_and_saveexec_b64 s[4:5], s[0:1]
	s_cbranch_execz .LBB179_8
; %bb.7:
	s_waitcnt lgkmcnt(0)
	v_add_f16_e32 v2, v6, v7
	v_lshrrev_b32_e32 v6, 5, v0
	v_and_b32_e32 v6, 14, v6
	ds_write_b16 v6, v2
.LBB179_8:
	s_or_b64 exec, exec, s[4:5]
	v_cmp_gt_u32_e64 s[0:1], 8, v0
	v_mov_b32_e32 v2, 0
	s_waitcnt lgkmcnt(0)
	s_barrier
	s_and_saveexec_b64 s[4:5], s[0:1]
	s_cbranch_execnz .LBB179_12
; %bb.9:
	s_or_b64 exec, exec, s[4:5]
	s_and_saveexec_b64 s[0:1], vcc
	s_cbranch_execnz .LBB179_13
.LBB179_10:
	s_or_b64 exec, exec, s[0:1]
	v_cmp_eq_u32_e32 vcc, 0, v0
	s_and_saveexec_b64 s[0:1], vcc
	s_cbranch_execnz .LBB179_14
.LBB179_11:
	s_endpgm
.LBB179_12:
	ds_read_u16 v2, v1
	s_or_b64 exec, exec, s[4:5]
	s_and_saveexec_b64 s[0:1], vcc
	s_cbranch_execz .LBB179_10
.LBB179_13:
	s_waitcnt lgkmcnt(0)
	v_and_b32_e32 v1, 0xffff, v2
	ds_bpermute_b32 v1, v3, v1
	s_mov_b32 s4, 0xffff0000
	s_waitcnt lgkmcnt(0)
	v_add_f16_e32 v2, v2, v1
	v_and_or_b32 v1, v1, s4, v2
	ds_bpermute_b32 v1, v4, v1
	s_waitcnt lgkmcnt(0)
	v_add_f16_e32 v2, v2, v1
	v_and_or_b32 v1, v1, s4, v2
	ds_bpermute_b32 v1, v5, v1
	s_waitcnt lgkmcnt(0)
	v_add_f16_e32 v2, v2, v1
	s_or_b64 exec, exec, s[0:1]
	v_cmp_eq_u32_e32 vcc, 0, v0
	s_and_saveexec_b64 s[0:1], vcc
	s_cbranch_execz .LBB179_11
.LBB179_14:
	s_cmp_lg_u32 s18, 1
	s_mov_b64 s[0:1], -1
	s_cbranch_scc0 .LBB179_16
; %bb.15:
	s_mul_hi_u32 s1, s18, s2
	s_mul_i32 s0, s18, s2
	s_lshl_b64 s[0:1], s[0:1], 1
	s_mov_b32 s7, 0
	s_add_u32 s4, s8, s0
	s_addc_u32 s5, s9, s1
	s_lshl_b64 s[0:1], s[6:7], 1
	s_add_u32 s0, s4, s0
	s_addc_u32 s1, s5, s1
	v_mov_b32_e32 v0, 0
	s_waitcnt lgkmcnt(0)
	global_store_short v0, v2, s[0:1]
	s_mov_b64 s[0:1], 0
.LBB179_16:
	s_andn2_b64 vcc, exec, s[0:1]
	s_cbranch_vccnz .LBB179_11
; %bb.17:
	s_lshl_b64 s[0:1], s[2:3], 1
	s_add_u32 s0, s10, s0
	s_addc_u32 s1, s11, s1
	v_mov_b32_e32 v0, 0
	s_waitcnt lgkmcnt(0)
	global_store_short v0, v2, s[0:1]
	s_endpgm
	.section	.rodata,"a",@progbits
	.p2align	6, 0x0
	.amdhsa_kernel _ZL23rocblas_dot_kernel_inc1ILb0ELi512ELi8ELb1EDF16_PKDF16_DF16_EviT4_llS2_lliPT5_PT3_
		.amdhsa_group_segment_fixed_size 128
		.amdhsa_private_segment_fixed_size 0
		.amdhsa_kernarg_size 336
		.amdhsa_user_sgpr_count 6
		.amdhsa_user_sgpr_private_segment_buffer 1
		.amdhsa_user_sgpr_dispatch_ptr 0
		.amdhsa_user_sgpr_queue_ptr 0
		.amdhsa_user_sgpr_kernarg_segment_ptr 1
		.amdhsa_user_sgpr_dispatch_id 0
		.amdhsa_user_sgpr_flat_scratch_init 0
		.amdhsa_user_sgpr_private_segment_size 0
		.amdhsa_uses_dynamic_stack 0
		.amdhsa_system_sgpr_private_segment_wavefront_offset 0
		.amdhsa_system_sgpr_workgroup_id_x 1
		.amdhsa_system_sgpr_workgroup_id_y 0
		.amdhsa_system_sgpr_workgroup_id_z 1
		.amdhsa_system_sgpr_workgroup_info 0
		.amdhsa_system_vgpr_workitem_id 0
		.amdhsa_next_free_vgpr 14
		.amdhsa_next_free_sgpr 28
		.amdhsa_reserve_vcc 1
		.amdhsa_reserve_flat_scratch 0
		.amdhsa_float_round_mode_32 0
		.amdhsa_float_round_mode_16_64 0
		.amdhsa_float_denorm_mode_32 3
		.amdhsa_float_denorm_mode_16_64 3
		.amdhsa_dx10_clamp 1
		.amdhsa_ieee_mode 1
		.amdhsa_fp16_overflow 0
		.amdhsa_exception_fp_ieee_invalid_op 0
		.amdhsa_exception_fp_denorm_src 0
		.amdhsa_exception_fp_ieee_div_zero 0
		.amdhsa_exception_fp_ieee_overflow 0
		.amdhsa_exception_fp_ieee_underflow 0
		.amdhsa_exception_fp_ieee_inexact 0
		.amdhsa_exception_int_div_zero 0
	.end_amdhsa_kernel
	.section	.text._ZL23rocblas_dot_kernel_inc1ILb0ELi512ELi8ELb1EDF16_PKDF16_DF16_EviT4_llS2_lliPT5_PT3_,"axG",@progbits,_ZL23rocblas_dot_kernel_inc1ILb0ELi512ELi8ELb1EDF16_PKDF16_DF16_EviT4_llS2_lliPT5_PT3_,comdat
.Lfunc_end179:
	.size	_ZL23rocblas_dot_kernel_inc1ILb0ELi512ELi8ELb1EDF16_PKDF16_DF16_EviT4_llS2_lliPT5_PT3_, .Lfunc_end179-_ZL23rocblas_dot_kernel_inc1ILb0ELi512ELi8ELb1EDF16_PKDF16_DF16_EviT4_llS2_lliPT5_PT3_
                                        ; -- End function
	.set _ZL23rocblas_dot_kernel_inc1ILb0ELi512ELi8ELb1EDF16_PKDF16_DF16_EviT4_llS2_lliPT5_PT3_.num_vgpr, 14
	.set _ZL23rocblas_dot_kernel_inc1ILb0ELi512ELi8ELb1EDF16_PKDF16_DF16_EviT4_llS2_lliPT5_PT3_.num_agpr, 0
	.set _ZL23rocblas_dot_kernel_inc1ILb0ELi512ELi8ELb1EDF16_PKDF16_DF16_EviT4_llS2_lliPT5_PT3_.numbered_sgpr, 28
	.set _ZL23rocblas_dot_kernel_inc1ILb0ELi512ELi8ELb1EDF16_PKDF16_DF16_EviT4_llS2_lliPT5_PT3_.num_named_barrier, 0
	.set _ZL23rocblas_dot_kernel_inc1ILb0ELi512ELi8ELb1EDF16_PKDF16_DF16_EviT4_llS2_lliPT5_PT3_.private_seg_size, 0
	.set _ZL23rocblas_dot_kernel_inc1ILb0ELi512ELi8ELb1EDF16_PKDF16_DF16_EviT4_llS2_lliPT5_PT3_.uses_vcc, 1
	.set _ZL23rocblas_dot_kernel_inc1ILb0ELi512ELi8ELb1EDF16_PKDF16_DF16_EviT4_llS2_lliPT5_PT3_.uses_flat_scratch, 0
	.set _ZL23rocblas_dot_kernel_inc1ILb0ELi512ELi8ELb1EDF16_PKDF16_DF16_EviT4_llS2_lliPT5_PT3_.has_dyn_sized_stack, 0
	.set _ZL23rocblas_dot_kernel_inc1ILb0ELi512ELi8ELb1EDF16_PKDF16_DF16_EviT4_llS2_lliPT5_PT3_.has_recursion, 0
	.set _ZL23rocblas_dot_kernel_inc1ILb0ELi512ELi8ELb1EDF16_PKDF16_DF16_EviT4_llS2_lliPT5_PT3_.has_indirect_call, 0
	.section	.AMDGPU.csdata,"",@progbits
; Kernel info:
; codeLenInByte = 1004
; TotalNumSgprs: 32
; NumVgprs: 14
; ScratchSize: 0
; MemoryBound: 0
; FloatMode: 240
; IeeeMode: 1
; LDSByteSize: 128 bytes/workgroup (compile time only)
; SGPRBlocks: 3
; VGPRBlocks: 3
; NumSGPRsForWavesPerEU: 32
; NumVGPRsForWavesPerEU: 14
; Occupancy: 10
; WaveLimiterHint : 0
; COMPUTE_PGM_RSRC2:SCRATCH_EN: 0
; COMPUTE_PGM_RSRC2:USER_SGPR: 6
; COMPUTE_PGM_RSRC2:TRAP_HANDLER: 0
; COMPUTE_PGM_RSRC2:TGID_X_EN: 1
; COMPUTE_PGM_RSRC2:TGID_Y_EN: 0
; COMPUTE_PGM_RSRC2:TGID_Z_EN: 1
; COMPUTE_PGM_RSRC2:TIDIG_COMP_CNT: 0
	.section	.text._ZL18rocblas_dot_kernelIiLb0ELi512ELi8ELb1EDF16_PKDF16_DF16_EviT5_lT_lS2_lS3_liPT6_PT4_,"axG",@progbits,_ZL18rocblas_dot_kernelIiLb0ELi512ELi8ELb1EDF16_PKDF16_DF16_EviT5_lT_lS2_lS3_liPT6_PT4_,comdat
	.globl	_ZL18rocblas_dot_kernelIiLb0ELi512ELi8ELb1EDF16_PKDF16_DF16_EviT5_lT_lS2_lS3_liPT6_PT4_ ; -- Begin function _ZL18rocblas_dot_kernelIiLb0ELi512ELi8ELb1EDF16_PKDF16_DF16_EviT5_lT_lS2_lS3_liPT6_PT4_
	.p2align	8
	.type	_ZL18rocblas_dot_kernelIiLb0ELi512ELi8ELb1EDF16_PKDF16_DF16_EviT5_lT_lS2_lS3_liPT6_PT4_,@function
_ZL18rocblas_dot_kernelIiLb0ELi512ELi8ELb1EDF16_PKDF16_DF16_EviT5_lT_lS2_lS3_liPT6_PT4_: ; @_ZL18rocblas_dot_kernelIiLb0ELi512ELi8ELb1EDF16_PKDF16_DF16_EviT5_lT_lS2_lS3_liPT6_PT4_
; %bb.0:
	s_mov_b32 s12, s7
	s_load_dword s18, s[4:5], 0x60
	s_load_dword s7, s[4:5], 0x0
	s_load_dwordx4 s[8:11], s[4:5], 0x50
	v_lshl_or_b32 v3, s6, 9, v0
	s_mov_b32 s13, 0
	v_mov_b32_e32 v6, 0
	s_waitcnt lgkmcnt(0)
	v_cmp_gt_i32_e32 vcc, s7, v3
	s_and_saveexec_b64 s[14:15], vcc
	s_cbranch_execz .LBB180_4
; %bb.1:
	s_load_dword s26, s[4:5], 0x18
	s_load_dwordx4 s[20:23], s[4:5], 0x8
	s_load_dwordx4 s[0:3], s[4:5], 0x20
	s_load_dwordx2 s[16:17], s[4:5], 0x30
	s_lshl_b32 s19, s18, 9
	s_waitcnt lgkmcnt(0)
	v_mad_i64_i32 v[1:2], s[24:25], s26, v3, 0
	s_load_dword s27, s[4:5], 0x38
	s_load_dwordx2 s[24:25], s[4:5], 0x40
	s_mul_i32 s1, s1, s12
	s_mul_hi_u32 s4, s0, s12
	s_add_i32 s1, s4, s1
	s_mul_i32 s0, s0, s12
	s_lshl_b64 s[0:1], s[0:1], 1
	s_lshl_b64 s[4:5], s[22:23], 1
	s_add_u32 s4, s20, s4
	s_addc_u32 s5, s21, s5
	v_lshlrev_b64 v[1:2], 1, v[1:2]
	s_add_u32 s0, s4, s0
	s_addc_u32 s1, s5, s1
	v_mov_b32_e32 v4, s1
	v_add_co_u32_e32 v1, vcc, s0, v1
	v_add_u32_e32 v5, s19, v3
	v_addc_co_u32_e32 v2, vcc, v4, v2, vcc
	s_waitcnt lgkmcnt(0)
	v_mad_i64_i32 v[3:4], s[0:1], s27, v3, 0
	s_mul_hi_i32 s1, s26, s19
	s_mul_i32 s0, s26, s19
	s_lshl_b64 s[4:5], s[0:1], 1
	s_mul_i32 s0, s25, s12
	s_mul_hi_u32 s1, s24, s12
	s_add_i32 s1, s1, s0
	s_mul_i32 s0, s24, s12
	s_lshl_b64 s[0:1], s[0:1], 1
	s_lshl_b64 s[16:17], s[16:17], 1
	s_add_u32 s2, s2, s16
	s_addc_u32 s3, s3, s17
	v_lshlrev_b64 v[3:4], 1, v[3:4]
	s_add_u32 s0, s2, s0
	s_addc_u32 s1, s3, s1
	v_mov_b32_e32 v6, s1
	v_add_co_u32_e32 v3, vcc, s0, v3
	s_mul_hi_i32 s1, s27, s19
	s_mul_i32 s0, s27, s19
	s_lshl_b64 s[2:3], s[0:1], 1
	v_addc_co_u32_e32 v4, vcc, v6, v4, vcc
	v_mov_b32_e32 v6, 0
	s_mov_b64 s[16:17], 0
	v_mov_b32_e32 v7, s5
	v_mov_b32_e32 v8, s3
	s_mov_b32 s3, s13
.LBB180_2:                              ; =>This Inner Loop Header: Depth=1
	global_load_ushort v9, v[3:4], off
	global_load_ushort v10, v[1:2], off
	v_add_co_u32_e64 v1, s[0:1], s4, v1
	v_addc_co_u32_e64 v2, s[0:1], v2, v7, s[0:1]
	s_add_i32 s5, s3, 1
	v_add_co_u32_e64 v3, s[0:1], s2, v3
	v_addc_co_u32_e64 v4, s[0:1], v4, v8, s[0:1]
	s_cmp_gt_u32 s3, 6
	v_cmp_le_i32_e32 vcc, s7, v5
	s_cselect_b64 s[0:1], -1, 0
	s_or_b64 s[0:1], s[0:1], vcc
	s_and_b64 s[0:1], exec, s[0:1]
	v_add_u32_e32 v5, s19, v5
	s_mov_b32 s3, s5
	s_or_b64 s[16:17], s[0:1], s[16:17]
	s_waitcnt vmcnt(0)
	v_fma_f16 v6, v9, v10, v6
	s_andn2_b64 exec, exec, s[16:17]
	s_cbranch_execnz .LBB180_2
; %bb.3:
	s_or_b64 exec, exec, s[16:17]
.LBB180_4:
	s_or_b64 exec, exec, s[14:15]
	v_and_b32_e32 v2, 63, v0
	v_cmp_gt_u32_e32 vcc, 64, v0
	v_lshlrev_b32_e32 v1, 1, v2
	s_and_saveexec_b64 s[0:1], vcc
; %bb.5:
	v_mov_b32_e32 v3, 0
	ds_write_b16 v1, v3
; %bb.6:
	s_or_b64 exec, exec, s[0:1]
	v_mbcnt_lo_u32_b32 v3, -1, 0
	v_mbcnt_hi_u32_b32 v5, -1, v3
	v_mov_b32_e32 v4, 0x80
	v_and_b32_e32 v3, 0xffff, v6
	v_lshl_or_b32 v4, v5, 2, v4
	ds_bpermute_b32 v3, v4, v3
	v_and_b32_e32 v7, 63, v5
	v_cmp_gt_u32_e64 s[0:1], 48, v7
	s_mov_b32 s2, 0xffff0000
	s_waitcnt lgkmcnt(0)
	v_add_f16_e32 v4, v6, v3
	v_cndmask_b32_e64 v6, 0, 16, s[0:1]
	v_and_or_b32 v3, v3, s2, v4
	v_add_lshl_u32 v6, v6, v5, 2
	ds_bpermute_b32 v3, v6, v3
	v_cmp_gt_u32_e64 s[0:1], 56, v7
	v_cndmask_b32_e64 v6, 0, 8, s[0:1]
	v_add_lshl_u32 v6, v6, v5, 2
	v_cmp_gt_u32_e64 s[0:1], 60, v7
	s_waitcnt lgkmcnt(0)
	v_add_f16_e32 v4, v4, v3
	v_and_or_b32 v3, v3, s2, v4
	ds_bpermute_b32 v3, v6, v3
	v_cndmask_b32_e64 v6, 0, 4, s[0:1]
	v_cmp_gt_u32_e64 s[0:1], 62, v7
	s_waitcnt lgkmcnt(0)
	s_barrier
	v_add_f16_e32 v8, v4, v3
	v_and_or_b32 v4, v3, s2, v8
	v_add_lshl_u32 v3, v6, v5, 2
	ds_bpermute_b32 v6, v3, v4
	v_cndmask_b32_e64 v4, 0, 2, s[0:1]
	v_add_lshl_u32 v4, v4, v5, 2
	v_cmp_ne_u32_e64 s[0:1], 63, v7
	v_addc_co_u32_e64 v5, s[0:1], 0, v5, s[0:1]
	s_waitcnt lgkmcnt(0)
	v_add_f16_e32 v8, v8, v6
	v_and_or_b32 v6, v6, s2, v8
	ds_bpermute_b32 v9, v4, v6
	v_lshlrev_b32_e32 v5, 2, v5
	v_cmp_eq_u32_e64 s[0:1], 0, v2
	s_waitcnt lgkmcnt(0)
	v_add_f16_e32 v6, v8, v9
	v_and_or_b32 v7, v9, s2, v6
	ds_bpermute_b32 v7, v5, v7
	s_and_saveexec_b64 s[2:3], s[0:1]
	s_cbranch_execz .LBB180_8
; %bb.7:
	s_waitcnt lgkmcnt(0)
	v_add_f16_e32 v2, v6, v7
	v_lshrrev_b32_e32 v6, 5, v0
	v_and_b32_e32 v6, 14, v6
	ds_write_b16 v6, v2
.LBB180_8:
	s_or_b64 exec, exec, s[2:3]
	v_cmp_gt_u32_e64 s[0:1], 8, v0
	v_mov_b32_e32 v2, 0
	s_waitcnt lgkmcnt(0)
	s_barrier
	s_and_saveexec_b64 s[2:3], s[0:1]
	s_cbranch_execnz .LBB180_12
; %bb.9:
	s_or_b64 exec, exec, s[2:3]
	s_and_saveexec_b64 s[0:1], vcc
	s_cbranch_execnz .LBB180_13
.LBB180_10:
	s_or_b64 exec, exec, s[0:1]
	v_cmp_eq_u32_e32 vcc, 0, v0
	s_and_saveexec_b64 s[0:1], vcc
	s_cbranch_execnz .LBB180_14
.LBB180_11:
	s_endpgm
.LBB180_12:
	ds_read_u16 v2, v1
	s_or_b64 exec, exec, s[2:3]
	s_and_saveexec_b64 s[0:1], vcc
	s_cbranch_execz .LBB180_10
.LBB180_13:
	s_waitcnt lgkmcnt(0)
	v_and_b32_e32 v1, 0xffff, v2
	ds_bpermute_b32 v1, v3, v1
	s_mov_b32 s2, 0xffff0000
	s_waitcnt lgkmcnt(0)
	v_add_f16_e32 v2, v2, v1
	v_and_or_b32 v1, v1, s2, v2
	ds_bpermute_b32 v1, v4, v1
	s_waitcnt lgkmcnt(0)
	v_add_f16_e32 v2, v2, v1
	v_and_or_b32 v1, v1, s2, v2
	ds_bpermute_b32 v1, v5, v1
	s_waitcnt lgkmcnt(0)
	v_add_f16_e32 v2, v2, v1
	s_or_b64 exec, exec, s[0:1]
	v_cmp_eq_u32_e32 vcc, 0, v0
	s_and_saveexec_b64 s[0:1], vcc
	s_cbranch_execz .LBB180_11
.LBB180_14:
	s_cmp_lg_u32 s18, 1
	s_mov_b64 s[0:1], -1
	s_cbranch_scc0 .LBB180_16
; %bb.15:
	s_mul_hi_u32 s1, s18, s12
	s_mul_i32 s0, s18, s12
	s_lshl_b64 s[0:1], s[0:1], 1
	s_mov_b32 s7, 0
	s_add_u32 s2, s8, s0
	s_addc_u32 s3, s9, s1
	s_lshl_b64 s[0:1], s[6:7], 1
	s_add_u32 s0, s2, s0
	s_addc_u32 s1, s3, s1
	v_mov_b32_e32 v0, 0
	s_waitcnt lgkmcnt(0)
	global_store_short v0, v2, s[0:1]
	s_mov_b64 s[0:1], 0
.LBB180_16:
	s_andn2_b64 vcc, exec, s[0:1]
	s_cbranch_vccnz .LBB180_11
; %bb.17:
	s_lshl_b64 s[0:1], s[12:13], 1
	s_add_u32 s0, s10, s0
	s_addc_u32 s1, s11, s1
	v_mov_b32_e32 v0, 0
	s_waitcnt lgkmcnt(0)
	global_store_short v0, v2, s[0:1]
	s_endpgm
	.section	.rodata,"a",@progbits
	.p2align	6, 0x0
	.amdhsa_kernel _ZL18rocblas_dot_kernelIiLb0ELi512ELi8ELb1EDF16_PKDF16_DF16_EviT5_lT_lS2_lS3_liPT6_PT4_
		.amdhsa_group_segment_fixed_size 128
		.amdhsa_private_segment_fixed_size 0
		.amdhsa_kernarg_size 352
		.amdhsa_user_sgpr_count 6
		.amdhsa_user_sgpr_private_segment_buffer 1
		.amdhsa_user_sgpr_dispatch_ptr 0
		.amdhsa_user_sgpr_queue_ptr 0
		.amdhsa_user_sgpr_kernarg_segment_ptr 1
		.amdhsa_user_sgpr_dispatch_id 0
		.amdhsa_user_sgpr_flat_scratch_init 0
		.amdhsa_user_sgpr_private_segment_size 0
		.amdhsa_uses_dynamic_stack 0
		.amdhsa_system_sgpr_private_segment_wavefront_offset 0
		.amdhsa_system_sgpr_workgroup_id_x 1
		.amdhsa_system_sgpr_workgroup_id_y 0
		.amdhsa_system_sgpr_workgroup_id_z 1
		.amdhsa_system_sgpr_workgroup_info 0
		.amdhsa_system_vgpr_workitem_id 0
		.amdhsa_next_free_vgpr 11
		.amdhsa_next_free_sgpr 28
		.amdhsa_reserve_vcc 1
		.amdhsa_reserve_flat_scratch 0
		.amdhsa_float_round_mode_32 0
		.amdhsa_float_round_mode_16_64 0
		.amdhsa_float_denorm_mode_32 3
		.amdhsa_float_denorm_mode_16_64 3
		.amdhsa_dx10_clamp 1
		.amdhsa_ieee_mode 1
		.amdhsa_fp16_overflow 0
		.amdhsa_exception_fp_ieee_invalid_op 0
		.amdhsa_exception_fp_denorm_src 0
		.amdhsa_exception_fp_ieee_div_zero 0
		.amdhsa_exception_fp_ieee_overflow 0
		.amdhsa_exception_fp_ieee_underflow 0
		.amdhsa_exception_fp_ieee_inexact 0
		.amdhsa_exception_int_div_zero 0
	.end_amdhsa_kernel
	.section	.text._ZL18rocblas_dot_kernelIiLb0ELi512ELi8ELb1EDF16_PKDF16_DF16_EviT5_lT_lS2_lS3_liPT6_PT4_,"axG",@progbits,_ZL18rocblas_dot_kernelIiLb0ELi512ELi8ELb1EDF16_PKDF16_DF16_EviT5_lT_lS2_lS3_liPT6_PT4_,comdat
.Lfunc_end180:
	.size	_ZL18rocblas_dot_kernelIiLb0ELi512ELi8ELb1EDF16_PKDF16_DF16_EviT5_lT_lS2_lS3_liPT6_PT4_, .Lfunc_end180-_ZL18rocblas_dot_kernelIiLb0ELi512ELi8ELb1EDF16_PKDF16_DF16_EviT5_lT_lS2_lS3_liPT6_PT4_
                                        ; -- End function
	.set _ZL18rocblas_dot_kernelIiLb0ELi512ELi8ELb1EDF16_PKDF16_DF16_EviT5_lT_lS2_lS3_liPT6_PT4_.num_vgpr, 11
	.set _ZL18rocblas_dot_kernelIiLb0ELi512ELi8ELb1EDF16_PKDF16_DF16_EviT5_lT_lS2_lS3_liPT6_PT4_.num_agpr, 0
	.set _ZL18rocblas_dot_kernelIiLb0ELi512ELi8ELb1EDF16_PKDF16_DF16_EviT5_lT_lS2_lS3_liPT6_PT4_.numbered_sgpr, 28
	.set _ZL18rocblas_dot_kernelIiLb0ELi512ELi8ELb1EDF16_PKDF16_DF16_EviT5_lT_lS2_lS3_liPT6_PT4_.num_named_barrier, 0
	.set _ZL18rocblas_dot_kernelIiLb0ELi512ELi8ELb1EDF16_PKDF16_DF16_EviT5_lT_lS2_lS3_liPT6_PT4_.private_seg_size, 0
	.set _ZL18rocblas_dot_kernelIiLb0ELi512ELi8ELb1EDF16_PKDF16_DF16_EviT5_lT_lS2_lS3_liPT6_PT4_.uses_vcc, 1
	.set _ZL18rocblas_dot_kernelIiLb0ELi512ELi8ELb1EDF16_PKDF16_DF16_EviT5_lT_lS2_lS3_liPT6_PT4_.uses_flat_scratch, 0
	.set _ZL18rocblas_dot_kernelIiLb0ELi512ELi8ELb1EDF16_PKDF16_DF16_EviT5_lT_lS2_lS3_liPT6_PT4_.has_dyn_sized_stack, 0
	.set _ZL18rocblas_dot_kernelIiLb0ELi512ELi8ELb1EDF16_PKDF16_DF16_EviT5_lT_lS2_lS3_liPT6_PT4_.has_recursion, 0
	.set _ZL18rocblas_dot_kernelIiLb0ELi512ELi8ELb1EDF16_PKDF16_DF16_EviT5_lT_lS2_lS3_liPT6_PT4_.has_indirect_call, 0
	.section	.AMDGPU.csdata,"",@progbits
; Kernel info:
; codeLenInByte = 1080
; TotalNumSgprs: 32
; NumVgprs: 11
; ScratchSize: 0
; MemoryBound: 0
; FloatMode: 240
; IeeeMode: 1
; LDSByteSize: 128 bytes/workgroup (compile time only)
; SGPRBlocks: 3
; VGPRBlocks: 2
; NumSGPRsForWavesPerEU: 32
; NumVGPRsForWavesPerEU: 11
; Occupancy: 10
; WaveLimiterHint : 0
; COMPUTE_PGM_RSRC2:SCRATCH_EN: 0
; COMPUTE_PGM_RSRC2:USER_SGPR: 6
; COMPUTE_PGM_RSRC2:TRAP_HANDLER: 0
; COMPUTE_PGM_RSRC2:TGID_X_EN: 1
; COMPUTE_PGM_RSRC2:TGID_Y_EN: 0
; COMPUTE_PGM_RSRC2:TGID_Z_EN: 1
; COMPUTE_PGM_RSRC2:TIDIG_COMP_CNT: 0
	.section	.text._ZL24rocblas_dot_kernel_magsqIiLb0ELi512ELi8ELb1EDF16_PKDF16_DF16_EviT5_lT_liPT6_PT4_,"axG",@progbits,_ZL24rocblas_dot_kernel_magsqIiLb0ELi512ELi8ELb1EDF16_PKDF16_DF16_EviT5_lT_liPT6_PT4_,comdat
	.globl	_ZL24rocblas_dot_kernel_magsqIiLb0ELi512ELi8ELb1EDF16_PKDF16_DF16_EviT5_lT_liPT6_PT4_ ; -- Begin function _ZL24rocblas_dot_kernel_magsqIiLb0ELi512ELi8ELb1EDF16_PKDF16_DF16_EviT5_lT_liPT6_PT4_
	.p2align	8
	.type	_ZL24rocblas_dot_kernel_magsqIiLb0ELi512ELi8ELb1EDF16_PKDF16_DF16_EviT5_lT_liPT6_PT4_,@function
_ZL24rocblas_dot_kernel_magsqIiLb0ELi512ELi8ELb1EDF16_PKDF16_DF16_EviT5_lT_liPT6_PT4_: ; @_ZL24rocblas_dot_kernel_magsqIiLb0ELi512ELi8ELb1EDF16_PKDF16_DF16_EviT5_lT_liPT6_PT4_
; %bb.0:
	s_mov_b32 s2, s7
	s_load_dword s7, s[4:5], 0x0
	s_load_dwordx4 s[8:11], s[4:5], 0x30
	s_load_dword s16, s[4:5], 0x40
	v_lshl_or_b32 v1, s6, 9, v0
	s_mov_b32 s3, 0
	s_waitcnt lgkmcnt(0)
	v_cmp_gt_i32_e32 vcc, s7, v1
	v_mov_b32_e32 v3, 0
	s_and_saveexec_b64 s[12:13], vcc
	s_cbranch_execz .LBB181_4
; %bb.1:
	s_load_dword s14, s[4:5], 0x18
	s_load_dwordx4 s[20:23], s[4:5], 0x8
	s_load_dwordx2 s[0:1], s[4:5], 0x20
	s_lshl_b32 s17, s16, 9
	v_add_u32_e32 v4, s17, v1
	s_waitcnt lgkmcnt(0)
	v_mad_i64_i32 v[2:3], s[4:5], s14, v1, 0
	s_mul_i32 s1, s1, s2
	s_mul_hi_u32 s4, s0, s2
	s_add_i32 s1, s4, s1
	s_mul_i32 s0, s0, s2
	s_lshl_b64 s[0:1], s[0:1], 1
	s_lshl_b64 s[4:5], s[22:23], 1
	s_add_u32 s4, s20, s4
	s_addc_u32 s5, s21, s5
	v_lshlrev_b64 v[1:2], 1, v[2:3]
	s_add_u32 s0, s4, s0
	s_addc_u32 s1, s5, s1
	v_mov_b32_e32 v3, s1
	v_add_co_u32_e32 v1, vcc, s0, v1
	s_mul_hi_i32 s1, s14, s17
	s_mul_i32 s0, s14, s17
	s_lshl_b64 s[4:5], s[0:1], 1
	v_addc_co_u32_e32 v2, vcc, v3, v2, vcc
	v_mov_b32_e32 v3, 0
	s_mov_b64 s[14:15], 0
	v_mov_b32_e32 v5, s5
	s_mov_b32 s5, s3
.LBB181_2:                              ; =>This Inner Loop Header: Depth=1
	global_load_ushort v6, v[1:2], off
	s_add_i32 s18, s5, 1
	v_add_co_u32_e64 v1, s[0:1], s4, v1
	v_addc_co_u32_e64 v2, s[0:1], v2, v5, s[0:1]
	s_cmp_gt_u32 s5, 6
	v_cmp_le_i32_e32 vcc, s7, v4
	s_cselect_b64 s[0:1], -1, 0
	s_or_b64 s[0:1], s[0:1], vcc
	s_and_b64 s[0:1], exec, s[0:1]
	v_add_u32_e32 v4, s17, v4
	s_mov_b32 s5, s18
	s_or_b64 s[14:15], s[0:1], s[14:15]
	s_waitcnt vmcnt(0)
	v_fma_f16 v3, v6, v6, v3
	s_andn2_b64 exec, exec, s[14:15]
	s_cbranch_execnz .LBB181_2
; %bb.3:
	s_or_b64 exec, exec, s[14:15]
.LBB181_4:
	s_or_b64 exec, exec, s[12:13]
	v_and_b32_e32 v2, 63, v0
	v_cmp_gt_u32_e32 vcc, 64, v0
	v_lshlrev_b32_e32 v1, 1, v2
	s_and_saveexec_b64 s[0:1], vcc
; %bb.5:
	v_mov_b32_e32 v4, 0
	ds_write_b16 v1, v4
; %bb.6:
	s_or_b64 exec, exec, s[0:1]
	v_mbcnt_lo_u32_b32 v4, -1, 0
	v_mbcnt_hi_u32_b32 v5, -1, v4
	v_mov_b32_e32 v6, 0x80
	v_and_b32_e32 v4, 0xffff, v3
	v_lshl_or_b32 v6, v5, 2, v6
	ds_bpermute_b32 v4, v6, v4
	v_and_b32_e32 v6, 63, v5
	v_cmp_gt_u32_e64 s[0:1], 48, v6
	s_mov_b32 s4, 0xffff0000
	v_cndmask_b32_e64 v7, 0, 16, s[0:1]
	s_waitcnt lgkmcnt(0)
	v_add_f16_e32 v3, v3, v4
	v_and_or_b32 v4, v4, s4, v3
	v_add_lshl_u32 v7, v7, v5, 2
	ds_bpermute_b32 v4, v7, v4
	v_cmp_gt_u32_e64 s[0:1], 56, v6
	v_cndmask_b32_e64 v7, 0, 8, s[0:1]
	v_add_lshl_u32 v7, v7, v5, 2
	v_cmp_gt_u32_e64 s[0:1], 60, v6
	s_waitcnt lgkmcnt(0)
	v_add_f16_e32 v3, v3, v4
	v_and_or_b32 v4, v4, s4, v3
	ds_bpermute_b32 v4, v7, v4
	v_cndmask_b32_e64 v7, 0, 4, s[0:1]
	v_cmp_gt_u32_e64 s[0:1], 62, v6
	s_waitcnt lgkmcnt(0)
	s_barrier
	v_add_f16_e32 v8, v3, v4
	v_and_or_b32 v4, v4, s4, v8
	v_add_lshl_u32 v3, v7, v5, 2
	ds_bpermute_b32 v7, v3, v4
	v_cndmask_b32_e64 v4, 0, 2, s[0:1]
	v_add_lshl_u32 v4, v4, v5, 2
	v_cmp_ne_u32_e64 s[0:1], 63, v6
	v_addc_co_u32_e64 v5, s[0:1], 0, v5, s[0:1]
	s_waitcnt lgkmcnt(0)
	v_add_f16_e32 v8, v8, v7
	v_and_or_b32 v7, v7, s4, v8
	ds_bpermute_b32 v7, v4, v7
	v_lshlrev_b32_e32 v5, 2, v5
	v_cmp_eq_u32_e64 s[0:1], 0, v2
	s_waitcnt lgkmcnt(0)
	v_add_f16_e32 v6, v8, v7
	v_and_or_b32 v7, v7, s4, v6
	ds_bpermute_b32 v7, v5, v7
	s_and_saveexec_b64 s[4:5], s[0:1]
	s_cbranch_execz .LBB181_8
; %bb.7:
	s_waitcnt lgkmcnt(0)
	v_add_f16_e32 v2, v6, v7
	v_lshrrev_b32_e32 v6, 5, v0
	v_and_b32_e32 v6, 14, v6
	ds_write_b16 v6, v2
.LBB181_8:
	s_or_b64 exec, exec, s[4:5]
	v_cmp_gt_u32_e64 s[0:1], 8, v0
	v_mov_b32_e32 v2, 0
	s_waitcnt lgkmcnt(0)
	s_barrier
	s_and_saveexec_b64 s[4:5], s[0:1]
	s_cbranch_execnz .LBB181_12
; %bb.9:
	s_or_b64 exec, exec, s[4:5]
	s_and_saveexec_b64 s[0:1], vcc
	s_cbranch_execnz .LBB181_13
.LBB181_10:
	s_or_b64 exec, exec, s[0:1]
	v_cmp_eq_u32_e32 vcc, 0, v0
	s_and_saveexec_b64 s[0:1], vcc
	s_cbranch_execnz .LBB181_14
.LBB181_11:
	s_endpgm
.LBB181_12:
	ds_read_u16 v2, v1
	s_or_b64 exec, exec, s[4:5]
	s_and_saveexec_b64 s[0:1], vcc
	s_cbranch_execz .LBB181_10
.LBB181_13:
	s_waitcnt lgkmcnt(0)
	v_and_b32_e32 v1, 0xffff, v2
	ds_bpermute_b32 v1, v3, v1
	s_mov_b32 s4, 0xffff0000
	s_waitcnt lgkmcnt(0)
	v_add_f16_e32 v2, v2, v1
	v_and_or_b32 v1, v1, s4, v2
	ds_bpermute_b32 v1, v4, v1
	s_waitcnt lgkmcnt(0)
	v_add_f16_e32 v2, v2, v1
	v_and_or_b32 v1, v1, s4, v2
	ds_bpermute_b32 v1, v5, v1
	s_waitcnt lgkmcnt(0)
	v_add_f16_e32 v2, v2, v1
	s_or_b64 exec, exec, s[0:1]
	v_cmp_eq_u32_e32 vcc, 0, v0
	s_and_saveexec_b64 s[0:1], vcc
	s_cbranch_execz .LBB181_11
.LBB181_14:
	s_cmp_lg_u32 s16, 1
	s_mov_b64 s[0:1], -1
	s_cbranch_scc0 .LBB181_16
; %bb.15:
	s_mul_hi_u32 s1, s16, s2
	s_mul_i32 s0, s16, s2
	s_lshl_b64 s[0:1], s[0:1], 1
	s_mov_b32 s7, 0
	s_add_u32 s4, s8, s0
	s_addc_u32 s5, s9, s1
	s_lshl_b64 s[0:1], s[6:7], 1
	s_add_u32 s0, s4, s0
	s_addc_u32 s1, s5, s1
	v_mov_b32_e32 v0, 0
	s_waitcnt lgkmcnt(0)
	global_store_short v0, v2, s[0:1]
	s_mov_b64 s[0:1], 0
.LBB181_16:
	s_andn2_b64 vcc, exec, s[0:1]
	s_cbranch_vccnz .LBB181_11
; %bb.17:
	s_lshl_b64 s[0:1], s[2:3], 1
	s_add_u32 s0, s10, s0
	s_addc_u32 s1, s11, s1
	v_mov_b32_e32 v0, 0
	s_waitcnt lgkmcnt(0)
	global_store_short v0, v2, s[0:1]
	s_endpgm
	.section	.rodata,"a",@progbits
	.p2align	6, 0x0
	.amdhsa_kernel _ZL24rocblas_dot_kernel_magsqIiLb0ELi512ELi8ELb1EDF16_PKDF16_DF16_EviT5_lT_liPT6_PT4_
		.amdhsa_group_segment_fixed_size 128
		.amdhsa_private_segment_fixed_size 0
		.amdhsa_kernarg_size 320
		.amdhsa_user_sgpr_count 6
		.amdhsa_user_sgpr_private_segment_buffer 1
		.amdhsa_user_sgpr_dispatch_ptr 0
		.amdhsa_user_sgpr_queue_ptr 0
		.amdhsa_user_sgpr_kernarg_segment_ptr 1
		.amdhsa_user_sgpr_dispatch_id 0
		.amdhsa_user_sgpr_flat_scratch_init 0
		.amdhsa_user_sgpr_private_segment_size 0
		.amdhsa_uses_dynamic_stack 0
		.amdhsa_system_sgpr_private_segment_wavefront_offset 0
		.amdhsa_system_sgpr_workgroup_id_x 1
		.amdhsa_system_sgpr_workgroup_id_y 0
		.amdhsa_system_sgpr_workgroup_id_z 1
		.amdhsa_system_sgpr_workgroup_info 0
		.amdhsa_system_vgpr_workitem_id 0
		.amdhsa_next_free_vgpr 9
		.amdhsa_next_free_sgpr 24
		.amdhsa_reserve_vcc 1
		.amdhsa_reserve_flat_scratch 0
		.amdhsa_float_round_mode_32 0
		.amdhsa_float_round_mode_16_64 0
		.amdhsa_float_denorm_mode_32 3
		.amdhsa_float_denorm_mode_16_64 3
		.amdhsa_dx10_clamp 1
		.amdhsa_ieee_mode 1
		.amdhsa_fp16_overflow 0
		.amdhsa_exception_fp_ieee_invalid_op 0
		.amdhsa_exception_fp_denorm_src 0
		.amdhsa_exception_fp_ieee_div_zero 0
		.amdhsa_exception_fp_ieee_overflow 0
		.amdhsa_exception_fp_ieee_underflow 0
		.amdhsa_exception_fp_ieee_inexact 0
		.amdhsa_exception_int_div_zero 0
	.end_amdhsa_kernel
	.section	.text._ZL24rocblas_dot_kernel_magsqIiLb0ELi512ELi8ELb1EDF16_PKDF16_DF16_EviT5_lT_liPT6_PT4_,"axG",@progbits,_ZL24rocblas_dot_kernel_magsqIiLb0ELi512ELi8ELb1EDF16_PKDF16_DF16_EviT5_lT_liPT6_PT4_,comdat
.Lfunc_end181:
	.size	_ZL24rocblas_dot_kernel_magsqIiLb0ELi512ELi8ELb1EDF16_PKDF16_DF16_EviT5_lT_liPT6_PT4_, .Lfunc_end181-_ZL24rocblas_dot_kernel_magsqIiLb0ELi512ELi8ELb1EDF16_PKDF16_DF16_EviT5_lT_liPT6_PT4_
                                        ; -- End function
	.set _ZL24rocblas_dot_kernel_magsqIiLb0ELi512ELi8ELb1EDF16_PKDF16_DF16_EviT5_lT_liPT6_PT4_.num_vgpr, 9
	.set _ZL24rocblas_dot_kernel_magsqIiLb0ELi512ELi8ELb1EDF16_PKDF16_DF16_EviT5_lT_liPT6_PT4_.num_agpr, 0
	.set _ZL24rocblas_dot_kernel_magsqIiLb0ELi512ELi8ELb1EDF16_PKDF16_DF16_EviT5_lT_liPT6_PT4_.numbered_sgpr, 24
	.set _ZL24rocblas_dot_kernel_magsqIiLb0ELi512ELi8ELb1EDF16_PKDF16_DF16_EviT5_lT_liPT6_PT4_.num_named_barrier, 0
	.set _ZL24rocblas_dot_kernel_magsqIiLb0ELi512ELi8ELb1EDF16_PKDF16_DF16_EviT5_lT_liPT6_PT4_.private_seg_size, 0
	.set _ZL24rocblas_dot_kernel_magsqIiLb0ELi512ELi8ELb1EDF16_PKDF16_DF16_EviT5_lT_liPT6_PT4_.uses_vcc, 1
	.set _ZL24rocblas_dot_kernel_magsqIiLb0ELi512ELi8ELb1EDF16_PKDF16_DF16_EviT5_lT_liPT6_PT4_.uses_flat_scratch, 0
	.set _ZL24rocblas_dot_kernel_magsqIiLb0ELi512ELi8ELb1EDF16_PKDF16_DF16_EviT5_lT_liPT6_PT4_.has_dyn_sized_stack, 0
	.set _ZL24rocblas_dot_kernel_magsqIiLb0ELi512ELi8ELb1EDF16_PKDF16_DF16_EviT5_lT_liPT6_PT4_.has_recursion, 0
	.set _ZL24rocblas_dot_kernel_magsqIiLb0ELi512ELi8ELb1EDF16_PKDF16_DF16_EviT5_lT_liPT6_PT4_.has_indirect_call, 0
	.section	.AMDGPU.csdata,"",@progbits
; Kernel info:
; codeLenInByte = 944
; TotalNumSgprs: 28
; NumVgprs: 9
; ScratchSize: 0
; MemoryBound: 0
; FloatMode: 240
; IeeeMode: 1
; LDSByteSize: 128 bytes/workgroup (compile time only)
; SGPRBlocks: 3
; VGPRBlocks: 2
; NumSGPRsForWavesPerEU: 28
; NumVGPRsForWavesPerEU: 9
; Occupancy: 10
; WaveLimiterHint : 0
; COMPUTE_PGM_RSRC2:SCRATCH_EN: 0
; COMPUTE_PGM_RSRC2:USER_SGPR: 6
; COMPUTE_PGM_RSRC2:TRAP_HANDLER: 0
; COMPUTE_PGM_RSRC2:TGID_X_EN: 1
; COMPUTE_PGM_RSRC2:TGID_Y_EN: 0
; COMPUTE_PGM_RSRC2:TGID_Z_EN: 1
; COMPUTE_PGM_RSRC2:TIDIG_COMP_CNT: 0
	.section	.text._ZL30rocblas_reduction_kernel_part2ILi512ELi8E25rocblas_finalize_identityDF16_DF16_EviPT2_PT3_,"axG",@progbits,_ZL30rocblas_reduction_kernel_part2ILi512ELi8E25rocblas_finalize_identityDF16_DF16_EviPT2_PT3_,comdat
	.globl	_ZL30rocblas_reduction_kernel_part2ILi512ELi8E25rocblas_finalize_identityDF16_DF16_EviPT2_PT3_ ; -- Begin function _ZL30rocblas_reduction_kernel_part2ILi512ELi8E25rocblas_finalize_identityDF16_DF16_EviPT2_PT3_
	.p2align	8
	.type	_ZL30rocblas_reduction_kernel_part2ILi512ELi8E25rocblas_finalize_identityDF16_DF16_EviPT2_PT3_,@function
_ZL30rocblas_reduction_kernel_part2ILi512ELi8E25rocblas_finalize_identityDF16_DF16_EviPT2_PT3_: ; @_ZL30rocblas_reduction_kernel_part2ILi512ELi8E25rocblas_finalize_identityDF16_DF16_EviPT2_PT3_
; %bb.0:
	s_load_dword s12, s[4:5], 0x0
	s_load_dwordx4 s[0:3], s[4:5], 0x8
	v_lshlrev_b32_e32 v4, 3, v0
	s_mov_b32 s7, 0
	v_mov_b32_e32 v3, 0
	s_waitcnt lgkmcnt(0)
	s_ashr_i32 s8, s12, 31
	s_mul_i32 s5, s8, s6
	s_lshr_b32 s8, s8, 29
	s_add_i32 s8, s12, s8
	s_mul_hi_u32 s4, s12, s6
	s_and_b32 s13, s8, -8
	s_add_i32 s5, s4, s5
	s_mul_i32 s4, s12, s6
	v_cmp_gt_i32_e32 vcc, s13, v4
	s_and_saveexec_b64 s[8:9], vcc
	s_cbranch_execz .LBB182_4
; %bb.1:
	s_lshl_b64 s[10:11], s[4:5], 1
	s_add_u32 s10, s0, s10
	v_lshlrev_b32_e32 v1, 4, v0
	s_addc_u32 s11, s1, s11
	v_mov_b32_e32 v2, s11
	v_add_co_u32_e32 v1, vcc, s10, v1
	v_addc_co_u32_e32 v2, vcc, 0, v2, vcc
	v_add_co_u32_e32 v1, vcc, 14, v1
	v_mov_b32_e32 v3, 0
	v_addc_co_u32_e32 v2, vcc, 0, v2, vcc
	s_mov_b64 s[10:11], 0
.LBB182_2:                              ; =>This Inner Loop Header: Depth=1
	global_load_dwordx4 v[5:8], v[1:2], off offset:-14
	v_add_co_u32_e32 v1, vcc, 0x2000, v1
	v_add_u32_e32 v4, 0x1000, v4
	v_addc_co_u32_e32 v2, vcc, 0, v2, vcc
	v_cmp_le_i32_e32 vcc, s13, v4
	s_or_b64 s[10:11], vcc, s[10:11]
	s_waitcnt vmcnt(0)
	v_add_f16_e32 v3, v3, v5
	v_add_f16_sdwa v3, v3, v5 dst_sel:DWORD dst_unused:UNUSED_PAD src0_sel:DWORD src1_sel:WORD_1
	v_add_f16_e32 v3, v3, v6
	v_add_f16_sdwa v3, v3, v6 dst_sel:DWORD dst_unused:UNUSED_PAD src0_sel:DWORD src1_sel:WORD_1
	;; [unrolled: 2-line block ×4, first 2 shown]
	s_andn2_b64 exec, exec, s[10:11]
	s_cbranch_execnz .LBB182_2
; %bb.3:
	s_or_b64 exec, exec, s[10:11]
.LBB182_4:
	s_or_b64 exec, exec, s[8:9]
	s_sub_i32 s8, s12, s13
	v_cmp_gt_u32_e32 vcc, s8, v0
	s_and_saveexec_b64 s[8:9], vcc
	s_cbranch_execz .LBB182_6
; %bb.5:
	s_lshl_b64 s[4:5], s[4:5], 1
	v_xad_u32 v1, v0, -1, s12
	v_mov_b32_e32 v2, 0
	s_add_u32 s0, s0, s4
	v_lshlrev_b64 v[1:2], 1, v[1:2]
	s_addc_u32 s1, s1, s5
	v_mov_b32_e32 v4, s1
	v_add_co_u32_e32 v1, vcc, s0, v1
	v_addc_co_u32_e32 v2, vcc, v4, v2, vcc
	global_load_ushort v1, v[1:2], off
	s_waitcnt vmcnt(0)
	v_add_f16_e32 v3, v3, v1
.LBB182_6:
	s_or_b64 exec, exec, s[8:9]
	v_and_b32_e32 v2, 63, v0
	v_cmp_gt_u32_e32 vcc, 64, v0
	v_lshlrev_b32_e32 v1, 1, v2
	s_and_saveexec_b64 s[0:1], vcc
; %bb.7:
	v_mov_b32_e32 v4, 0
	ds_write_b16 v1, v4
; %bb.8:
	s_or_b64 exec, exec, s[0:1]
	v_mbcnt_lo_u32_b32 v4, -1, 0
	v_mbcnt_hi_u32_b32 v5, -1, v4
	v_mov_b32_e32 v6, 0x80
	v_and_b32_e32 v4, 0xffff, v3
	v_lshl_or_b32 v6, v5, 2, v6
	ds_bpermute_b32 v4, v6, v4
	v_and_b32_e32 v6, 63, v5
	v_cmp_gt_u32_e64 s[0:1], 48, v6
	s_mov_b32 s4, 0xffff0000
	v_cndmask_b32_e64 v7, 0, 16, s[0:1]
	s_waitcnt lgkmcnt(0)
	v_add_f16_e32 v3, v3, v4
	v_and_or_b32 v4, v4, s4, v3
	v_add_lshl_u32 v7, v7, v5, 2
	ds_bpermute_b32 v4, v7, v4
	v_cmp_gt_u32_e64 s[0:1], 56, v6
	v_cndmask_b32_e64 v7, 0, 8, s[0:1]
	v_add_lshl_u32 v7, v7, v5, 2
	v_cmp_gt_u32_e64 s[0:1], 60, v6
	s_waitcnt lgkmcnt(0)
	v_add_f16_e32 v3, v3, v4
	v_and_or_b32 v4, v4, s4, v3
	ds_bpermute_b32 v4, v7, v4
	v_cndmask_b32_e64 v7, 0, 4, s[0:1]
	v_cmp_gt_u32_e64 s[0:1], 62, v6
	s_waitcnt lgkmcnt(0)
	s_barrier
	v_add_f16_e32 v8, v3, v4
	v_and_or_b32 v4, v4, s4, v8
	v_add_lshl_u32 v3, v7, v5, 2
	ds_bpermute_b32 v7, v3, v4
	v_cndmask_b32_e64 v4, 0, 2, s[0:1]
	v_add_lshl_u32 v4, v4, v5, 2
	v_cmp_ne_u32_e64 s[0:1], 63, v6
	v_addc_co_u32_e64 v5, s[0:1], 0, v5, s[0:1]
	s_waitcnt lgkmcnt(0)
	v_add_f16_e32 v8, v8, v7
	v_and_or_b32 v7, v7, s4, v8
	ds_bpermute_b32 v7, v4, v7
	v_lshlrev_b32_e32 v5, 2, v5
	v_cmp_eq_u32_e64 s[0:1], 0, v2
	s_waitcnt lgkmcnt(0)
	v_add_f16_e32 v6, v8, v7
	v_and_or_b32 v7, v7, s4, v6
	ds_bpermute_b32 v7, v5, v7
	s_and_saveexec_b64 s[4:5], s[0:1]
	s_cbranch_execz .LBB182_10
; %bb.9:
	s_waitcnt lgkmcnt(0)
	v_add_f16_e32 v2, v6, v7
	v_lshrrev_b32_e32 v6, 5, v0
	v_and_b32_e32 v6, 14, v6
	ds_write_b16 v6, v2
.LBB182_10:
	s_or_b64 exec, exec, s[4:5]
	v_cmp_gt_u32_e64 s[0:1], 8, v0
	v_mov_b32_e32 v2, 0
	s_waitcnt lgkmcnt(0)
	s_barrier
	s_and_saveexec_b64 s[4:5], s[0:1]
	s_cbranch_execnz .LBB182_14
; %bb.11:
	s_or_b64 exec, exec, s[4:5]
	s_and_saveexec_b64 s[0:1], vcc
	s_cbranch_execnz .LBB182_15
.LBB182_12:
	s_or_b64 exec, exec, s[0:1]
	v_cmp_eq_u32_e32 vcc, 0, v0
	s_and_saveexec_b64 s[0:1], vcc
	s_cbranch_execnz .LBB182_16
.LBB182_13:
	s_endpgm
.LBB182_14:
	ds_read_u16 v2, v1
	s_or_b64 exec, exec, s[4:5]
	s_and_saveexec_b64 s[0:1], vcc
	s_cbranch_execz .LBB182_12
.LBB182_15:
	s_waitcnt lgkmcnt(0)
	v_and_b32_e32 v1, 0xffff, v2
	ds_bpermute_b32 v1, v3, v1
	s_mov_b32 s4, 0xffff0000
	s_waitcnt lgkmcnt(0)
	v_add_f16_e32 v2, v2, v1
	v_and_or_b32 v1, v1, s4, v2
	ds_bpermute_b32 v1, v4, v1
	s_waitcnt lgkmcnt(0)
	v_add_f16_e32 v2, v2, v1
	v_and_or_b32 v1, v1, s4, v2
	ds_bpermute_b32 v1, v5, v1
	s_waitcnt lgkmcnt(0)
	v_add_f16_e32 v2, v2, v1
	s_or_b64 exec, exec, s[0:1]
	v_cmp_eq_u32_e32 vcc, 0, v0
	s_and_saveexec_b64 s[0:1], vcc
	s_cbranch_execz .LBB182_13
.LBB182_16:
	s_lshl_b64 s[0:1], s[6:7], 1
	s_add_u32 s0, s2, s0
	s_addc_u32 s1, s3, s1
	v_mov_b32_e32 v0, 0
	s_waitcnt lgkmcnt(0)
	global_store_short v0, v2, s[0:1]
	s_endpgm
	.section	.rodata,"a",@progbits
	.p2align	6, 0x0
	.amdhsa_kernel _ZL30rocblas_reduction_kernel_part2ILi512ELi8E25rocblas_finalize_identityDF16_DF16_EviPT2_PT3_
		.amdhsa_group_segment_fixed_size 128
		.amdhsa_private_segment_fixed_size 0
		.amdhsa_kernarg_size 24
		.amdhsa_user_sgpr_count 6
		.amdhsa_user_sgpr_private_segment_buffer 1
		.amdhsa_user_sgpr_dispatch_ptr 0
		.amdhsa_user_sgpr_queue_ptr 0
		.amdhsa_user_sgpr_kernarg_segment_ptr 1
		.amdhsa_user_sgpr_dispatch_id 0
		.amdhsa_user_sgpr_flat_scratch_init 0
		.amdhsa_user_sgpr_private_segment_size 0
		.amdhsa_uses_dynamic_stack 0
		.amdhsa_system_sgpr_private_segment_wavefront_offset 0
		.amdhsa_system_sgpr_workgroup_id_x 1
		.amdhsa_system_sgpr_workgroup_id_y 0
		.amdhsa_system_sgpr_workgroup_id_z 0
		.amdhsa_system_sgpr_workgroup_info 0
		.amdhsa_system_vgpr_workitem_id 0
		.amdhsa_next_free_vgpr 9
		.amdhsa_next_free_sgpr 14
		.amdhsa_reserve_vcc 1
		.amdhsa_reserve_flat_scratch 0
		.amdhsa_float_round_mode_32 0
		.amdhsa_float_round_mode_16_64 0
		.amdhsa_float_denorm_mode_32 3
		.amdhsa_float_denorm_mode_16_64 3
		.amdhsa_dx10_clamp 1
		.amdhsa_ieee_mode 1
		.amdhsa_fp16_overflow 0
		.amdhsa_exception_fp_ieee_invalid_op 0
		.amdhsa_exception_fp_denorm_src 0
		.amdhsa_exception_fp_ieee_div_zero 0
		.amdhsa_exception_fp_ieee_overflow 0
		.amdhsa_exception_fp_ieee_underflow 0
		.amdhsa_exception_fp_ieee_inexact 0
		.amdhsa_exception_int_div_zero 0
	.end_amdhsa_kernel
	.section	.text._ZL30rocblas_reduction_kernel_part2ILi512ELi8E25rocblas_finalize_identityDF16_DF16_EviPT2_PT3_,"axG",@progbits,_ZL30rocblas_reduction_kernel_part2ILi512ELi8E25rocblas_finalize_identityDF16_DF16_EviPT2_PT3_,comdat
.Lfunc_end182:
	.size	_ZL30rocblas_reduction_kernel_part2ILi512ELi8E25rocblas_finalize_identityDF16_DF16_EviPT2_PT3_, .Lfunc_end182-_ZL30rocblas_reduction_kernel_part2ILi512ELi8E25rocblas_finalize_identityDF16_DF16_EviPT2_PT3_
                                        ; -- End function
	.set _ZL30rocblas_reduction_kernel_part2ILi512ELi8E25rocblas_finalize_identityDF16_DF16_EviPT2_PT3_.num_vgpr, 9
	.set _ZL30rocblas_reduction_kernel_part2ILi512ELi8E25rocblas_finalize_identityDF16_DF16_EviPT2_PT3_.num_agpr, 0
	.set _ZL30rocblas_reduction_kernel_part2ILi512ELi8E25rocblas_finalize_identityDF16_DF16_EviPT2_PT3_.numbered_sgpr, 14
	.set _ZL30rocblas_reduction_kernel_part2ILi512ELi8E25rocblas_finalize_identityDF16_DF16_EviPT2_PT3_.num_named_barrier, 0
	.set _ZL30rocblas_reduction_kernel_part2ILi512ELi8E25rocblas_finalize_identityDF16_DF16_EviPT2_PT3_.private_seg_size, 0
	.set _ZL30rocblas_reduction_kernel_part2ILi512ELi8E25rocblas_finalize_identityDF16_DF16_EviPT2_PT3_.uses_vcc, 1
	.set _ZL30rocblas_reduction_kernel_part2ILi512ELi8E25rocblas_finalize_identityDF16_DF16_EviPT2_PT3_.uses_flat_scratch, 0
	.set _ZL30rocblas_reduction_kernel_part2ILi512ELi8E25rocblas_finalize_identityDF16_DF16_EviPT2_PT3_.has_dyn_sized_stack, 0
	.set _ZL30rocblas_reduction_kernel_part2ILi512ELi8E25rocblas_finalize_identityDF16_DF16_EviPT2_PT3_.has_recursion, 0
	.set _ZL30rocblas_reduction_kernel_part2ILi512ELi8E25rocblas_finalize_identityDF16_DF16_EviPT2_PT3_.has_indirect_call, 0
	.section	.AMDGPU.csdata,"",@progbits
; Kernel info:
; codeLenInByte = 892
; TotalNumSgprs: 18
; NumVgprs: 9
; ScratchSize: 0
; MemoryBound: 0
; FloatMode: 240
; IeeeMode: 1
; LDSByteSize: 128 bytes/workgroup (compile time only)
; SGPRBlocks: 2
; VGPRBlocks: 2
; NumSGPRsForWavesPerEU: 18
; NumVGPRsForWavesPerEU: 9
; Occupancy: 10
; WaveLimiterHint : 0
; COMPUTE_PGM_RSRC2:SCRATCH_EN: 0
; COMPUTE_PGM_RSRC2:USER_SGPR: 6
; COMPUTE_PGM_RSRC2:TRAP_HANDLER: 0
; COMPUTE_PGM_RSRC2:TGID_X_EN: 1
; COMPUTE_PGM_RSRC2:TGID_Y_EN: 0
; COMPUTE_PGM_RSRC2:TGID_Z_EN: 0
; COMPUTE_PGM_RSRC2:TIDIG_COMP_CNT: 0
	.section	.text._ZL28rocblas_dot_batched_4_kernelIiLi32ELi4ELb1EDF16_DF16_PKPKDF16_EviT5_lT_lS4_lS5_liPT4_,"axG",@progbits,_ZL28rocblas_dot_batched_4_kernelIiLi32ELi4ELb1EDF16_DF16_PKPKDF16_EviT5_lT_lS4_lS5_liPT4_,comdat
	.globl	_ZL28rocblas_dot_batched_4_kernelIiLi32ELi4ELb1EDF16_DF16_PKPKDF16_EviT5_lT_lS4_lS5_liPT4_ ; -- Begin function _ZL28rocblas_dot_batched_4_kernelIiLi32ELi4ELb1EDF16_DF16_PKPKDF16_EviT5_lT_lS4_lS5_liPT4_
	.p2align	8
	.type	_ZL28rocblas_dot_batched_4_kernelIiLi32ELi4ELb1EDF16_DF16_PKPKDF16_EviT5_lT_lS4_lS5_liPT4_,@function
_ZL28rocblas_dot_batched_4_kernelIiLi32ELi4ELb1EDF16_DF16_PKPKDF16_EviT5_lT_lS4_lS5_liPT4_: ; @_ZL28rocblas_dot_batched_4_kernelIiLi32ELi4ELb1EDF16_DF16_PKPKDF16_EviT5_lT_lS4_lS5_liPT4_
; %bb.0:
	s_load_dword s0, s[4:5], 0x48
	v_lshl_add_u32 v1, s6, 2, v1
	s_waitcnt lgkmcnt(0)
	v_cmp_gt_u32_e32 vcc, s0, v1
	s_and_saveexec_b64 s[0:1], vcc
	s_cbranch_execz .LBB183_7
; %bb.1:
	s_load_dword s14, s[4:5], 0x0
	s_load_dwordx2 s[6:7], s[4:5], 0x50
	v_mov_b32_e32 v2, 0
	v_mov_b32_e32 v7, v2
	s_waitcnt lgkmcnt(0)
	v_cmp_gt_i32_e32 vcc, s14, v0
	s_and_saveexec_b64 s[12:13], vcc
	s_cbranch_execz .LBB183_5
; %bb.2:
	s_load_dwordx4 s[0:3], s[4:5], 0x8
	s_load_dwordx4 s[8:11], s[4:5], 0x28
	v_lshlrev_b64 v[3:4], 3, v[1:2]
	s_load_dword s16, s[4:5], 0x18
	s_waitcnt lgkmcnt(0)
	v_mov_b32_e32 v6, s1
	v_add_co_u32_e32 v5, vcc, s0, v3
	v_addc_co_u32_e32 v6, vcc, v6, v4, vcc
	global_load_dwordx2 v[5:6], v[5:6], off
	v_mov_b32_e32 v7, s9
	v_add_co_u32_e32 v3, vcc, s8, v3
	v_addc_co_u32_e32 v4, vcc, v7, v4, vcc
	global_load_dwordx2 v[10:11], v[3:4], off
	s_load_dword s4, s[4:5], 0x38
	v_mad_i64_i32 v[3:4], s[8:9], s16, v0, 0
	s_lshl_b64 s[8:9], s[2:3], 1
	v_mov_b32_e32 v14, s9
	s_waitcnt lgkmcnt(0)
	v_mad_i64_i32 v[12:13], s[2:3], s4, v0, 0
	v_lshlrev_b64 v[3:4], 1, v[3:4]
	s_lshl_b64 s[10:11], s[10:11], 1
	v_lshlrev_b64 v[12:13], 1, v[12:13]
	v_add_co_u32_e32 v3, vcc, s8, v3
	v_addc_co_u32_e32 v4, vcc, v4, v14, vcc
	v_mov_b32_e32 v15, s11
	v_add_co_u32_e32 v12, vcc, s10, v12
	v_addc_co_u32_e32 v13, vcc, v13, v15, vcc
	s_ashr_i32 s17, s16, 31
	s_ashr_i32 s5, s4, 31
	s_lshl_b64 s[2:3], s[16:17], 6
	s_lshl_b64 s[4:5], s[4:5], 6
	v_mov_b32_e32 v7, 0
	s_mov_b64 s[0:1], 0
	v_mov_b32_e32 v8, s3
	v_mov_b32_e32 v9, s5
	s_waitcnt vmcnt(1)
	v_add_co_u32_e32 v3, vcc, v5, v3
	v_addc_co_u32_e32 v4, vcc, v6, v4, vcc
	s_waitcnt vmcnt(0)
	v_add_co_u32_e32 v5, vcc, v10, v12
	v_addc_co_u32_e32 v6, vcc, v11, v13, vcc
	v_mov_b32_e32 v10, v0
.LBB183_3:                              ; =>This Inner Loop Header: Depth=1
	flat_load_ushort v11, v[3:4]
	flat_load_ushort v12, v[5:6]
	v_add_co_u32_e32 v3, vcc, s2, v3
	v_addc_co_u32_e32 v4, vcc, v4, v8, vcc
	v_add_co_u32_e32 v5, vcc, s4, v5
	v_add_u32_e32 v10, 32, v10
	v_addc_co_u32_e32 v6, vcc, v6, v9, vcc
	v_cmp_le_i32_e32 vcc, s14, v10
	s_or_b64 s[0:1], vcc, s[0:1]
	s_waitcnt vmcnt(0) lgkmcnt(0)
	v_fma_f16 v7, v11, v12, v7
	s_andn2_b64 exec, exec, s[0:1]
	s_cbranch_execnz .LBB183_3
; %bb.4:
	s_or_b64 exec, exec, s[0:1]
.LBB183_5:
	s_or_b64 exec, exec, s[12:13]
	v_mbcnt_lo_u32_b32 v3, -1, 0
	v_mbcnt_hi_u32_b32 v3, -1, v3
	v_and_b32_e32 v4, 63, v3
	v_cmp_gt_u32_e32 vcc, 48, v4
	v_cndmask_b32_e64 v6, 0, 16, vcc
	v_and_b32_e32 v5, 0xffff, v7
	v_add_lshl_u32 v6, v6, v3, 2
	ds_bpermute_b32 v5, v6, v5
	v_cmp_gt_u32_e32 vcc, 56, v4
	s_mov_b32 s0, 0xffff0000
	s_waitcnt lgkmcnt(0)
	s_barrier
	v_add_f16_e32 v6, v7, v5
	v_cndmask_b32_e64 v7, 0, 8, vcc
	v_and_or_b32 v5, v5, s0, v6
	v_add_lshl_u32 v7, v7, v3, 2
	ds_bpermute_b32 v5, v7, v5
	v_cmp_gt_u32_e32 vcc, 60, v4
	v_cndmask_b32_e64 v7, 0, 4, vcc
	v_add_lshl_u32 v7, v7, v3, 2
	v_cmp_gt_u32_e32 vcc, 62, v4
	s_waitcnt lgkmcnt(0)
	v_add_f16_e32 v6, v6, v5
	v_and_or_b32 v5, v5, s0, v6
	ds_bpermute_b32 v5, v7, v5
	v_cndmask_b32_e64 v7, 0, 2, vcc
	v_add_lshl_u32 v7, v7, v3, 2
	v_cmp_ne_u32_e32 vcc, 63, v4
	v_addc_co_u32_e32 v4, vcc, 0, v3, vcc
	s_waitcnt lgkmcnt(0)
	v_add_f16_e32 v6, v6, v5
	v_and_or_b32 v5, v5, s0, v6
	ds_bpermute_b32 v5, v7, v5
	v_lshlrev_b32_e32 v4, 2, v4
	v_cmp_eq_u32_e32 vcc, 0, v0
	s_waitcnt lgkmcnt(0)
	v_add_f16_e32 v3, v6, v5
	v_and_or_b32 v5, v5, s0, v3
	ds_bpermute_b32 v4, v4, v5
	s_and_b64 exec, exec, vcc
	s_cbranch_execz .LBB183_7
; %bb.6:
	v_lshlrev_b64 v[0:1], 1, v[1:2]
	v_mov_b32_e32 v2, s7
	v_add_co_u32_e32 v0, vcc, s6, v0
	v_addc_co_u32_e32 v1, vcc, v2, v1, vcc
	s_waitcnt lgkmcnt(0)
	v_add_f16_e32 v2, v3, v4
	global_store_short v[0:1], v2, off
.LBB183_7:
	s_endpgm
	.section	.rodata,"a",@progbits
	.p2align	6, 0x0
	.amdhsa_kernel _ZL28rocblas_dot_batched_4_kernelIiLi32ELi4ELb1EDF16_DF16_PKPKDF16_EviT5_lT_lS4_lS5_liPT4_
		.amdhsa_group_segment_fixed_size 0
		.amdhsa_private_segment_fixed_size 0
		.amdhsa_kernarg_size 88
		.amdhsa_user_sgpr_count 6
		.amdhsa_user_sgpr_private_segment_buffer 1
		.amdhsa_user_sgpr_dispatch_ptr 0
		.amdhsa_user_sgpr_queue_ptr 0
		.amdhsa_user_sgpr_kernarg_segment_ptr 1
		.amdhsa_user_sgpr_dispatch_id 0
		.amdhsa_user_sgpr_flat_scratch_init 0
		.amdhsa_user_sgpr_private_segment_size 0
		.amdhsa_uses_dynamic_stack 0
		.amdhsa_system_sgpr_private_segment_wavefront_offset 0
		.amdhsa_system_sgpr_workgroup_id_x 1
		.amdhsa_system_sgpr_workgroup_id_y 0
		.amdhsa_system_sgpr_workgroup_id_z 0
		.amdhsa_system_sgpr_workgroup_info 0
		.amdhsa_system_vgpr_workitem_id 1
		.amdhsa_next_free_vgpr 16
		.amdhsa_next_free_sgpr 18
		.amdhsa_reserve_vcc 1
		.amdhsa_reserve_flat_scratch 0
		.amdhsa_float_round_mode_32 0
		.amdhsa_float_round_mode_16_64 0
		.amdhsa_float_denorm_mode_32 3
		.amdhsa_float_denorm_mode_16_64 3
		.amdhsa_dx10_clamp 1
		.amdhsa_ieee_mode 1
		.amdhsa_fp16_overflow 0
		.amdhsa_exception_fp_ieee_invalid_op 0
		.amdhsa_exception_fp_denorm_src 0
		.amdhsa_exception_fp_ieee_div_zero 0
		.amdhsa_exception_fp_ieee_overflow 0
		.amdhsa_exception_fp_ieee_underflow 0
		.amdhsa_exception_fp_ieee_inexact 0
		.amdhsa_exception_int_div_zero 0
	.end_amdhsa_kernel
	.section	.text._ZL28rocblas_dot_batched_4_kernelIiLi32ELi4ELb1EDF16_DF16_PKPKDF16_EviT5_lT_lS4_lS5_liPT4_,"axG",@progbits,_ZL28rocblas_dot_batched_4_kernelIiLi32ELi4ELb1EDF16_DF16_PKPKDF16_EviT5_lT_lS4_lS5_liPT4_,comdat
.Lfunc_end183:
	.size	_ZL28rocblas_dot_batched_4_kernelIiLi32ELi4ELb1EDF16_DF16_PKPKDF16_EviT5_lT_lS4_lS5_liPT4_, .Lfunc_end183-_ZL28rocblas_dot_batched_4_kernelIiLi32ELi4ELb1EDF16_DF16_PKPKDF16_EviT5_lT_lS4_lS5_liPT4_
                                        ; -- End function
	.set _ZL28rocblas_dot_batched_4_kernelIiLi32ELi4ELb1EDF16_DF16_PKPKDF16_EviT5_lT_lS4_lS5_liPT4_.num_vgpr, 16
	.set _ZL28rocblas_dot_batched_4_kernelIiLi32ELi4ELb1EDF16_DF16_PKPKDF16_EviT5_lT_lS4_lS5_liPT4_.num_agpr, 0
	.set _ZL28rocblas_dot_batched_4_kernelIiLi32ELi4ELb1EDF16_DF16_PKPKDF16_EviT5_lT_lS4_lS5_liPT4_.numbered_sgpr, 18
	.set _ZL28rocblas_dot_batched_4_kernelIiLi32ELi4ELb1EDF16_DF16_PKPKDF16_EviT5_lT_lS4_lS5_liPT4_.num_named_barrier, 0
	.set _ZL28rocblas_dot_batched_4_kernelIiLi32ELi4ELb1EDF16_DF16_PKPKDF16_EviT5_lT_lS4_lS5_liPT4_.private_seg_size, 0
	.set _ZL28rocblas_dot_batched_4_kernelIiLi32ELi4ELb1EDF16_DF16_PKPKDF16_EviT5_lT_lS4_lS5_liPT4_.uses_vcc, 1
	.set _ZL28rocblas_dot_batched_4_kernelIiLi32ELi4ELb1EDF16_DF16_PKPKDF16_EviT5_lT_lS4_lS5_liPT4_.uses_flat_scratch, 0
	.set _ZL28rocblas_dot_batched_4_kernelIiLi32ELi4ELb1EDF16_DF16_PKPKDF16_EviT5_lT_lS4_lS5_liPT4_.has_dyn_sized_stack, 0
	.set _ZL28rocblas_dot_batched_4_kernelIiLi32ELi4ELb1EDF16_DF16_PKPKDF16_EviT5_lT_lS4_lS5_liPT4_.has_recursion, 0
	.set _ZL28rocblas_dot_batched_4_kernelIiLi32ELi4ELb1EDF16_DF16_PKPKDF16_EviT5_lT_lS4_lS5_liPT4_.has_indirect_call, 0
	.section	.AMDGPU.csdata,"",@progbits
; Kernel info:
; codeLenInByte = 644
; TotalNumSgprs: 22
; NumVgprs: 16
; ScratchSize: 0
; MemoryBound: 0
; FloatMode: 240
; IeeeMode: 1
; LDSByteSize: 0 bytes/workgroup (compile time only)
; SGPRBlocks: 2
; VGPRBlocks: 3
; NumSGPRsForWavesPerEU: 22
; NumVGPRsForWavesPerEU: 16
; Occupancy: 10
; WaveLimiterHint : 0
; COMPUTE_PGM_RSRC2:SCRATCH_EN: 0
; COMPUTE_PGM_RSRC2:USER_SGPR: 6
; COMPUTE_PGM_RSRC2:TRAP_HANDLER: 0
; COMPUTE_PGM_RSRC2:TGID_X_EN: 1
; COMPUTE_PGM_RSRC2:TGID_Y_EN: 0
; COMPUTE_PGM_RSRC2:TGID_Z_EN: 0
; COMPUTE_PGM_RSRC2:TIDIG_COMP_CNT: 1
	.section	.text._ZL28rocblas_dot_batched_4_kernelIiLi64ELi4ELb1EDF16_DF16_PKPKDF16_EviT5_lT_lS4_lS5_liPT4_,"axG",@progbits,_ZL28rocblas_dot_batched_4_kernelIiLi64ELi4ELb1EDF16_DF16_PKPKDF16_EviT5_lT_lS4_lS5_liPT4_,comdat
	.globl	_ZL28rocblas_dot_batched_4_kernelIiLi64ELi4ELb1EDF16_DF16_PKPKDF16_EviT5_lT_lS4_lS5_liPT4_ ; -- Begin function _ZL28rocblas_dot_batched_4_kernelIiLi64ELi4ELb1EDF16_DF16_PKPKDF16_EviT5_lT_lS4_lS5_liPT4_
	.p2align	8
	.type	_ZL28rocblas_dot_batched_4_kernelIiLi64ELi4ELb1EDF16_DF16_PKPKDF16_EviT5_lT_lS4_lS5_liPT4_,@function
_ZL28rocblas_dot_batched_4_kernelIiLi64ELi4ELb1EDF16_DF16_PKPKDF16_EviT5_lT_lS4_lS5_liPT4_: ; @_ZL28rocblas_dot_batched_4_kernelIiLi64ELi4ELb1EDF16_DF16_PKPKDF16_EviT5_lT_lS4_lS5_liPT4_
; %bb.0:
	s_load_dword s0, s[4:5], 0x48
	v_lshl_add_u32 v1, s6, 2, v1
	s_waitcnt lgkmcnt(0)
	v_cmp_gt_u32_e32 vcc, s0, v1
	s_and_saveexec_b64 s[0:1], vcc
	s_cbranch_execz .LBB184_7
; %bb.1:
	s_load_dword s14, s[4:5], 0x0
	s_load_dwordx2 s[6:7], s[4:5], 0x50
	v_mov_b32_e32 v2, 0
	v_mov_b32_e32 v7, v2
	s_waitcnt lgkmcnt(0)
	v_cmp_gt_i32_e32 vcc, s14, v0
	s_and_saveexec_b64 s[12:13], vcc
	s_cbranch_execz .LBB184_5
; %bb.2:
	s_load_dwordx4 s[0:3], s[4:5], 0x8
	s_load_dwordx4 s[8:11], s[4:5], 0x28
	v_lshlrev_b64 v[3:4], 3, v[1:2]
	s_load_dword s16, s[4:5], 0x18
	s_waitcnt lgkmcnt(0)
	v_mov_b32_e32 v6, s1
	v_add_co_u32_e32 v5, vcc, s0, v3
	v_addc_co_u32_e32 v6, vcc, v6, v4, vcc
	global_load_dwordx2 v[5:6], v[5:6], off
	v_mov_b32_e32 v7, s9
	v_add_co_u32_e32 v3, vcc, s8, v3
	v_addc_co_u32_e32 v4, vcc, v7, v4, vcc
	global_load_dwordx2 v[8:9], v[3:4], off
	s_load_dword s0, s[4:5], 0x38
	v_mad_i64_i32 v[3:4], s[8:9], s16, v0, 0
	s_lshl_b64 s[18:19], s[2:3], 1
	v_mov_b32_e32 v12, s19
	s_waitcnt lgkmcnt(0)
	v_mad_i64_i32 v[10:11], s[2:3], s0, v0, 0
	v_lshlrev_b64 v[3:4], 1, v[3:4]
	s_lshl_b64 s[10:11], s[10:11], 1
	v_lshlrev_b64 v[10:11], 1, v[10:11]
	v_add_co_u32_e32 v3, vcc, s18, v3
	v_addc_co_u32_e32 v4, vcc, v4, v12, vcc
	v_mov_b32_e32 v13, s11
	v_add_co_u32_e32 v10, vcc, s10, v10
	v_addc_co_u32_e32 v11, vcc, v11, v13, vcc
	s_ashr_i32 s17, s16, 31
	s_ashr_i32 s1, s0, 31
	v_mov_b32_e32 v7, 0
	s_mov_b64 s[4:5], 0
	s_lshl_b64 s[2:3], s[16:17], 7
	s_lshl_b64 s[8:9], s[0:1], 7
	s_waitcnt vmcnt(1)
	v_add_co_u32_e32 v3, vcc, v5, v3
	v_addc_co_u32_e32 v4, vcc, v6, v4, vcc
	s_waitcnt vmcnt(0)
	v_add_co_u32_e32 v5, vcc, v8, v10
	v_addc_co_u32_e32 v6, vcc, v9, v11, vcc
	v_mov_b32_e32 v8, v0
.LBB184_3:                              ; =>This Inner Loop Header: Depth=1
	flat_load_ushort v9, v[3:4]
	flat_load_ushort v10, v[5:6]
	v_mov_b32_e32 v12, s9
	v_add_co_u32_e32 v5, vcc, s8, v5
	v_add_u32_e32 v8, 64, v8
	v_addc_co_u32_e32 v6, vcc, v6, v12, vcc
	v_mov_b32_e32 v11, s3
	v_add_co_u32_e64 v3, s[0:1], s2, v3
	v_cmp_le_i32_e32 vcc, s14, v8
	v_addc_co_u32_e64 v4, s[0:1], v4, v11, s[0:1]
	s_or_b64 s[4:5], vcc, s[4:5]
	s_waitcnt vmcnt(0) lgkmcnt(0)
	v_fma_f16 v7, v9, v10, v7
	s_andn2_b64 exec, exec, s[4:5]
	s_cbranch_execnz .LBB184_3
; %bb.4:
	s_or_b64 exec, exec, s[4:5]
.LBB184_5:
	s_or_b64 exec, exec, s[12:13]
	v_mbcnt_lo_u32_b32 v3, -1, 0
	v_mbcnt_hi_u32_b32 v3, -1, v3
	v_mov_b32_e32 v5, 0x80
	v_and_b32_e32 v4, 0xffff, v7
	v_lshl_or_b32 v5, v3, 2, v5
	ds_bpermute_b32 v4, v5, v4
	v_and_b32_e32 v5, 63, v3
	v_cmp_gt_u32_e32 vcc, 48, v5
	s_mov_b32 s0, 0xffff0000
	s_waitcnt lgkmcnt(0)
	v_add_f16_e32 v6, v7, v4
	v_cndmask_b32_e64 v7, 0, 16, vcc
	v_and_or_b32 v4, v4, s0, v6
	v_add_lshl_u32 v7, v7, v3, 2
	ds_bpermute_b32 v4, v7, v4
	v_cmp_gt_u32_e32 vcc, 56, v5
	v_cndmask_b32_e64 v7, 0, 8, vcc
	v_add_lshl_u32 v7, v7, v3, 2
	v_cmp_gt_u32_e32 vcc, 60, v5
	s_waitcnt lgkmcnt(0)
	v_add_f16_e32 v6, v6, v4
	v_and_or_b32 v4, v4, s0, v6
	ds_bpermute_b32 v4, v7, v4
	v_cndmask_b32_e64 v7, 0, 4, vcc
	v_add_lshl_u32 v7, v7, v3, 2
	v_cmp_gt_u32_e32 vcc, 62, v5
	s_waitcnt lgkmcnt(0)
	s_barrier
	v_add_f16_e32 v6, v6, v4
	v_and_or_b32 v4, v4, s0, v6
	ds_bpermute_b32 v4, v7, v4
	v_cndmask_b32_e64 v7, 0, 2, vcc
	v_add_lshl_u32 v7, v7, v3, 2
	v_cmp_ne_u32_e32 vcc, 63, v5
	v_addc_co_u32_e32 v5, vcc, 0, v3, vcc
	s_waitcnt lgkmcnt(0)
	v_add_f16_e32 v6, v6, v4
	v_and_or_b32 v4, v4, s0, v6
	ds_bpermute_b32 v4, v7, v4
	v_lshlrev_b32_e32 v5, 2, v5
	v_cmp_eq_u32_e32 vcc, 0, v0
	s_waitcnt lgkmcnt(0)
	v_add_f16_e32 v3, v6, v4
	v_and_or_b32 v4, v4, s0, v3
	ds_bpermute_b32 v4, v5, v4
	s_and_b64 exec, exec, vcc
	s_cbranch_execz .LBB184_7
; %bb.6:
	v_lshlrev_b64 v[0:1], 1, v[1:2]
	v_mov_b32_e32 v2, s7
	v_add_co_u32_e32 v0, vcc, s6, v0
	v_addc_co_u32_e32 v1, vcc, v2, v1, vcc
	s_waitcnt lgkmcnt(0)
	v_add_f16_e32 v2, v3, v4
	global_store_short v[0:1], v2, off
.LBB184_7:
	s_endpgm
	.section	.rodata,"a",@progbits
	.p2align	6, 0x0
	.amdhsa_kernel _ZL28rocblas_dot_batched_4_kernelIiLi64ELi4ELb1EDF16_DF16_PKPKDF16_EviT5_lT_lS4_lS5_liPT4_
		.amdhsa_group_segment_fixed_size 0
		.amdhsa_private_segment_fixed_size 0
		.amdhsa_kernarg_size 88
		.amdhsa_user_sgpr_count 6
		.amdhsa_user_sgpr_private_segment_buffer 1
		.amdhsa_user_sgpr_dispatch_ptr 0
		.amdhsa_user_sgpr_queue_ptr 0
		.amdhsa_user_sgpr_kernarg_segment_ptr 1
		.amdhsa_user_sgpr_dispatch_id 0
		.amdhsa_user_sgpr_flat_scratch_init 0
		.amdhsa_user_sgpr_private_segment_size 0
		.amdhsa_uses_dynamic_stack 0
		.amdhsa_system_sgpr_private_segment_wavefront_offset 0
		.amdhsa_system_sgpr_workgroup_id_x 1
		.amdhsa_system_sgpr_workgroup_id_y 0
		.amdhsa_system_sgpr_workgroup_id_z 0
		.amdhsa_system_sgpr_workgroup_info 0
		.amdhsa_system_vgpr_workitem_id 1
		.amdhsa_next_free_vgpr 14
		.amdhsa_next_free_sgpr 20
		.amdhsa_reserve_vcc 1
		.amdhsa_reserve_flat_scratch 0
		.amdhsa_float_round_mode_32 0
		.amdhsa_float_round_mode_16_64 0
		.amdhsa_float_denorm_mode_32 3
		.amdhsa_float_denorm_mode_16_64 3
		.amdhsa_dx10_clamp 1
		.amdhsa_ieee_mode 1
		.amdhsa_fp16_overflow 0
		.amdhsa_exception_fp_ieee_invalid_op 0
		.amdhsa_exception_fp_denorm_src 0
		.amdhsa_exception_fp_ieee_div_zero 0
		.amdhsa_exception_fp_ieee_overflow 0
		.amdhsa_exception_fp_ieee_underflow 0
		.amdhsa_exception_fp_ieee_inexact 0
		.amdhsa_exception_int_div_zero 0
	.end_amdhsa_kernel
	.section	.text._ZL28rocblas_dot_batched_4_kernelIiLi64ELi4ELb1EDF16_DF16_PKPKDF16_EviT5_lT_lS4_lS5_liPT4_,"axG",@progbits,_ZL28rocblas_dot_batched_4_kernelIiLi64ELi4ELb1EDF16_DF16_PKPKDF16_EviT5_lT_lS4_lS5_liPT4_,comdat
.Lfunc_end184:
	.size	_ZL28rocblas_dot_batched_4_kernelIiLi64ELi4ELb1EDF16_DF16_PKPKDF16_EviT5_lT_lS4_lS5_liPT4_, .Lfunc_end184-_ZL28rocblas_dot_batched_4_kernelIiLi64ELi4ELb1EDF16_DF16_PKPKDF16_EviT5_lT_lS4_lS5_liPT4_
                                        ; -- End function
	.set _ZL28rocblas_dot_batched_4_kernelIiLi64ELi4ELb1EDF16_DF16_PKPKDF16_EviT5_lT_lS4_lS5_liPT4_.num_vgpr, 14
	.set _ZL28rocblas_dot_batched_4_kernelIiLi64ELi4ELb1EDF16_DF16_PKPKDF16_EviT5_lT_lS4_lS5_liPT4_.num_agpr, 0
	.set _ZL28rocblas_dot_batched_4_kernelIiLi64ELi4ELb1EDF16_DF16_PKPKDF16_EviT5_lT_lS4_lS5_liPT4_.numbered_sgpr, 20
	.set _ZL28rocblas_dot_batched_4_kernelIiLi64ELi4ELb1EDF16_DF16_PKPKDF16_EviT5_lT_lS4_lS5_liPT4_.num_named_barrier, 0
	.set _ZL28rocblas_dot_batched_4_kernelIiLi64ELi4ELb1EDF16_DF16_PKPKDF16_EviT5_lT_lS4_lS5_liPT4_.private_seg_size, 0
	.set _ZL28rocblas_dot_batched_4_kernelIiLi64ELi4ELb1EDF16_DF16_PKPKDF16_EviT5_lT_lS4_lS5_liPT4_.uses_vcc, 1
	.set _ZL28rocblas_dot_batched_4_kernelIiLi64ELi4ELb1EDF16_DF16_PKPKDF16_EviT5_lT_lS4_lS5_liPT4_.uses_flat_scratch, 0
	.set _ZL28rocblas_dot_batched_4_kernelIiLi64ELi4ELb1EDF16_DF16_PKPKDF16_EviT5_lT_lS4_lS5_liPT4_.has_dyn_sized_stack, 0
	.set _ZL28rocblas_dot_batched_4_kernelIiLi64ELi4ELb1EDF16_DF16_PKPKDF16_EviT5_lT_lS4_lS5_liPT4_.has_recursion, 0
	.set _ZL28rocblas_dot_batched_4_kernelIiLi64ELi4ELb1EDF16_DF16_PKPKDF16_EviT5_lT_lS4_lS5_liPT4_.has_indirect_call, 0
	.section	.AMDGPU.csdata,"",@progbits
; Kernel info:
; codeLenInByte = 692
; TotalNumSgprs: 24
; NumVgprs: 14
; ScratchSize: 0
; MemoryBound: 0
; FloatMode: 240
; IeeeMode: 1
; LDSByteSize: 0 bytes/workgroup (compile time only)
; SGPRBlocks: 2
; VGPRBlocks: 3
; NumSGPRsForWavesPerEU: 24
; NumVGPRsForWavesPerEU: 14
; Occupancy: 10
; WaveLimiterHint : 0
; COMPUTE_PGM_RSRC2:SCRATCH_EN: 0
; COMPUTE_PGM_RSRC2:USER_SGPR: 6
; COMPUTE_PGM_RSRC2:TRAP_HANDLER: 0
; COMPUTE_PGM_RSRC2:TGID_X_EN: 1
; COMPUTE_PGM_RSRC2:TGID_Y_EN: 0
; COMPUTE_PGM_RSRC2:TGID_Z_EN: 0
; COMPUTE_PGM_RSRC2:TIDIG_COMP_CNT: 1
	.section	.text._ZL26rocblas_dot_kernel_inc1by2ILb1ELi1024ELi32ELb1EDF16_PKPKDF16_DF16_EviT4_llS4_lliPT5_PT3_,"axG",@progbits,_ZL26rocblas_dot_kernel_inc1by2ILb1ELi1024ELi32ELb1EDF16_PKPKDF16_DF16_EviT4_llS4_lliPT5_PT3_,comdat
	.globl	_ZL26rocblas_dot_kernel_inc1by2ILb1ELi1024ELi32ELb1EDF16_PKPKDF16_DF16_EviT4_llS4_lliPT5_PT3_ ; -- Begin function _ZL26rocblas_dot_kernel_inc1by2ILb1ELi1024ELi32ELb1EDF16_PKPKDF16_DF16_EviT4_llS4_lliPT5_PT3_
	.p2align	8
	.type	_ZL26rocblas_dot_kernel_inc1by2ILb1ELi1024ELi32ELb1EDF16_PKPKDF16_DF16_EviT4_llS4_lliPT5_PT3_,@function
_ZL26rocblas_dot_kernel_inc1by2ILb1ELi1024ELi32ELb1EDF16_PKPKDF16_DF16_EviT4_llS4_lliPT5_PT3_: ; @_ZL26rocblas_dot_kernel_inc1by2ILb1ELi1024ELi32ELb1EDF16_PKPKDF16_DF16_EviT4_llS4_lliPT5_PT3_
; %bb.0:
	s_load_dword s20, s[4:5], 0x0
	s_load_dwordx4 s[0:3], s[4:5], 0x8
	s_load_dwordx2 s[12:13], s[4:5], 0x48
	s_load_dwordx4 s[8:11], s[4:5], 0x20
	s_mov_b32 s6, s7
	s_mov_b32 s7, 0
	s_lshl_b64 s[14:15], s[6:7], 3
	s_waitcnt lgkmcnt(0)
	s_add_u32 s0, s0, s14
	s_addc_u32 s1, s1, s15
	s_load_dwordx2 s[4:5], s[0:1], 0x0
	s_add_u32 s0, s8, s14
	s_addc_u32 s1, s9, s15
	s_load_dwordx2 s[14:15], s[0:1], 0x0
	v_lshlrev_b32_e32 v6, 1, v0
	s_add_i32 s8, s20, -1
	v_cmp_gt_i32_e32 vcc, s8, v6
	v_mov_b32_e32 v5, 0
	s_and_saveexec_b64 s[16:17], vcc
	s_cbranch_execz .LBB185_4
; %bb.1:
	s_lshl_b64 s[0:1], s[10:11], 1
	s_waitcnt lgkmcnt(0)
	s_add_u32 s0, s14, s0
	v_lshlrev_b32_e32 v3, 2, v0
	s_addc_u32 s1, s15, s1
	v_mov_b32_e32 v2, s1
	v_add_co_u32_e32 v1, vcc, s0, v3
	s_lshl_b64 s[0:1], s[2:3], 1
	s_add_u32 s0, s4, s0
	v_addc_co_u32_e32 v2, vcc, 0, v2, vcc
	s_addc_u32 s1, s5, s1
	v_mov_b32_e32 v4, s1
	v_add_co_u32_e32 v3, vcc, s0, v3
	v_mov_b32_e32 v5, 0
	v_addc_co_u32_e32 v4, vcc, 0, v4, vcc
	s_mov_b64 s[18:19], 0
	s_mov_b32 s9, s7
.LBB185_2:                              ; =>This Inner Loop Header: Depth=1
	flat_load_dword v7, v[1:2]
	flat_load_dword v8, v[3:4]
	s_add_i32 s21, s9, 1
	v_add_u32_e32 v6, 0x800, v6
	s_cmp_gt_u32 s9, 30
	v_add_co_u32_e32 v1, vcc, 0x1000, v1
	v_cmp_le_i32_e64 s[0:1], s8, v6
	s_cselect_b64 s[22:23], -1, 0
	v_addc_co_u32_e32 v2, vcc, 0, v2, vcc
	s_or_b64 s[0:1], s[22:23], s[0:1]
	v_add_co_u32_e32 v3, vcc, 0x1000, v3
	s_and_b64 s[0:1], exec, s[0:1]
	s_mov_b32 s9, s21
	v_addc_co_u32_e32 v4, vcc, 0, v4, vcc
	s_or_b64 s[18:19], s[0:1], s[18:19]
	s_waitcnt vmcnt(0) lgkmcnt(0)
	v_pk_mul_f16 v7, v7, v8
	v_add_f16_e32 v5, v5, v7
	v_add_f16_sdwa v5, v5, v7 dst_sel:DWORD dst_unused:UNUSED_PAD src0_sel:DWORD src1_sel:WORD_1
	s_andn2_b64 exec, exec, s[18:19]
	s_cbranch_execnz .LBB185_2
; %bb.3:
	s_or_b64 exec, exec, s[18:19]
.LBB185_4:
	s_or_b64 exec, exec, s[16:17]
	s_bitcmp1_b32 s20, 0
	s_cselect_b64 s[0:1], -1, 0
	v_cmp_eq_u32_e32 vcc, s8, v6
	s_and_b64 s[16:17], s[0:1], vcc
	s_and_saveexec_b64 s[0:1], s[16:17]
	s_cbranch_execz .LBB185_6
; %bb.5:
	s_lshl_b64 s[2:3], s[2:3], 1
	s_waitcnt lgkmcnt(0)
	s_add_u32 s4, s4, s2
	s_addc_u32 s5, s5, s3
	s_lshl_b64 s[2:3], s[10:11], 1
	s_add_u32 s10, s14, s2
	s_mov_b32 s9, 0
	s_addc_u32 s11, s15, s3
	s_lshl_b64 s[2:3], s[8:9], 1
	s_add_u32 s4, s4, s2
	s_addc_u32 s5, s5, s3
	s_add_u32 s2, s10, s2
	s_addc_u32 s3, s11, s3
	v_mov_b32_e32 v1, s2
	v_mov_b32_e32 v2, s3
	flat_load_ushort v3, v[1:2]
	v_mov_b32_e32 v1, s4
	v_mov_b32_e32 v2, s5
	flat_load_ushort v1, v[1:2]
	s_waitcnt vmcnt(0) lgkmcnt(0)
	v_fma_f16 v5, v3, v1, v5
.LBB185_6:
	s_or_b64 exec, exec, s[0:1]
	v_and_b32_e32 v3, 63, v0
	v_cmp_gt_u32_e32 vcc, 64, v0
	v_lshlrev_b32_e32 v1, 1, v3
	s_and_saveexec_b64 s[0:1], vcc
; %bb.7:
	v_mov_b32_e32 v2, 0
	ds_write_b16 v1, v2
; %bb.8:
	s_or_b64 exec, exec, s[0:1]
	v_mbcnt_lo_u32_b32 v2, -1, 0
	v_mbcnt_hi_u32_b32 v6, -1, v2
	v_mov_b32_e32 v4, 0x80
	v_and_b32_e32 v2, 0xffff, v5
	v_lshl_or_b32 v4, v6, 2, v4
	ds_bpermute_b32 v2, v4, v2
	v_and_b32_e32 v7, 63, v6
	v_cmp_gt_u32_e64 s[0:1], 48, v7
	s_mov_b32 s2, 0xffff0000
	s_waitcnt lgkmcnt(0)
	v_add_f16_e32 v4, v5, v2
	v_cndmask_b32_e64 v5, 0, 16, s[0:1]
	v_and_or_b32 v2, v2, s2, v4
	v_add_lshl_u32 v5, v5, v6, 2
	ds_bpermute_b32 v2, v5, v2
	v_cmp_gt_u32_e64 s[0:1], 56, v7
	s_waitcnt lgkmcnt(0)
	s_barrier
	v_add_f16_e32 v4, v4, v2
	v_and_or_b32 v5, v2, s2, v4
	v_cndmask_b32_e64 v2, 0, 8, s[0:1]
	v_add_lshl_u32 v2, v2, v6, 2
	ds_bpermute_b32 v5, v2, v5
	v_cmp_gt_u32_e64 s[0:1], 60, v7
	v_cndmask_b32_e64 v8, 0, 4, s[0:1]
	v_cmp_gt_u32_e64 s[0:1], 62, v7
	s_waitcnt lgkmcnt(0)
	v_add_f16_e32 v9, v4, v5
	v_and_or_b32 v5, v5, s2, v9
	v_add_lshl_u32 v4, v8, v6, 2
	ds_bpermute_b32 v8, v4, v5
	v_cndmask_b32_e64 v5, 0, 2, s[0:1]
	v_add_lshl_u32 v5, v5, v6, 2
	v_cmp_ne_u32_e64 s[0:1], 63, v7
	v_addc_co_u32_e64 v6, s[0:1], 0, v6, s[0:1]
	s_waitcnt lgkmcnt(0)
	v_add_f16_e32 v9, v9, v8
	v_and_or_b32 v8, v8, s2, v9
	ds_bpermute_b32 v8, v5, v8
	v_lshlrev_b32_e32 v6, 2, v6
	v_cmp_eq_u32_e64 s[0:1], 0, v3
	s_waitcnt lgkmcnt(0)
	v_add_f16_e32 v7, v9, v8
	v_and_or_b32 v8, v8, s2, v7
	ds_bpermute_b32 v8, v6, v8
	s_and_saveexec_b64 s[2:3], s[0:1]
	s_cbranch_execz .LBB185_10
; %bb.9:
	s_waitcnt lgkmcnt(0)
	v_add_f16_e32 v3, v7, v8
	v_lshrrev_b32_e32 v7, 5, v0
	v_and_b32_e32 v7, 30, v7
	ds_write_b16 v7, v3
.LBB185_10:
	s_or_b64 exec, exec, s[2:3]
	v_cmp_gt_u32_e64 s[0:1], 16, v0
	v_mov_b32_e32 v3, 0
	s_waitcnt lgkmcnt(0)
	s_barrier
	s_and_saveexec_b64 s[2:3], s[0:1]
	s_cbranch_execnz .LBB185_14
; %bb.11:
	s_or_b64 exec, exec, s[2:3]
	s_and_saveexec_b64 s[0:1], vcc
	s_cbranch_execnz .LBB185_15
.LBB185_12:
	s_or_b64 exec, exec, s[0:1]
	v_cmp_eq_u32_e32 vcc, 0, v0
	s_and_saveexec_b64 s[0:1], vcc
	s_cbranch_execnz .LBB185_16
.LBB185_13:
	s_endpgm
.LBB185_14:
	ds_read_u16 v3, v1
	s_or_b64 exec, exec, s[2:3]
	s_and_saveexec_b64 s[0:1], vcc
	s_cbranch_execz .LBB185_12
.LBB185_15:
	s_waitcnt lgkmcnt(0)
	v_and_b32_e32 v1, 0xffff, v3
	ds_bpermute_b32 v1, v2, v1
	s_mov_b32 s2, 0xffff0000
	s_waitcnt lgkmcnt(0)
	v_add_f16_e32 v2, v3, v1
	v_and_or_b32 v1, v1, s2, v2
	ds_bpermute_b32 v1, v4, v1
	s_waitcnt lgkmcnt(0)
	v_add_f16_e32 v2, v2, v1
	v_and_or_b32 v1, v1, s2, v2
	ds_bpermute_b32 v1, v5, v1
	;; [unrolled: 4-line block ×3, first 2 shown]
	s_waitcnt lgkmcnt(0)
	v_add_f16_e32 v3, v2, v1
	s_or_b64 exec, exec, s[0:1]
	v_cmp_eq_u32_e32 vcc, 0, v0
	s_and_saveexec_b64 s[0:1], vcc
	s_cbranch_execz .LBB185_13
.LBB185_16:
	s_lshl_b64 s[0:1], s[6:7], 1
	s_add_u32 s0, s12, s0
	s_addc_u32 s1, s13, s1
	v_mov_b32_e32 v0, 0
	s_waitcnt lgkmcnt(0)
	global_store_short v0, v3, s[0:1]
	s_endpgm
	.section	.rodata,"a",@progbits
	.p2align	6, 0x0
	.amdhsa_kernel _ZL26rocblas_dot_kernel_inc1by2ILb1ELi1024ELi32ELb1EDF16_PKPKDF16_DF16_EviT4_llS4_lliPT5_PT3_
		.amdhsa_group_segment_fixed_size 128
		.amdhsa_private_segment_fixed_size 0
		.amdhsa_kernarg_size 80
		.amdhsa_user_sgpr_count 6
		.amdhsa_user_sgpr_private_segment_buffer 1
		.amdhsa_user_sgpr_dispatch_ptr 0
		.amdhsa_user_sgpr_queue_ptr 0
		.amdhsa_user_sgpr_kernarg_segment_ptr 1
		.amdhsa_user_sgpr_dispatch_id 0
		.amdhsa_user_sgpr_flat_scratch_init 0
		.amdhsa_user_sgpr_private_segment_size 0
		.amdhsa_uses_dynamic_stack 0
		.amdhsa_system_sgpr_private_segment_wavefront_offset 0
		.amdhsa_system_sgpr_workgroup_id_x 1
		.amdhsa_system_sgpr_workgroup_id_y 0
		.amdhsa_system_sgpr_workgroup_id_z 1
		.amdhsa_system_sgpr_workgroup_info 0
		.amdhsa_system_vgpr_workitem_id 0
		.amdhsa_next_free_vgpr 10
		.amdhsa_next_free_sgpr 24
		.amdhsa_reserve_vcc 1
		.amdhsa_reserve_flat_scratch 0
		.amdhsa_float_round_mode_32 0
		.amdhsa_float_round_mode_16_64 0
		.amdhsa_float_denorm_mode_32 3
		.amdhsa_float_denorm_mode_16_64 3
		.amdhsa_dx10_clamp 1
		.amdhsa_ieee_mode 1
		.amdhsa_fp16_overflow 0
		.amdhsa_exception_fp_ieee_invalid_op 0
		.amdhsa_exception_fp_denorm_src 0
		.amdhsa_exception_fp_ieee_div_zero 0
		.amdhsa_exception_fp_ieee_overflow 0
		.amdhsa_exception_fp_ieee_underflow 0
		.amdhsa_exception_fp_ieee_inexact 0
		.amdhsa_exception_int_div_zero 0
	.end_amdhsa_kernel
	.section	.text._ZL26rocblas_dot_kernel_inc1by2ILb1ELi1024ELi32ELb1EDF16_PKPKDF16_DF16_EviT4_llS4_lliPT5_PT3_,"axG",@progbits,_ZL26rocblas_dot_kernel_inc1by2ILb1ELi1024ELi32ELb1EDF16_PKPKDF16_DF16_EviT4_llS4_lliPT5_PT3_,comdat
.Lfunc_end185:
	.size	_ZL26rocblas_dot_kernel_inc1by2ILb1ELi1024ELi32ELb1EDF16_PKPKDF16_DF16_EviT4_llS4_lliPT5_PT3_, .Lfunc_end185-_ZL26rocblas_dot_kernel_inc1by2ILb1ELi1024ELi32ELb1EDF16_PKPKDF16_DF16_EviT4_llS4_lliPT5_PT3_
                                        ; -- End function
	.set _ZL26rocblas_dot_kernel_inc1by2ILb1ELi1024ELi32ELb1EDF16_PKPKDF16_DF16_EviT4_llS4_lliPT5_PT3_.num_vgpr, 10
	.set _ZL26rocblas_dot_kernel_inc1by2ILb1ELi1024ELi32ELb1EDF16_PKPKDF16_DF16_EviT4_llS4_lliPT5_PT3_.num_agpr, 0
	.set _ZL26rocblas_dot_kernel_inc1by2ILb1ELi1024ELi32ELb1EDF16_PKPKDF16_DF16_EviT4_llS4_lliPT5_PT3_.numbered_sgpr, 24
	.set _ZL26rocblas_dot_kernel_inc1by2ILb1ELi1024ELi32ELb1EDF16_PKPKDF16_DF16_EviT4_llS4_lliPT5_PT3_.num_named_barrier, 0
	.set _ZL26rocblas_dot_kernel_inc1by2ILb1ELi1024ELi32ELb1EDF16_PKPKDF16_DF16_EviT4_llS4_lliPT5_PT3_.private_seg_size, 0
	.set _ZL26rocblas_dot_kernel_inc1by2ILb1ELi1024ELi32ELb1EDF16_PKPKDF16_DF16_EviT4_llS4_lliPT5_PT3_.uses_vcc, 1
	.set _ZL26rocblas_dot_kernel_inc1by2ILb1ELi1024ELi32ELb1EDF16_PKPKDF16_DF16_EviT4_llS4_lliPT5_PT3_.uses_flat_scratch, 0
	.set _ZL26rocblas_dot_kernel_inc1by2ILb1ELi1024ELi32ELb1EDF16_PKPKDF16_DF16_EviT4_llS4_lliPT5_PT3_.has_dyn_sized_stack, 0
	.set _ZL26rocblas_dot_kernel_inc1by2ILb1ELi1024ELi32ELb1EDF16_PKPKDF16_DF16_EviT4_llS4_lliPT5_PT3_.has_recursion, 0
	.set _ZL26rocblas_dot_kernel_inc1by2ILb1ELi1024ELi32ELb1EDF16_PKPKDF16_DF16_EviT4_llS4_lliPT5_PT3_.has_indirect_call, 0
	.section	.AMDGPU.csdata,"",@progbits
; Kernel info:
; codeLenInByte = 1032
; TotalNumSgprs: 28
; NumVgprs: 10
; ScratchSize: 0
; MemoryBound: 0
; FloatMode: 240
; IeeeMode: 1
; LDSByteSize: 128 bytes/workgroup (compile time only)
; SGPRBlocks: 3
; VGPRBlocks: 2
; NumSGPRsForWavesPerEU: 28
; NumVGPRsForWavesPerEU: 10
; Occupancy: 10
; WaveLimiterHint : 1
; COMPUTE_PGM_RSRC2:SCRATCH_EN: 0
; COMPUTE_PGM_RSRC2:USER_SGPR: 6
; COMPUTE_PGM_RSRC2:TRAP_HANDLER: 0
; COMPUTE_PGM_RSRC2:TGID_X_EN: 1
; COMPUTE_PGM_RSRC2:TGID_Y_EN: 0
; COMPUTE_PGM_RSRC2:TGID_Z_EN: 1
; COMPUTE_PGM_RSRC2:TIDIG_COMP_CNT: 0
	.section	.text._ZL18rocblas_dot_kernelIiLb1ELi1024ELi32ELb1EDF16_PKPKDF16_DF16_EviT5_lT_lS4_lS5_liPT6_PT4_,"axG",@progbits,_ZL18rocblas_dot_kernelIiLb1ELi1024ELi32ELb1EDF16_PKPKDF16_DF16_EviT5_lT_lS4_lS5_liPT6_PT4_,comdat
	.globl	_ZL18rocblas_dot_kernelIiLb1ELi1024ELi32ELb1EDF16_PKPKDF16_DF16_EviT5_lT_lS4_lS5_liPT6_PT4_ ; -- Begin function _ZL18rocblas_dot_kernelIiLb1ELi1024ELi32ELb1EDF16_PKPKDF16_DF16_EviT5_lT_lS4_lS5_liPT6_PT4_
	.p2align	8
	.type	_ZL18rocblas_dot_kernelIiLb1ELi1024ELi32ELb1EDF16_PKPKDF16_DF16_EviT5_lT_lS4_lS5_liPT6_PT4_,@function
_ZL18rocblas_dot_kernelIiLb1ELi1024ELi32ELb1EDF16_PKPKDF16_DF16_EviT5_lT_lS4_lS5_liPT6_PT4_: ; @_ZL18rocblas_dot_kernelIiLb1ELi1024ELi32ELb1EDF16_PKPKDF16_DF16_EviT5_lT_lS4_lS5_liPT6_PT4_
; %bb.0:
	s_load_dword s14, s[4:5], 0x0
	s_load_dwordx2 s[8:9], s[4:5], 0x58
	s_mov_b32 s6, s7
	s_mov_b32 s7, 0
	v_mov_b32_e32 v5, 0
	s_waitcnt lgkmcnt(0)
	v_cmp_gt_i32_e32 vcc, s14, v0
	s_and_saveexec_b64 s[10:11], vcc
	s_cbranch_execz .LBB186_4
; %bb.1:
	s_load_dwordx4 s[16:19], s[4:5], 0x8
	s_load_dwordx4 s[0:3], s[4:5], 0x28
	s_load_dword s22, s[4:5], 0x18
	s_lshl_b64 s[12:13], s[6:7], 3
	s_waitcnt lgkmcnt(0)
	s_add_u32 s16, s16, s12
	s_addc_u32 s17, s17, s13
	s_load_dwordx2 s[20:21], s[16:17], 0x0
	s_load_dword s23, s[4:5], 0x38
	s_load_dword s15, s[4:5], 0x60
	v_mad_i64_i32 v[1:2], s[4:5], s22, v0, 0
	s_add_u32 s0, s0, s12
	s_addc_u32 s1, s1, s13
	s_waitcnt lgkmcnt(0)
	s_lshl_b32 s15, s15, 10
	s_lshl_b64 s[4:5], s[18:19], 1
	v_lshlrev_b64 v[1:2], 1, v[1:2]
	s_add_u32 s4, s20, s4
	s_addc_u32 s5, s21, s5
	s_load_dwordx2 s[0:1], s[0:1], 0x0
	v_mov_b32_e32 v3, s5
	v_add_co_u32_e32 v1, vcc, s4, v1
	v_addc_co_u32_e32 v2, vcc, v3, v2, vcc
	v_mad_i64_i32 v[3:4], s[4:5], s23, v0, 0
	s_mul_hi_i32 s5, s22, s15
	s_mul_i32 s4, s22, s15
	s_lshl_b64 s[4:5], s[4:5], 1
	s_lshl_b64 s[2:3], s[2:3], 1
	v_lshlrev_b64 v[3:4], 1, v[3:4]
	s_waitcnt lgkmcnt(0)
	s_add_u32 s0, s0, s2
	s_addc_u32 s1, s1, s3
	v_mov_b32_e32 v5, s1
	v_add_co_u32_e32 v3, vcc, s0, v3
	s_mul_hi_i32 s1, s23, s15
	s_mul_i32 s0, s23, s15
	s_lshl_b64 s[2:3], s[0:1], 1
	v_or_b32_e32 v6, s15, v0
	v_addc_co_u32_e32 v4, vcc, v5, v4, vcc
	v_mov_b32_e32 v5, 0
	s_mov_b64 s[12:13], 0
	v_mov_b32_e32 v7, s5
	v_mov_b32_e32 v8, s3
	s_mov_b32 s3, s7
.LBB186_2:                              ; =>This Inner Loop Header: Depth=1
	flat_load_ushort v9, v[3:4]
	flat_load_ushort v10, v[1:2]
	v_add_co_u32_e64 v1, s[0:1], s4, v1
	v_addc_co_u32_e64 v2, s[0:1], v2, v7, s[0:1]
	s_add_i32 s5, s3, 1
	v_add_co_u32_e64 v3, s[0:1], s2, v3
	v_addc_co_u32_e64 v4, s[0:1], v4, v8, s[0:1]
	s_cmp_gt_u32 s3, 30
	v_cmp_le_i32_e32 vcc, s14, v6
	s_cselect_b64 s[0:1], -1, 0
	s_or_b64 s[0:1], s[0:1], vcc
	s_and_b64 s[0:1], exec, s[0:1]
	v_add_u32_e32 v6, s15, v6
	s_mov_b32 s3, s5
	s_or_b64 s[12:13], s[0:1], s[12:13]
	s_waitcnt vmcnt(0) lgkmcnt(0)
	v_fma_f16 v5, v9, v10, v5
	s_andn2_b64 exec, exec, s[12:13]
	s_cbranch_execnz .LBB186_2
; %bb.3:
	s_or_b64 exec, exec, s[12:13]
.LBB186_4:
	s_or_b64 exec, exec, s[10:11]
	v_and_b32_e32 v3, 63, v0
	v_cmp_gt_u32_e32 vcc, 64, v0
	v_lshlrev_b32_e32 v1, 1, v3
	s_and_saveexec_b64 s[0:1], vcc
; %bb.5:
	v_mov_b32_e32 v2, 0
	ds_write_b16 v1, v2
; %bb.6:
	s_or_b64 exec, exec, s[0:1]
	v_mbcnt_lo_u32_b32 v2, -1, 0
	v_mbcnt_hi_u32_b32 v6, -1, v2
	v_mov_b32_e32 v4, 0x80
	v_and_b32_e32 v2, 0xffff, v5
	v_lshl_or_b32 v4, v6, 2, v4
	ds_bpermute_b32 v2, v4, v2
	v_and_b32_e32 v7, 63, v6
	v_cmp_gt_u32_e64 s[0:1], 48, v7
	s_mov_b32 s2, 0xffff0000
	s_waitcnt lgkmcnt(0)
	v_add_f16_e32 v4, v5, v2
	v_cndmask_b32_e64 v5, 0, 16, s[0:1]
	v_and_or_b32 v2, v2, s2, v4
	v_add_lshl_u32 v5, v5, v6, 2
	ds_bpermute_b32 v2, v5, v2
	v_cmp_gt_u32_e64 s[0:1], 56, v7
	s_waitcnt lgkmcnt(0)
	s_barrier
	v_add_f16_e32 v4, v4, v2
	v_and_or_b32 v5, v2, s2, v4
	v_cndmask_b32_e64 v2, 0, 8, s[0:1]
	v_add_lshl_u32 v2, v2, v6, 2
	ds_bpermute_b32 v5, v2, v5
	v_cmp_gt_u32_e64 s[0:1], 60, v7
	v_cndmask_b32_e64 v8, 0, 4, s[0:1]
	v_cmp_gt_u32_e64 s[0:1], 62, v7
	s_waitcnt lgkmcnt(0)
	v_add_f16_e32 v9, v4, v5
	v_and_or_b32 v5, v5, s2, v9
	v_add_lshl_u32 v4, v8, v6, 2
	ds_bpermute_b32 v8, v4, v5
	v_cndmask_b32_e64 v5, 0, 2, s[0:1]
	v_add_lshl_u32 v5, v5, v6, 2
	v_cmp_ne_u32_e64 s[0:1], 63, v7
	v_addc_co_u32_e64 v6, s[0:1], 0, v6, s[0:1]
	s_waitcnt lgkmcnt(0)
	v_add_f16_e32 v9, v9, v8
	v_and_or_b32 v8, v8, s2, v9
	ds_bpermute_b32 v8, v5, v8
	v_lshlrev_b32_e32 v6, 2, v6
	v_cmp_eq_u32_e64 s[0:1], 0, v3
	s_waitcnt lgkmcnt(0)
	v_add_f16_e32 v7, v9, v8
	v_and_or_b32 v8, v8, s2, v7
	ds_bpermute_b32 v8, v6, v8
	s_and_saveexec_b64 s[2:3], s[0:1]
	s_cbranch_execz .LBB186_8
; %bb.7:
	s_waitcnt lgkmcnt(0)
	v_add_f16_e32 v3, v7, v8
	v_lshrrev_b32_e32 v7, 5, v0
	v_and_b32_e32 v7, 30, v7
	ds_write_b16 v7, v3
.LBB186_8:
	s_or_b64 exec, exec, s[2:3]
	v_cmp_gt_u32_e64 s[0:1], 16, v0
	v_mov_b32_e32 v3, 0
	s_waitcnt lgkmcnt(0)
	s_barrier
	s_and_saveexec_b64 s[2:3], s[0:1]
	s_cbranch_execnz .LBB186_12
; %bb.9:
	s_or_b64 exec, exec, s[2:3]
	s_and_saveexec_b64 s[0:1], vcc
	s_cbranch_execnz .LBB186_13
.LBB186_10:
	s_or_b64 exec, exec, s[0:1]
	v_cmp_eq_u32_e32 vcc, 0, v0
	s_and_saveexec_b64 s[0:1], vcc
	s_cbranch_execnz .LBB186_14
.LBB186_11:
	s_endpgm
.LBB186_12:
	ds_read_u16 v3, v1
	s_or_b64 exec, exec, s[2:3]
	s_and_saveexec_b64 s[0:1], vcc
	s_cbranch_execz .LBB186_10
.LBB186_13:
	s_waitcnt lgkmcnt(0)
	v_and_b32_e32 v1, 0xffff, v3
	ds_bpermute_b32 v1, v2, v1
	s_mov_b32 s2, 0xffff0000
	s_waitcnt lgkmcnt(0)
	v_add_f16_e32 v2, v3, v1
	v_and_or_b32 v1, v1, s2, v2
	ds_bpermute_b32 v1, v4, v1
	s_waitcnt lgkmcnt(0)
	v_add_f16_e32 v2, v2, v1
	v_and_or_b32 v1, v1, s2, v2
	ds_bpermute_b32 v1, v5, v1
	;; [unrolled: 4-line block ×3, first 2 shown]
	s_waitcnt lgkmcnt(0)
	v_add_f16_e32 v3, v2, v1
	s_or_b64 exec, exec, s[0:1]
	v_cmp_eq_u32_e32 vcc, 0, v0
	s_and_saveexec_b64 s[0:1], vcc
	s_cbranch_execz .LBB186_11
.LBB186_14:
	s_lshl_b64 s[0:1], s[6:7], 1
	s_add_u32 s0, s8, s0
	s_addc_u32 s1, s9, s1
	v_mov_b32_e32 v0, 0
	s_waitcnt lgkmcnt(0)
	global_store_short v0, v3, s[0:1]
	s_endpgm
	.section	.rodata,"a",@progbits
	.p2align	6, 0x0
	.amdhsa_kernel _ZL18rocblas_dot_kernelIiLb1ELi1024ELi32ELb1EDF16_PKPKDF16_DF16_EviT5_lT_lS4_lS5_liPT6_PT4_
		.amdhsa_group_segment_fixed_size 128
		.amdhsa_private_segment_fixed_size 0
		.amdhsa_kernarg_size 352
		.amdhsa_user_sgpr_count 6
		.amdhsa_user_sgpr_private_segment_buffer 1
		.amdhsa_user_sgpr_dispatch_ptr 0
		.amdhsa_user_sgpr_queue_ptr 0
		.amdhsa_user_sgpr_kernarg_segment_ptr 1
		.amdhsa_user_sgpr_dispatch_id 0
		.amdhsa_user_sgpr_flat_scratch_init 0
		.amdhsa_user_sgpr_private_segment_size 0
		.amdhsa_uses_dynamic_stack 0
		.amdhsa_system_sgpr_private_segment_wavefront_offset 0
		.amdhsa_system_sgpr_workgroup_id_x 1
		.amdhsa_system_sgpr_workgroup_id_y 0
		.amdhsa_system_sgpr_workgroup_id_z 1
		.amdhsa_system_sgpr_workgroup_info 0
		.amdhsa_system_vgpr_workitem_id 0
		.amdhsa_next_free_vgpr 11
		.amdhsa_next_free_sgpr 24
		.amdhsa_reserve_vcc 1
		.amdhsa_reserve_flat_scratch 0
		.amdhsa_float_round_mode_32 0
		.amdhsa_float_round_mode_16_64 0
		.amdhsa_float_denorm_mode_32 3
		.amdhsa_float_denorm_mode_16_64 3
		.amdhsa_dx10_clamp 1
		.amdhsa_ieee_mode 1
		.amdhsa_fp16_overflow 0
		.amdhsa_exception_fp_ieee_invalid_op 0
		.amdhsa_exception_fp_denorm_src 0
		.amdhsa_exception_fp_ieee_div_zero 0
		.amdhsa_exception_fp_ieee_overflow 0
		.amdhsa_exception_fp_ieee_underflow 0
		.amdhsa_exception_fp_ieee_inexact 0
		.amdhsa_exception_int_div_zero 0
	.end_amdhsa_kernel
	.section	.text._ZL18rocblas_dot_kernelIiLb1ELi1024ELi32ELb1EDF16_PKPKDF16_DF16_EviT5_lT_lS4_lS5_liPT6_PT4_,"axG",@progbits,_ZL18rocblas_dot_kernelIiLb1ELi1024ELi32ELb1EDF16_PKPKDF16_DF16_EviT5_lT_lS4_lS5_liPT6_PT4_,comdat
.Lfunc_end186:
	.size	_ZL18rocblas_dot_kernelIiLb1ELi1024ELi32ELb1EDF16_PKPKDF16_DF16_EviT5_lT_lS4_lS5_liPT6_PT4_, .Lfunc_end186-_ZL18rocblas_dot_kernelIiLb1ELi1024ELi32ELb1EDF16_PKPKDF16_DF16_EviT5_lT_lS4_lS5_liPT6_PT4_
                                        ; -- End function
	.set _ZL18rocblas_dot_kernelIiLb1ELi1024ELi32ELb1EDF16_PKPKDF16_DF16_EviT5_lT_lS4_lS5_liPT6_PT4_.num_vgpr, 11
	.set _ZL18rocblas_dot_kernelIiLb1ELi1024ELi32ELb1EDF16_PKPKDF16_DF16_EviT5_lT_lS4_lS5_liPT6_PT4_.num_agpr, 0
	.set _ZL18rocblas_dot_kernelIiLb1ELi1024ELi32ELb1EDF16_PKPKDF16_DF16_EviT5_lT_lS4_lS5_liPT6_PT4_.numbered_sgpr, 24
	.set _ZL18rocblas_dot_kernelIiLb1ELi1024ELi32ELb1EDF16_PKPKDF16_DF16_EviT5_lT_lS4_lS5_liPT6_PT4_.num_named_barrier, 0
	.set _ZL18rocblas_dot_kernelIiLb1ELi1024ELi32ELb1EDF16_PKPKDF16_DF16_EviT5_lT_lS4_lS5_liPT6_PT4_.private_seg_size, 0
	.set _ZL18rocblas_dot_kernelIiLb1ELi1024ELi32ELb1EDF16_PKPKDF16_DF16_EviT5_lT_lS4_lS5_liPT6_PT4_.uses_vcc, 1
	.set _ZL18rocblas_dot_kernelIiLb1ELi1024ELi32ELb1EDF16_PKPKDF16_DF16_EviT5_lT_lS4_lS5_liPT6_PT4_.uses_flat_scratch, 0
	.set _ZL18rocblas_dot_kernelIiLb1ELi1024ELi32ELb1EDF16_PKPKDF16_DF16_EviT5_lT_lS4_lS5_liPT6_PT4_.has_dyn_sized_stack, 0
	.set _ZL18rocblas_dot_kernelIiLb1ELi1024ELi32ELb1EDF16_PKPKDF16_DF16_EviT5_lT_lS4_lS5_liPT6_PT4_.has_recursion, 0
	.set _ZL18rocblas_dot_kernelIiLb1ELi1024ELi32ELb1EDF16_PKPKDF16_DF16_EviT5_lT_lS4_lS5_liPT6_PT4_.has_indirect_call, 0
	.section	.AMDGPU.csdata,"",@progbits
; Kernel info:
; codeLenInByte = 988
; TotalNumSgprs: 28
; NumVgprs: 11
; ScratchSize: 0
; MemoryBound: 0
; FloatMode: 240
; IeeeMode: 1
; LDSByteSize: 128 bytes/workgroup (compile time only)
; SGPRBlocks: 3
; VGPRBlocks: 2
; NumSGPRsForWavesPerEU: 28
; NumVGPRsForWavesPerEU: 11
; Occupancy: 10
; WaveLimiterHint : 0
; COMPUTE_PGM_RSRC2:SCRATCH_EN: 0
; COMPUTE_PGM_RSRC2:USER_SGPR: 6
; COMPUTE_PGM_RSRC2:TRAP_HANDLER: 0
; COMPUTE_PGM_RSRC2:TGID_X_EN: 1
; COMPUTE_PGM_RSRC2:TGID_Y_EN: 0
; COMPUTE_PGM_RSRC2:TGID_Z_EN: 1
; COMPUTE_PGM_RSRC2:TIDIG_COMP_CNT: 0
	.section	.text._ZL24rocblas_dot_kernel_magsqIiLb1ELi1024ELi32ELb1EDF16_PKPKDF16_DF16_EviT5_lT_liPT6_PT4_,"axG",@progbits,_ZL24rocblas_dot_kernel_magsqIiLb1ELi1024ELi32ELb1EDF16_PKPKDF16_DF16_EviT5_lT_liPT6_PT4_,comdat
	.globl	_ZL24rocblas_dot_kernel_magsqIiLb1ELi1024ELi32ELb1EDF16_PKPKDF16_DF16_EviT5_lT_liPT6_PT4_ ; -- Begin function _ZL24rocblas_dot_kernel_magsqIiLb1ELi1024ELi32ELb1EDF16_PKPKDF16_DF16_EviT5_lT_liPT6_PT4_
	.p2align	8
	.type	_ZL24rocblas_dot_kernel_magsqIiLb1ELi1024ELi32ELb1EDF16_PKPKDF16_DF16_EviT5_lT_liPT6_PT4_,@function
_ZL24rocblas_dot_kernel_magsqIiLb1ELi1024ELi32ELb1EDF16_PKPKDF16_DF16_EviT5_lT_liPT6_PT4_: ; @_ZL24rocblas_dot_kernel_magsqIiLb1ELi1024ELi32ELb1EDF16_PKPKDF16_DF16_EviT5_lT_liPT6_PT4_
; %bb.0:
	s_mov_b32 s2, s7
	s_load_dword s12, s[4:5], 0x0
	s_load_dwordx2 s[6:7], s[4:5], 0x38
	s_mov_b32 s3, 0
	v_mov_b32_e32 v3, 0
	s_waitcnt lgkmcnt(0)
	v_cmp_gt_i32_e32 vcc, s12, v0
	s_and_saveexec_b64 s[8:9], vcc
	s_cbranch_execz .LBB187_4
; %bb.1:
	s_load_dwordx4 s[16:19], s[4:5], 0x8
	s_lshl_b64 s[0:1], s[2:3], 3
	s_load_dword s10, s[4:5], 0x18
	s_load_dword s11, s[4:5], 0x40
	s_waitcnt lgkmcnt(0)
	s_add_u32 s0, s16, s0
	s_addc_u32 s1, s17, s1
	s_load_dwordx2 s[0:1], s[0:1], 0x0
	v_mad_i64_i32 v[1:2], s[4:5], s10, v0, 0
	s_lshl_b32 s13, s11, 10
	s_lshl_b64 s[4:5], s[18:19], 1
	v_lshlrev_b64 v[1:2], 1, v[1:2]
	s_waitcnt lgkmcnt(0)
	s_add_u32 s0, s0, s4
	s_addc_u32 s1, s1, s5
	v_mov_b32_e32 v3, s1
	v_add_co_u32_e32 v1, vcc, s0, v1
	s_mul_hi_i32 s1, s10, s13
	s_mul_i32 s0, s10, s13
	s_lshl_b64 s[4:5], s[0:1], 1
	v_or_b32_e32 v4, s13, v0
	v_addc_co_u32_e32 v2, vcc, v3, v2, vcc
	v_mov_b32_e32 v3, 0
	s_mov_b64 s[10:11], 0
	v_mov_b32_e32 v5, s5
	s_mov_b32 s5, s3
.LBB187_2:                              ; =>This Inner Loop Header: Depth=1
	flat_load_ushort v6, v[1:2]
	s_add_i32 s14, s5, 1
	v_add_co_u32_e64 v1, s[0:1], s4, v1
	v_addc_co_u32_e64 v2, s[0:1], v2, v5, s[0:1]
	s_cmp_gt_u32 s5, 30
	v_cmp_le_i32_e32 vcc, s12, v4
	s_cselect_b64 s[0:1], -1, 0
	s_or_b64 s[0:1], s[0:1], vcc
	s_and_b64 s[0:1], exec, s[0:1]
	v_add_u32_e32 v4, s13, v4
	s_mov_b32 s5, s14
	s_or_b64 s[10:11], s[0:1], s[10:11]
	s_waitcnt vmcnt(0) lgkmcnt(0)
	v_fma_f16 v3, v6, v6, v3
	s_andn2_b64 exec, exec, s[10:11]
	s_cbranch_execnz .LBB187_2
; %bb.3:
	s_or_b64 exec, exec, s[10:11]
.LBB187_4:
	s_or_b64 exec, exec, s[8:9]
	v_and_b32_e32 v4, 63, v0
	v_cmp_gt_u32_e32 vcc, 64, v0
	v_lshlrev_b32_e32 v1, 1, v4
	s_and_saveexec_b64 s[0:1], vcc
; %bb.5:
	v_mov_b32_e32 v2, 0
	ds_write_b16 v1, v2
; %bb.6:
	s_or_b64 exec, exec, s[0:1]
	v_mbcnt_lo_u32_b32 v2, -1, 0
	v_mbcnt_hi_u32_b32 v6, -1, v2
	v_mov_b32_e32 v5, 0x80
	v_and_b32_e32 v2, 0xffff, v3
	v_lshl_or_b32 v5, v6, 2, v5
	ds_bpermute_b32 v2, v5, v2
	v_and_b32_e32 v7, 63, v6
	v_cmp_gt_u32_e64 s[0:1], 48, v7
	s_mov_b32 s4, 0xffff0000
	v_cndmask_b32_e64 v5, 0, 16, s[0:1]
	s_waitcnt lgkmcnt(0)
	v_add_f16_e32 v3, v3, v2
	v_and_or_b32 v2, v2, s4, v3
	v_add_lshl_u32 v5, v5, v6, 2
	ds_bpermute_b32 v2, v5, v2
	v_cmp_gt_u32_e64 s[0:1], 56, v7
	s_waitcnt lgkmcnt(0)
	s_barrier
	v_add_f16_e32 v3, v3, v2
	v_and_or_b32 v5, v2, s4, v3
	v_cndmask_b32_e64 v2, 0, 8, s[0:1]
	v_add_lshl_u32 v2, v2, v6, 2
	ds_bpermute_b32 v5, v2, v5
	v_cmp_gt_u32_e64 s[0:1], 60, v7
	v_cndmask_b32_e64 v8, 0, 4, s[0:1]
	v_cmp_gt_u32_e64 s[0:1], 62, v7
	s_waitcnt lgkmcnt(0)
	v_add_f16_e32 v9, v3, v5
	v_and_or_b32 v5, v5, s4, v9
	v_add_lshl_u32 v3, v8, v6, 2
	ds_bpermute_b32 v8, v3, v5
	v_cndmask_b32_e64 v5, 0, 2, s[0:1]
	v_add_lshl_u32 v5, v5, v6, 2
	v_cmp_ne_u32_e64 s[0:1], 63, v7
	v_addc_co_u32_e64 v6, s[0:1], 0, v6, s[0:1]
	s_waitcnt lgkmcnt(0)
	v_add_f16_e32 v9, v9, v8
	v_and_or_b32 v8, v8, s4, v9
	ds_bpermute_b32 v8, v5, v8
	v_lshlrev_b32_e32 v6, 2, v6
	v_cmp_eq_u32_e64 s[0:1], 0, v4
	s_waitcnt lgkmcnt(0)
	v_add_f16_e32 v7, v9, v8
	v_and_or_b32 v8, v8, s4, v7
	ds_bpermute_b32 v8, v6, v8
	s_and_saveexec_b64 s[4:5], s[0:1]
	s_cbranch_execz .LBB187_8
; %bb.7:
	s_waitcnt lgkmcnt(0)
	v_add_f16_e32 v4, v7, v8
	v_lshrrev_b32_e32 v7, 5, v0
	v_and_b32_e32 v7, 30, v7
	ds_write_b16 v7, v4
.LBB187_8:
	s_or_b64 exec, exec, s[4:5]
	v_cmp_gt_u32_e64 s[0:1], 16, v0
	v_mov_b32_e32 v4, 0
	s_waitcnt lgkmcnt(0)
	s_barrier
	s_and_saveexec_b64 s[4:5], s[0:1]
	s_cbranch_execnz .LBB187_12
; %bb.9:
	s_or_b64 exec, exec, s[4:5]
	s_and_saveexec_b64 s[0:1], vcc
	s_cbranch_execnz .LBB187_13
.LBB187_10:
	s_or_b64 exec, exec, s[0:1]
	v_cmp_eq_u32_e32 vcc, 0, v0
	s_and_saveexec_b64 s[0:1], vcc
	s_cbranch_execnz .LBB187_14
.LBB187_11:
	s_endpgm
.LBB187_12:
	ds_read_u16 v4, v1
	s_or_b64 exec, exec, s[4:5]
	s_and_saveexec_b64 s[0:1], vcc
	s_cbranch_execz .LBB187_10
.LBB187_13:
	s_waitcnt lgkmcnt(0)
	v_and_b32_e32 v1, 0xffff, v4
	ds_bpermute_b32 v1, v2, v1
	s_mov_b32 s4, 0xffff0000
	s_waitcnt lgkmcnt(0)
	v_add_f16_e32 v2, v4, v1
	v_and_or_b32 v1, v1, s4, v2
	ds_bpermute_b32 v1, v3, v1
	s_waitcnt lgkmcnt(0)
	v_add_f16_e32 v2, v2, v1
	v_and_or_b32 v1, v1, s4, v2
	ds_bpermute_b32 v1, v5, v1
	;; [unrolled: 4-line block ×3, first 2 shown]
	s_waitcnt lgkmcnt(0)
	v_add_f16_e32 v4, v2, v1
	s_or_b64 exec, exec, s[0:1]
	v_cmp_eq_u32_e32 vcc, 0, v0
	s_and_saveexec_b64 s[0:1], vcc
	s_cbranch_execz .LBB187_11
.LBB187_14:
	s_lshl_b64 s[0:1], s[2:3], 1
	s_add_u32 s0, s6, s0
	s_addc_u32 s1, s7, s1
	v_mov_b32_e32 v0, 0
	s_waitcnt lgkmcnt(0)
	global_store_short v0, v4, s[0:1]
	s_endpgm
	.section	.rodata,"a",@progbits
	.p2align	6, 0x0
	.amdhsa_kernel _ZL24rocblas_dot_kernel_magsqIiLb1ELi1024ELi32ELb1EDF16_PKPKDF16_DF16_EviT5_lT_liPT6_PT4_
		.amdhsa_group_segment_fixed_size 128
		.amdhsa_private_segment_fixed_size 0
		.amdhsa_kernarg_size 320
		.amdhsa_user_sgpr_count 6
		.amdhsa_user_sgpr_private_segment_buffer 1
		.amdhsa_user_sgpr_dispatch_ptr 0
		.amdhsa_user_sgpr_queue_ptr 0
		.amdhsa_user_sgpr_kernarg_segment_ptr 1
		.amdhsa_user_sgpr_dispatch_id 0
		.amdhsa_user_sgpr_flat_scratch_init 0
		.amdhsa_user_sgpr_private_segment_size 0
		.amdhsa_uses_dynamic_stack 0
		.amdhsa_system_sgpr_private_segment_wavefront_offset 0
		.amdhsa_system_sgpr_workgroup_id_x 1
		.amdhsa_system_sgpr_workgroup_id_y 0
		.amdhsa_system_sgpr_workgroup_id_z 1
		.amdhsa_system_sgpr_workgroup_info 0
		.amdhsa_system_vgpr_workitem_id 0
		.amdhsa_next_free_vgpr 10
		.amdhsa_next_free_sgpr 20
		.amdhsa_reserve_vcc 1
		.amdhsa_reserve_flat_scratch 0
		.amdhsa_float_round_mode_32 0
		.amdhsa_float_round_mode_16_64 0
		.amdhsa_float_denorm_mode_32 3
		.amdhsa_float_denorm_mode_16_64 3
		.amdhsa_dx10_clamp 1
		.amdhsa_ieee_mode 1
		.amdhsa_fp16_overflow 0
		.amdhsa_exception_fp_ieee_invalid_op 0
		.amdhsa_exception_fp_denorm_src 0
		.amdhsa_exception_fp_ieee_div_zero 0
		.amdhsa_exception_fp_ieee_overflow 0
		.amdhsa_exception_fp_ieee_underflow 0
		.amdhsa_exception_fp_ieee_inexact 0
		.amdhsa_exception_int_div_zero 0
	.end_amdhsa_kernel
	.section	.text._ZL24rocblas_dot_kernel_magsqIiLb1ELi1024ELi32ELb1EDF16_PKPKDF16_DF16_EviT5_lT_liPT6_PT4_,"axG",@progbits,_ZL24rocblas_dot_kernel_magsqIiLb1ELi1024ELi32ELb1EDF16_PKPKDF16_DF16_EviT5_lT_liPT6_PT4_,comdat
.Lfunc_end187:
	.size	_ZL24rocblas_dot_kernel_magsqIiLb1ELi1024ELi32ELb1EDF16_PKPKDF16_DF16_EviT5_lT_liPT6_PT4_, .Lfunc_end187-_ZL24rocblas_dot_kernel_magsqIiLb1ELi1024ELi32ELb1EDF16_PKPKDF16_DF16_EviT5_lT_liPT6_PT4_
                                        ; -- End function
	.set _ZL24rocblas_dot_kernel_magsqIiLb1ELi1024ELi32ELb1EDF16_PKPKDF16_DF16_EviT5_lT_liPT6_PT4_.num_vgpr, 10
	.set _ZL24rocblas_dot_kernel_magsqIiLb1ELi1024ELi32ELb1EDF16_PKPKDF16_DF16_EviT5_lT_liPT6_PT4_.num_agpr, 0
	.set _ZL24rocblas_dot_kernel_magsqIiLb1ELi1024ELi32ELb1EDF16_PKPKDF16_DF16_EviT5_lT_liPT6_PT4_.numbered_sgpr, 20
	.set _ZL24rocblas_dot_kernel_magsqIiLb1ELi1024ELi32ELb1EDF16_PKPKDF16_DF16_EviT5_lT_liPT6_PT4_.num_named_barrier, 0
	.set _ZL24rocblas_dot_kernel_magsqIiLb1ELi1024ELi32ELb1EDF16_PKPKDF16_DF16_EviT5_lT_liPT6_PT4_.private_seg_size, 0
	.set _ZL24rocblas_dot_kernel_magsqIiLb1ELi1024ELi32ELb1EDF16_PKPKDF16_DF16_EviT5_lT_liPT6_PT4_.uses_vcc, 1
	.set _ZL24rocblas_dot_kernel_magsqIiLb1ELi1024ELi32ELb1EDF16_PKPKDF16_DF16_EviT5_lT_liPT6_PT4_.uses_flat_scratch, 0
	.set _ZL24rocblas_dot_kernel_magsqIiLb1ELi1024ELi32ELb1EDF16_PKPKDF16_DF16_EviT5_lT_liPT6_PT4_.has_dyn_sized_stack, 0
	.set _ZL24rocblas_dot_kernel_magsqIiLb1ELi1024ELi32ELb1EDF16_PKPKDF16_DF16_EviT5_lT_liPT6_PT4_.has_recursion, 0
	.set _ZL24rocblas_dot_kernel_magsqIiLb1ELi1024ELi32ELb1EDF16_PKPKDF16_DF16_EviT5_lT_liPT6_PT4_.has_indirect_call, 0
	.section	.AMDGPU.csdata,"",@progbits
; Kernel info:
; codeLenInByte = 872
; TotalNumSgprs: 24
; NumVgprs: 10
; ScratchSize: 0
; MemoryBound: 0
; FloatMode: 240
; IeeeMode: 1
; LDSByteSize: 128 bytes/workgroup (compile time only)
; SGPRBlocks: 2
; VGPRBlocks: 2
; NumSGPRsForWavesPerEU: 24
; NumVGPRsForWavesPerEU: 10
; Occupancy: 10
; WaveLimiterHint : 0
; COMPUTE_PGM_RSRC2:SCRATCH_EN: 0
; COMPUTE_PGM_RSRC2:USER_SGPR: 6
; COMPUTE_PGM_RSRC2:TRAP_HANDLER: 0
; COMPUTE_PGM_RSRC2:TGID_X_EN: 1
; COMPUTE_PGM_RSRC2:TGID_Y_EN: 0
; COMPUTE_PGM_RSRC2:TGID_Z_EN: 1
; COMPUTE_PGM_RSRC2:TIDIG_COMP_CNT: 0
	.section	.text._ZL38rocblas_dot_kernel_gfx942_float_doubleIiLi1024EDF16_PKPKDF16_DF16_EviT2_lT_lS4_lS5_lPT3_PT1_,"axG",@progbits,_ZL38rocblas_dot_kernel_gfx942_float_doubleIiLi1024EDF16_PKPKDF16_DF16_EviT2_lT_lS4_lS5_lPT3_PT1_,comdat
	.globl	_ZL38rocblas_dot_kernel_gfx942_float_doubleIiLi1024EDF16_PKPKDF16_DF16_EviT2_lT_lS4_lS5_lPT3_PT1_ ; -- Begin function _ZL38rocblas_dot_kernel_gfx942_float_doubleIiLi1024EDF16_PKPKDF16_DF16_EviT2_lT_lS4_lS5_lPT3_PT1_
	.p2align	8
	.type	_ZL38rocblas_dot_kernel_gfx942_float_doubleIiLi1024EDF16_PKPKDF16_DF16_EviT2_lT_lS4_lS5_lPT3_PT1_,@function
_ZL38rocblas_dot_kernel_gfx942_float_doubleIiLi1024EDF16_PKPKDF16_DF16_EviT2_lT_lS4_lS5_lPT3_PT1_: ; @_ZL38rocblas_dot_kernel_gfx942_float_doubleIiLi1024EDF16_PKPKDF16_DF16_EviT2_lT_lS4_lS5_lPT3_PT1_
; %bb.0:
	s_endpgm
	.section	.rodata,"a",@progbits
	.p2align	6, 0x0
	.amdhsa_kernel _ZL38rocblas_dot_kernel_gfx942_float_doubleIiLi1024EDF16_PKPKDF16_DF16_EviT2_lT_lS4_lS5_lPT3_PT1_
		.amdhsa_group_segment_fixed_size 0
		.amdhsa_private_segment_fixed_size 0
		.amdhsa_kernarg_size 88
		.amdhsa_user_sgpr_count 6
		.amdhsa_user_sgpr_private_segment_buffer 1
		.amdhsa_user_sgpr_dispatch_ptr 0
		.amdhsa_user_sgpr_queue_ptr 0
		.amdhsa_user_sgpr_kernarg_segment_ptr 1
		.amdhsa_user_sgpr_dispatch_id 0
		.amdhsa_user_sgpr_flat_scratch_init 0
		.amdhsa_user_sgpr_private_segment_size 0
		.amdhsa_uses_dynamic_stack 0
		.amdhsa_system_sgpr_private_segment_wavefront_offset 0
		.amdhsa_system_sgpr_workgroup_id_x 1
		.amdhsa_system_sgpr_workgroup_id_y 0
		.amdhsa_system_sgpr_workgroup_id_z 0
		.amdhsa_system_sgpr_workgroup_info 0
		.amdhsa_system_vgpr_workitem_id 0
		.amdhsa_next_free_vgpr 1
		.amdhsa_next_free_sgpr 0
		.amdhsa_reserve_vcc 0
		.amdhsa_reserve_flat_scratch 0
		.amdhsa_float_round_mode_32 0
		.amdhsa_float_round_mode_16_64 0
		.amdhsa_float_denorm_mode_32 3
		.amdhsa_float_denorm_mode_16_64 3
		.amdhsa_dx10_clamp 1
		.amdhsa_ieee_mode 1
		.amdhsa_fp16_overflow 0
		.amdhsa_exception_fp_ieee_invalid_op 0
		.amdhsa_exception_fp_denorm_src 0
		.amdhsa_exception_fp_ieee_div_zero 0
		.amdhsa_exception_fp_ieee_overflow 0
		.amdhsa_exception_fp_ieee_underflow 0
		.amdhsa_exception_fp_ieee_inexact 0
		.amdhsa_exception_int_div_zero 0
	.end_amdhsa_kernel
	.section	.text._ZL38rocblas_dot_kernel_gfx942_float_doubleIiLi1024EDF16_PKPKDF16_DF16_EviT2_lT_lS4_lS5_lPT3_PT1_,"axG",@progbits,_ZL38rocblas_dot_kernel_gfx942_float_doubleIiLi1024EDF16_PKPKDF16_DF16_EviT2_lT_lS4_lS5_lPT3_PT1_,comdat
.Lfunc_end188:
	.size	_ZL38rocblas_dot_kernel_gfx942_float_doubleIiLi1024EDF16_PKPKDF16_DF16_EviT2_lT_lS4_lS5_lPT3_PT1_, .Lfunc_end188-_ZL38rocblas_dot_kernel_gfx942_float_doubleIiLi1024EDF16_PKPKDF16_DF16_EviT2_lT_lS4_lS5_lPT3_PT1_
                                        ; -- End function
	.set _ZL38rocblas_dot_kernel_gfx942_float_doubleIiLi1024EDF16_PKPKDF16_DF16_EviT2_lT_lS4_lS5_lPT3_PT1_.num_vgpr, 0
	.set _ZL38rocblas_dot_kernel_gfx942_float_doubleIiLi1024EDF16_PKPKDF16_DF16_EviT2_lT_lS4_lS5_lPT3_PT1_.num_agpr, 0
	.set _ZL38rocblas_dot_kernel_gfx942_float_doubleIiLi1024EDF16_PKPKDF16_DF16_EviT2_lT_lS4_lS5_lPT3_PT1_.numbered_sgpr, 0
	.set _ZL38rocblas_dot_kernel_gfx942_float_doubleIiLi1024EDF16_PKPKDF16_DF16_EviT2_lT_lS4_lS5_lPT3_PT1_.num_named_barrier, 0
	.set _ZL38rocblas_dot_kernel_gfx942_float_doubleIiLi1024EDF16_PKPKDF16_DF16_EviT2_lT_lS4_lS5_lPT3_PT1_.private_seg_size, 0
	.set _ZL38rocblas_dot_kernel_gfx942_float_doubleIiLi1024EDF16_PKPKDF16_DF16_EviT2_lT_lS4_lS5_lPT3_PT1_.uses_vcc, 0
	.set _ZL38rocblas_dot_kernel_gfx942_float_doubleIiLi1024EDF16_PKPKDF16_DF16_EviT2_lT_lS4_lS5_lPT3_PT1_.uses_flat_scratch, 0
	.set _ZL38rocblas_dot_kernel_gfx942_float_doubleIiLi1024EDF16_PKPKDF16_DF16_EviT2_lT_lS4_lS5_lPT3_PT1_.has_dyn_sized_stack, 0
	.set _ZL38rocblas_dot_kernel_gfx942_float_doubleIiLi1024EDF16_PKPKDF16_DF16_EviT2_lT_lS4_lS5_lPT3_PT1_.has_recursion, 0
	.set _ZL38rocblas_dot_kernel_gfx942_float_doubleIiLi1024EDF16_PKPKDF16_DF16_EviT2_lT_lS4_lS5_lPT3_PT1_.has_indirect_call, 0
	.section	.AMDGPU.csdata,"",@progbits
; Kernel info:
; codeLenInByte = 4
; TotalNumSgprs: 4
; NumVgprs: 0
; ScratchSize: 0
; MemoryBound: 0
; FloatMode: 240
; IeeeMode: 1
; LDSByteSize: 0 bytes/workgroup (compile time only)
; SGPRBlocks: 0
; VGPRBlocks: 0
; NumSGPRsForWavesPerEU: 4
; NumVGPRsForWavesPerEU: 1
; Occupancy: 10
; WaveLimiterHint : 0
; COMPUTE_PGM_RSRC2:SCRATCH_EN: 0
; COMPUTE_PGM_RSRC2:USER_SGPR: 6
; COMPUTE_PGM_RSRC2:TRAP_HANDLER: 0
; COMPUTE_PGM_RSRC2:TGID_X_EN: 1
; COMPUTE_PGM_RSRC2:TGID_Y_EN: 0
; COMPUTE_PGM_RSRC2:TGID_Z_EN: 0
; COMPUTE_PGM_RSRC2:TIDIG_COMP_CNT: 0
	.section	.text._ZL23rocblas_dot_kernel_inc1ILb0ELi512ELi8ELb1EDF16_PKPKDF16_DF16_EviT4_llS4_lliPT5_PT3_,"axG",@progbits,_ZL23rocblas_dot_kernel_inc1ILb0ELi512ELi8ELb1EDF16_PKPKDF16_DF16_EviT4_llS4_lliPT5_PT3_,comdat
	.globl	_ZL23rocblas_dot_kernel_inc1ILb0ELi512ELi8ELb1EDF16_PKPKDF16_DF16_EviT4_llS4_lliPT5_PT3_ ; -- Begin function _ZL23rocblas_dot_kernel_inc1ILb0ELi512ELi8ELb1EDF16_PKPKDF16_DF16_EviT4_llS4_lliPT5_PT3_
	.p2align	8
	.type	_ZL23rocblas_dot_kernel_inc1ILb0ELi512ELi8ELb1EDF16_PKPKDF16_DF16_EviT4_llS4_lliPT5_PT3_,@function
_ZL23rocblas_dot_kernel_inc1ILb0ELi512ELi8ELb1EDF16_PKPKDF16_DF16_EviT4_llS4_lliPT5_PT3_: ; @_ZL23rocblas_dot_kernel_inc1ILb0ELi512ELi8ELb1EDF16_PKPKDF16_DF16_EviT4_llS4_lliPT5_PT3_
; %bb.0:
	s_mov_b32 s2, s7
	s_load_dword s18, s[4:5], 0x50
	s_load_dword s7, s[4:5], 0x0
	s_load_dwordx4 s[8:11], s[4:5], 0x40
	v_lshl_or_b32 v3, s6, 9, v0
	s_mov_b32 s3, 0
	v_mov_b32_e32 v5, 0
	s_waitcnt lgkmcnt(0)
	v_cmp_gt_i32_e32 vcc, s7, v3
	s_and_saveexec_b64 s[12:13], vcc
	s_cbranch_execz .LBB189_4
; %bb.1:
	s_load_dwordx4 s[20:23], s[4:5], 0x8
	s_load_dwordx4 s[24:27], s[4:5], 0x20
	s_lshl_b64 s[0:1], s[2:3], 3
	v_ashrrev_i32_e32 v4, 31, v3
	v_lshlrev_b64 v[1:2], 1, v[3:4]
	s_waitcnt lgkmcnt(0)
	s_add_u32 s4, s20, s0
	s_addc_u32 s5, s21, s1
	s_load_dwordx2 s[4:5], s[4:5], 0x0
	s_lshl_b64 s[14:15], s[22:23], 1
	v_mov_b32_e32 v5, 0
	s_waitcnt lgkmcnt(0)
	s_add_u32 s19, s4, s14
	s_addc_u32 s14, s5, s15
	s_add_u32 s0, s24, s0
	s_addc_u32 s1, s25, s1
	s_load_dwordx2 s[0:1], s[0:1], 0x0
	v_mov_b32_e32 v4, s14
	s_lshl_b64 s[14:15], s[26:27], 1
	s_mov_b64 s[4:5], 0
	s_waitcnt lgkmcnt(0)
	s_add_u32 s20, s0, s14
	s_addc_u32 s0, s1, s15
	s_lshl_b32 s14, s18, 9
	s_ashr_i32 s15, s14, 31
	s_lshl_b64 s[16:17], s[14:15], 1
	v_add_u32_e32 v3, s14, v3
	v_mov_b32_e32 v6, s0
	v_mov_b32_e32 v7, s17
	s_mov_b32 s15, s3
.LBB189_2:                              ; =>This Inner Loop Header: Depth=1
	v_add_co_u32_e32 v8, vcc, s20, v1
	v_addc_co_u32_e32 v9, vcc, v6, v2, vcc
	v_add_co_u32_e32 v10, vcc, s19, v1
	v_addc_co_u32_e32 v11, vcc, v4, v2, vcc
	flat_load_ushort v12, v[8:9]
	flat_load_ushort v13, v[10:11]
	s_add_i32 s17, s15, 1
	v_add_co_u32_e64 v1, s[0:1], s16, v1
	v_addc_co_u32_e64 v2, s[0:1], v2, v7, s[0:1]
	s_cmp_gt_u32 s15, 6
	v_cmp_le_i32_e32 vcc, s7, v3
	s_cselect_b64 s[0:1], -1, 0
	s_or_b64 s[0:1], s[0:1], vcc
	s_and_b64 s[0:1], exec, s[0:1]
	v_add_u32_e32 v3, s14, v3
	s_mov_b32 s15, s17
	s_or_b64 s[4:5], s[0:1], s[4:5]
	s_waitcnt vmcnt(0) lgkmcnt(0)
	v_fma_f16 v5, v12, v13, v5
	s_andn2_b64 exec, exec, s[4:5]
	s_cbranch_execnz .LBB189_2
; %bb.3:
	s_or_b64 exec, exec, s[4:5]
.LBB189_4:
	s_or_b64 exec, exec, s[12:13]
	v_and_b32_e32 v2, 63, v0
	v_cmp_gt_u32_e32 vcc, 64, v0
	v_lshlrev_b32_e32 v1, 1, v2
	s_and_saveexec_b64 s[0:1], vcc
; %bb.5:
	v_mov_b32_e32 v3, 0
	ds_write_b16 v1, v3
; %bb.6:
	s_or_b64 exec, exec, s[0:1]
	v_mbcnt_lo_u32_b32 v3, -1, 0
	v_mbcnt_hi_u32_b32 v6, -1, v3
	v_mov_b32_e32 v4, 0x80
	v_and_b32_e32 v3, 0xffff, v5
	v_lshl_or_b32 v4, v6, 2, v4
	ds_bpermute_b32 v3, v4, v3
	v_and_b32_e32 v7, 63, v6
	v_cmp_gt_u32_e64 s[0:1], 48, v7
	s_mov_b32 s4, 0xffff0000
	s_waitcnt lgkmcnt(0)
	v_add_f16_e32 v4, v5, v3
	v_cndmask_b32_e64 v5, 0, 16, s[0:1]
	v_and_or_b32 v3, v3, s4, v4
	v_add_lshl_u32 v5, v5, v6, 2
	ds_bpermute_b32 v3, v5, v3
	v_cmp_gt_u32_e64 s[0:1], 56, v7
	v_cndmask_b32_e64 v5, 0, 8, s[0:1]
	v_add_lshl_u32 v5, v5, v6, 2
	v_cmp_gt_u32_e64 s[0:1], 60, v7
	s_waitcnt lgkmcnt(0)
	v_add_f16_e32 v4, v4, v3
	v_and_or_b32 v3, v3, s4, v4
	ds_bpermute_b32 v3, v5, v3
	v_cndmask_b32_e64 v5, 0, 4, s[0:1]
	v_cmp_gt_u32_e64 s[0:1], 62, v7
	s_waitcnt lgkmcnt(0)
	s_barrier
	v_add_f16_e32 v8, v4, v3
	v_and_or_b32 v4, v3, s4, v8
	v_add_lshl_u32 v3, v5, v6, 2
	ds_bpermute_b32 v5, v3, v4
	v_cndmask_b32_e64 v4, 0, 2, s[0:1]
	v_add_lshl_u32 v4, v4, v6, 2
	v_cmp_ne_u32_e64 s[0:1], 63, v7
	v_addc_co_u32_e64 v7, s[0:1], 0, v6, s[0:1]
	s_waitcnt lgkmcnt(0)
	v_add_f16_e32 v8, v8, v5
	v_and_or_b32 v5, v5, s4, v8
	ds_bpermute_b32 v5, v4, v5
	v_cmp_eq_u32_e64 s[0:1], 0, v2
	s_waitcnt lgkmcnt(0)
	v_add_f16_e32 v6, v8, v5
	v_and_or_b32 v8, v5, s4, v6
	v_lshlrev_b32_e32 v5, 2, v7
	ds_bpermute_b32 v7, v5, v8
	s_and_saveexec_b64 s[4:5], s[0:1]
	s_cbranch_execz .LBB189_8
; %bb.7:
	s_waitcnt lgkmcnt(0)
	v_add_f16_e32 v2, v6, v7
	v_lshrrev_b32_e32 v6, 5, v0
	v_and_b32_e32 v6, 14, v6
	ds_write_b16 v6, v2
.LBB189_8:
	s_or_b64 exec, exec, s[4:5]
	v_cmp_gt_u32_e64 s[0:1], 8, v0
	v_mov_b32_e32 v2, 0
	s_waitcnt lgkmcnt(0)
	s_barrier
	s_and_saveexec_b64 s[4:5], s[0:1]
	s_cbranch_execnz .LBB189_12
; %bb.9:
	s_or_b64 exec, exec, s[4:5]
	s_and_saveexec_b64 s[0:1], vcc
	s_cbranch_execnz .LBB189_13
.LBB189_10:
	s_or_b64 exec, exec, s[0:1]
	v_cmp_eq_u32_e32 vcc, 0, v0
	s_and_saveexec_b64 s[0:1], vcc
	s_cbranch_execnz .LBB189_14
.LBB189_11:
	s_endpgm
.LBB189_12:
	ds_read_u16 v2, v1
	s_or_b64 exec, exec, s[4:5]
	s_and_saveexec_b64 s[0:1], vcc
	s_cbranch_execz .LBB189_10
.LBB189_13:
	s_waitcnt lgkmcnt(0)
	v_and_b32_e32 v1, 0xffff, v2
	ds_bpermute_b32 v1, v3, v1
	s_mov_b32 s4, 0xffff0000
	s_waitcnt lgkmcnt(0)
	v_add_f16_e32 v2, v2, v1
	v_and_or_b32 v1, v1, s4, v2
	ds_bpermute_b32 v1, v4, v1
	s_waitcnt lgkmcnt(0)
	v_add_f16_e32 v2, v2, v1
	v_and_or_b32 v1, v1, s4, v2
	ds_bpermute_b32 v1, v5, v1
	s_waitcnt lgkmcnt(0)
	v_add_f16_e32 v2, v2, v1
	s_or_b64 exec, exec, s[0:1]
	v_cmp_eq_u32_e32 vcc, 0, v0
	s_and_saveexec_b64 s[0:1], vcc
	s_cbranch_execz .LBB189_11
.LBB189_14:
	s_cmp_lg_u32 s18, 1
	s_mov_b64 s[0:1], -1
	s_cbranch_scc0 .LBB189_16
; %bb.15:
	s_mul_hi_u32 s1, s18, s2
	s_mul_i32 s0, s18, s2
	s_lshl_b64 s[0:1], s[0:1], 1
	s_mov_b32 s7, 0
	s_add_u32 s4, s8, s0
	s_addc_u32 s5, s9, s1
	s_lshl_b64 s[0:1], s[6:7], 1
	s_add_u32 s0, s4, s0
	s_addc_u32 s1, s5, s1
	v_mov_b32_e32 v0, 0
	s_waitcnt lgkmcnt(0)
	global_store_short v0, v2, s[0:1]
	s_mov_b64 s[0:1], 0
.LBB189_16:
	s_andn2_b64 vcc, exec, s[0:1]
	s_cbranch_vccnz .LBB189_11
; %bb.17:
	s_lshl_b64 s[0:1], s[2:3], 1
	s_add_u32 s0, s10, s0
	s_addc_u32 s1, s11, s1
	v_mov_b32_e32 v0, 0
	s_waitcnt lgkmcnt(0)
	global_store_short v0, v2, s[0:1]
	s_endpgm
	.section	.rodata,"a",@progbits
	.p2align	6, 0x0
	.amdhsa_kernel _ZL23rocblas_dot_kernel_inc1ILb0ELi512ELi8ELb1EDF16_PKPKDF16_DF16_EviT4_llS4_lliPT5_PT3_
		.amdhsa_group_segment_fixed_size 128
		.amdhsa_private_segment_fixed_size 0
		.amdhsa_kernarg_size 336
		.amdhsa_user_sgpr_count 6
		.amdhsa_user_sgpr_private_segment_buffer 1
		.amdhsa_user_sgpr_dispatch_ptr 0
		.amdhsa_user_sgpr_queue_ptr 0
		.amdhsa_user_sgpr_kernarg_segment_ptr 1
		.amdhsa_user_sgpr_dispatch_id 0
		.amdhsa_user_sgpr_flat_scratch_init 0
		.amdhsa_user_sgpr_private_segment_size 0
		.amdhsa_uses_dynamic_stack 0
		.amdhsa_system_sgpr_private_segment_wavefront_offset 0
		.amdhsa_system_sgpr_workgroup_id_x 1
		.amdhsa_system_sgpr_workgroup_id_y 0
		.amdhsa_system_sgpr_workgroup_id_z 1
		.amdhsa_system_sgpr_workgroup_info 0
		.amdhsa_system_vgpr_workitem_id 0
		.amdhsa_next_free_vgpr 14
		.amdhsa_next_free_sgpr 28
		.amdhsa_reserve_vcc 1
		.amdhsa_reserve_flat_scratch 0
		.amdhsa_float_round_mode_32 0
		.amdhsa_float_round_mode_16_64 0
		.amdhsa_float_denorm_mode_32 3
		.amdhsa_float_denorm_mode_16_64 3
		.amdhsa_dx10_clamp 1
		.amdhsa_ieee_mode 1
		.amdhsa_fp16_overflow 0
		.amdhsa_exception_fp_ieee_invalid_op 0
		.amdhsa_exception_fp_denorm_src 0
		.amdhsa_exception_fp_ieee_div_zero 0
		.amdhsa_exception_fp_ieee_overflow 0
		.amdhsa_exception_fp_ieee_underflow 0
		.amdhsa_exception_fp_ieee_inexact 0
		.amdhsa_exception_int_div_zero 0
	.end_amdhsa_kernel
	.section	.text._ZL23rocblas_dot_kernel_inc1ILb0ELi512ELi8ELb1EDF16_PKPKDF16_DF16_EviT4_llS4_lliPT5_PT3_,"axG",@progbits,_ZL23rocblas_dot_kernel_inc1ILb0ELi512ELi8ELb1EDF16_PKPKDF16_DF16_EviT4_llS4_lliPT5_PT3_,comdat
.Lfunc_end189:
	.size	_ZL23rocblas_dot_kernel_inc1ILb0ELi512ELi8ELb1EDF16_PKPKDF16_DF16_EviT4_llS4_lliPT5_PT3_, .Lfunc_end189-_ZL23rocblas_dot_kernel_inc1ILb0ELi512ELi8ELb1EDF16_PKPKDF16_DF16_EviT4_llS4_lliPT5_PT3_
                                        ; -- End function
	.set _ZL23rocblas_dot_kernel_inc1ILb0ELi512ELi8ELb1EDF16_PKPKDF16_DF16_EviT4_llS4_lliPT5_PT3_.num_vgpr, 14
	.set _ZL23rocblas_dot_kernel_inc1ILb0ELi512ELi8ELb1EDF16_PKPKDF16_DF16_EviT4_llS4_lliPT5_PT3_.num_agpr, 0
	.set _ZL23rocblas_dot_kernel_inc1ILb0ELi512ELi8ELb1EDF16_PKPKDF16_DF16_EviT4_llS4_lliPT5_PT3_.numbered_sgpr, 28
	.set _ZL23rocblas_dot_kernel_inc1ILb0ELi512ELi8ELb1EDF16_PKPKDF16_DF16_EviT4_llS4_lliPT5_PT3_.num_named_barrier, 0
	.set _ZL23rocblas_dot_kernel_inc1ILb0ELi512ELi8ELb1EDF16_PKPKDF16_DF16_EviT4_llS4_lliPT5_PT3_.private_seg_size, 0
	.set _ZL23rocblas_dot_kernel_inc1ILb0ELi512ELi8ELb1EDF16_PKPKDF16_DF16_EviT4_llS4_lliPT5_PT3_.uses_vcc, 1
	.set _ZL23rocblas_dot_kernel_inc1ILb0ELi512ELi8ELb1EDF16_PKPKDF16_DF16_EviT4_llS4_lliPT5_PT3_.uses_flat_scratch, 0
	.set _ZL23rocblas_dot_kernel_inc1ILb0ELi512ELi8ELb1EDF16_PKPKDF16_DF16_EviT4_llS4_lliPT5_PT3_.has_dyn_sized_stack, 0
	.set _ZL23rocblas_dot_kernel_inc1ILb0ELi512ELi8ELb1EDF16_PKPKDF16_DF16_EviT4_llS4_lliPT5_PT3_.has_recursion, 0
	.set _ZL23rocblas_dot_kernel_inc1ILb0ELi512ELi8ELb1EDF16_PKPKDF16_DF16_EviT4_llS4_lliPT5_PT3_.has_indirect_call, 0
	.section	.AMDGPU.csdata,"",@progbits
; Kernel info:
; codeLenInByte = 976
; TotalNumSgprs: 32
; NumVgprs: 14
; ScratchSize: 0
; MemoryBound: 0
; FloatMode: 240
; IeeeMode: 1
; LDSByteSize: 128 bytes/workgroup (compile time only)
; SGPRBlocks: 3
; VGPRBlocks: 3
; NumSGPRsForWavesPerEU: 32
; NumVGPRsForWavesPerEU: 14
; Occupancy: 10
; WaveLimiterHint : 1
; COMPUTE_PGM_RSRC2:SCRATCH_EN: 0
; COMPUTE_PGM_RSRC2:USER_SGPR: 6
; COMPUTE_PGM_RSRC2:TRAP_HANDLER: 0
; COMPUTE_PGM_RSRC2:TGID_X_EN: 1
; COMPUTE_PGM_RSRC2:TGID_Y_EN: 0
; COMPUTE_PGM_RSRC2:TGID_Z_EN: 1
; COMPUTE_PGM_RSRC2:TIDIG_COMP_CNT: 0
	.section	.text._ZL18rocblas_dot_kernelIiLb0ELi512ELi8ELb1EDF16_PKPKDF16_DF16_EviT5_lT_lS4_lS5_liPT6_PT4_,"axG",@progbits,_ZL18rocblas_dot_kernelIiLb0ELi512ELi8ELb1EDF16_PKPKDF16_DF16_EviT5_lT_lS4_lS5_liPT6_PT4_,comdat
	.globl	_ZL18rocblas_dot_kernelIiLb0ELi512ELi8ELb1EDF16_PKPKDF16_DF16_EviT5_lT_lS4_lS5_liPT6_PT4_ ; -- Begin function _ZL18rocblas_dot_kernelIiLb0ELi512ELi8ELb1EDF16_PKPKDF16_DF16_EviT5_lT_lS4_lS5_liPT6_PT4_
	.p2align	8
	.type	_ZL18rocblas_dot_kernelIiLb0ELi512ELi8ELb1EDF16_PKPKDF16_DF16_EviT5_lT_lS4_lS5_liPT6_PT4_,@function
_ZL18rocblas_dot_kernelIiLb0ELi512ELi8ELb1EDF16_PKPKDF16_DF16_EviT5_lT_lS4_lS5_liPT6_PT4_: ; @_ZL18rocblas_dot_kernelIiLb0ELi512ELi8ELb1EDF16_PKPKDF16_DF16_EviT5_lT_lS4_lS5_liPT6_PT4_
; %bb.0:
	s_mov_b32 s2, s7
	s_load_dword s18, s[4:5], 0x60
	s_load_dword s7, s[4:5], 0x0
	s_load_dwordx4 s[8:11], s[4:5], 0x50
	v_lshl_or_b32 v3, s6, 9, v0
	s_mov_b32 s3, 0
	v_mov_b32_e32 v5, 0
	s_waitcnt lgkmcnt(0)
	v_cmp_gt_i32_e32 vcc, s7, v3
	s_and_saveexec_b64 s[12:13], vcc
	s_cbranch_execz .LBB190_4
; %bb.1:
	s_load_dwordx4 s[20:23], s[4:5], 0x8
	s_load_dword s16, s[4:5], 0x18
	s_load_dwordx4 s[24:27], s[4:5], 0x28
	s_load_dword s17, s[4:5], 0x38
	s_lshl_b64 s[0:1], s[2:3], 3
	s_waitcnt lgkmcnt(0)
	s_add_u32 s4, s20, s0
	s_addc_u32 s5, s21, s1
	s_load_dwordx2 s[4:5], s[4:5], 0x0
	v_mad_i64_i32 v[1:2], s[14:15], s16, v3, 0
	s_add_u32 s0, s24, s0
	s_addc_u32 s1, s25, s1
	s_lshl_b32 s19, s18, 9
	s_lshl_b64 s[14:15], s[22:23], 1
	v_lshlrev_b64 v[1:2], 1, v[1:2]
	s_waitcnt lgkmcnt(0)
	s_add_u32 s4, s4, s14
	s_addc_u32 s5, s5, s15
	s_load_dwordx2 s[0:1], s[0:1], 0x0
	v_mov_b32_e32 v4, s5
	v_add_co_u32_e32 v1, vcc, s4, v1
	v_add_u32_e32 v6, s19, v3
	v_addc_co_u32_e32 v2, vcc, v4, v2, vcc
	v_mad_i64_i32 v[3:4], s[4:5], s17, v3, 0
	s_mul_hi_i32 s5, s16, s19
	s_mul_i32 s4, s16, s19
	s_lshl_b64 s[4:5], s[4:5], 1
	s_lshl_b64 s[14:15], s[26:27], 1
	v_lshlrev_b64 v[3:4], 1, v[3:4]
	s_waitcnt lgkmcnt(0)
	s_add_u32 s0, s0, s14
	s_addc_u32 s1, s1, s15
	v_mov_b32_e32 v5, s1
	v_add_co_u32_e32 v3, vcc, s0, v3
	s_mul_hi_i32 s1, s17, s19
	s_mul_i32 s0, s17, s19
	s_lshl_b64 s[14:15], s[0:1], 1
	v_addc_co_u32_e32 v4, vcc, v5, v4, vcc
	v_mov_b32_e32 v5, 0
	s_mov_b64 s[16:17], 0
	v_mov_b32_e32 v7, s5
	v_mov_b32_e32 v8, s15
	s_mov_b32 s5, s3
.LBB190_2:                              ; =>This Inner Loop Header: Depth=1
	flat_load_ushort v9, v[3:4]
	flat_load_ushort v10, v[1:2]
	v_add_co_u32_e64 v1, s[0:1], s4, v1
	v_addc_co_u32_e64 v2, s[0:1], v2, v7, s[0:1]
	s_add_i32 s15, s5, 1
	v_add_co_u32_e64 v3, s[0:1], s14, v3
	v_addc_co_u32_e64 v4, s[0:1], v4, v8, s[0:1]
	s_cmp_gt_u32 s5, 6
	v_cmp_le_i32_e32 vcc, s7, v6
	s_cselect_b64 s[0:1], -1, 0
	s_or_b64 s[0:1], s[0:1], vcc
	s_and_b64 s[0:1], exec, s[0:1]
	v_add_u32_e32 v6, s19, v6
	s_mov_b32 s5, s15
	s_or_b64 s[16:17], s[0:1], s[16:17]
	s_waitcnt vmcnt(0) lgkmcnt(0)
	v_fma_f16 v5, v9, v10, v5
	s_andn2_b64 exec, exec, s[16:17]
	s_cbranch_execnz .LBB190_2
; %bb.3:
	s_or_b64 exec, exec, s[16:17]
.LBB190_4:
	s_or_b64 exec, exec, s[12:13]
	v_and_b32_e32 v2, 63, v0
	v_cmp_gt_u32_e32 vcc, 64, v0
	v_lshlrev_b32_e32 v1, 1, v2
	s_and_saveexec_b64 s[0:1], vcc
; %bb.5:
	v_mov_b32_e32 v3, 0
	ds_write_b16 v1, v3
; %bb.6:
	s_or_b64 exec, exec, s[0:1]
	v_mbcnt_lo_u32_b32 v3, -1, 0
	v_mbcnt_hi_u32_b32 v6, -1, v3
	v_mov_b32_e32 v4, 0x80
	v_and_b32_e32 v3, 0xffff, v5
	v_lshl_or_b32 v4, v6, 2, v4
	ds_bpermute_b32 v3, v4, v3
	v_and_b32_e32 v7, 63, v6
	v_cmp_gt_u32_e64 s[0:1], 48, v7
	s_mov_b32 s4, 0xffff0000
	s_waitcnt lgkmcnt(0)
	v_add_f16_e32 v4, v5, v3
	v_cndmask_b32_e64 v5, 0, 16, s[0:1]
	v_and_or_b32 v3, v3, s4, v4
	v_add_lshl_u32 v5, v5, v6, 2
	ds_bpermute_b32 v3, v5, v3
	v_cmp_gt_u32_e64 s[0:1], 56, v7
	v_cndmask_b32_e64 v5, 0, 8, s[0:1]
	v_add_lshl_u32 v5, v5, v6, 2
	v_cmp_gt_u32_e64 s[0:1], 60, v7
	s_waitcnt lgkmcnt(0)
	v_add_f16_e32 v4, v4, v3
	v_and_or_b32 v3, v3, s4, v4
	ds_bpermute_b32 v3, v5, v3
	v_cndmask_b32_e64 v5, 0, 4, s[0:1]
	v_cmp_gt_u32_e64 s[0:1], 62, v7
	s_waitcnt lgkmcnt(0)
	s_barrier
	v_add_f16_e32 v8, v4, v3
	v_and_or_b32 v4, v3, s4, v8
	v_add_lshl_u32 v3, v5, v6, 2
	ds_bpermute_b32 v5, v3, v4
	v_cndmask_b32_e64 v4, 0, 2, s[0:1]
	v_add_lshl_u32 v4, v4, v6, 2
	v_cmp_ne_u32_e64 s[0:1], 63, v7
	v_addc_co_u32_e64 v7, s[0:1], 0, v6, s[0:1]
	s_waitcnt lgkmcnt(0)
	v_add_f16_e32 v8, v8, v5
	v_and_or_b32 v5, v5, s4, v8
	ds_bpermute_b32 v5, v4, v5
	v_cmp_eq_u32_e64 s[0:1], 0, v2
	s_waitcnt lgkmcnt(0)
	v_add_f16_e32 v6, v8, v5
	v_and_or_b32 v8, v5, s4, v6
	v_lshlrev_b32_e32 v5, 2, v7
	ds_bpermute_b32 v7, v5, v8
	s_and_saveexec_b64 s[4:5], s[0:1]
	s_cbranch_execz .LBB190_8
; %bb.7:
	s_waitcnt lgkmcnt(0)
	v_add_f16_e32 v2, v6, v7
	v_lshrrev_b32_e32 v6, 5, v0
	v_and_b32_e32 v6, 14, v6
	ds_write_b16 v6, v2
.LBB190_8:
	s_or_b64 exec, exec, s[4:5]
	v_cmp_gt_u32_e64 s[0:1], 8, v0
	v_mov_b32_e32 v2, 0
	s_waitcnt lgkmcnt(0)
	s_barrier
	s_and_saveexec_b64 s[4:5], s[0:1]
	s_cbranch_execnz .LBB190_12
; %bb.9:
	s_or_b64 exec, exec, s[4:5]
	s_and_saveexec_b64 s[0:1], vcc
	s_cbranch_execnz .LBB190_13
.LBB190_10:
	s_or_b64 exec, exec, s[0:1]
	v_cmp_eq_u32_e32 vcc, 0, v0
	s_and_saveexec_b64 s[0:1], vcc
	s_cbranch_execnz .LBB190_14
.LBB190_11:
	s_endpgm
.LBB190_12:
	ds_read_u16 v2, v1
	s_or_b64 exec, exec, s[4:5]
	s_and_saveexec_b64 s[0:1], vcc
	s_cbranch_execz .LBB190_10
.LBB190_13:
	s_waitcnt lgkmcnt(0)
	v_and_b32_e32 v1, 0xffff, v2
	ds_bpermute_b32 v1, v3, v1
	s_mov_b32 s4, 0xffff0000
	s_waitcnt lgkmcnt(0)
	v_add_f16_e32 v2, v2, v1
	v_and_or_b32 v1, v1, s4, v2
	ds_bpermute_b32 v1, v4, v1
	s_waitcnt lgkmcnt(0)
	v_add_f16_e32 v2, v2, v1
	v_and_or_b32 v1, v1, s4, v2
	ds_bpermute_b32 v1, v5, v1
	s_waitcnt lgkmcnt(0)
	v_add_f16_e32 v2, v2, v1
	s_or_b64 exec, exec, s[0:1]
	v_cmp_eq_u32_e32 vcc, 0, v0
	s_and_saveexec_b64 s[0:1], vcc
	s_cbranch_execz .LBB190_11
.LBB190_14:
	s_cmp_lg_u32 s18, 1
	s_mov_b64 s[0:1], -1
	s_cbranch_scc0 .LBB190_16
; %bb.15:
	s_mul_hi_u32 s1, s18, s2
	s_mul_i32 s0, s18, s2
	s_lshl_b64 s[0:1], s[0:1], 1
	s_mov_b32 s7, 0
	s_add_u32 s4, s8, s0
	s_addc_u32 s5, s9, s1
	s_lshl_b64 s[0:1], s[6:7], 1
	s_add_u32 s0, s4, s0
	s_addc_u32 s1, s5, s1
	v_mov_b32_e32 v0, 0
	s_waitcnt lgkmcnt(0)
	global_store_short v0, v2, s[0:1]
	s_mov_b64 s[0:1], 0
.LBB190_16:
	s_andn2_b64 vcc, exec, s[0:1]
	s_cbranch_vccnz .LBB190_11
; %bb.17:
	s_lshl_b64 s[0:1], s[2:3], 1
	s_add_u32 s0, s10, s0
	s_addc_u32 s1, s11, s1
	v_mov_b32_e32 v0, 0
	s_waitcnt lgkmcnt(0)
	global_store_short v0, v2, s[0:1]
	s_endpgm
	.section	.rodata,"a",@progbits
	.p2align	6, 0x0
	.amdhsa_kernel _ZL18rocblas_dot_kernelIiLb0ELi512ELi8ELb1EDF16_PKPKDF16_DF16_EviT5_lT_lS4_lS5_liPT6_PT4_
		.amdhsa_group_segment_fixed_size 128
		.amdhsa_private_segment_fixed_size 0
		.amdhsa_kernarg_size 352
		.amdhsa_user_sgpr_count 6
		.amdhsa_user_sgpr_private_segment_buffer 1
		.amdhsa_user_sgpr_dispatch_ptr 0
		.amdhsa_user_sgpr_queue_ptr 0
		.amdhsa_user_sgpr_kernarg_segment_ptr 1
		.amdhsa_user_sgpr_dispatch_id 0
		.amdhsa_user_sgpr_flat_scratch_init 0
		.amdhsa_user_sgpr_private_segment_size 0
		.amdhsa_uses_dynamic_stack 0
		.amdhsa_system_sgpr_private_segment_wavefront_offset 0
		.amdhsa_system_sgpr_workgroup_id_x 1
		.amdhsa_system_sgpr_workgroup_id_y 0
		.amdhsa_system_sgpr_workgroup_id_z 1
		.amdhsa_system_sgpr_workgroup_info 0
		.amdhsa_system_vgpr_workitem_id 0
		.amdhsa_next_free_vgpr 11
		.amdhsa_next_free_sgpr 28
		.amdhsa_reserve_vcc 1
		.amdhsa_reserve_flat_scratch 0
		.amdhsa_float_round_mode_32 0
		.amdhsa_float_round_mode_16_64 0
		.amdhsa_float_denorm_mode_32 3
		.amdhsa_float_denorm_mode_16_64 3
		.amdhsa_dx10_clamp 1
		.amdhsa_ieee_mode 1
		.amdhsa_fp16_overflow 0
		.amdhsa_exception_fp_ieee_invalid_op 0
		.amdhsa_exception_fp_denorm_src 0
		.amdhsa_exception_fp_ieee_div_zero 0
		.amdhsa_exception_fp_ieee_overflow 0
		.amdhsa_exception_fp_ieee_underflow 0
		.amdhsa_exception_fp_ieee_inexact 0
		.amdhsa_exception_int_div_zero 0
	.end_amdhsa_kernel
	.section	.text._ZL18rocblas_dot_kernelIiLb0ELi512ELi8ELb1EDF16_PKPKDF16_DF16_EviT5_lT_lS4_lS5_liPT6_PT4_,"axG",@progbits,_ZL18rocblas_dot_kernelIiLb0ELi512ELi8ELb1EDF16_PKPKDF16_DF16_EviT5_lT_lS4_lS5_liPT6_PT4_,comdat
.Lfunc_end190:
	.size	_ZL18rocblas_dot_kernelIiLb0ELi512ELi8ELb1EDF16_PKPKDF16_DF16_EviT5_lT_lS4_lS5_liPT6_PT4_, .Lfunc_end190-_ZL18rocblas_dot_kernelIiLb0ELi512ELi8ELb1EDF16_PKPKDF16_DF16_EviT5_lT_lS4_lS5_liPT6_PT4_
                                        ; -- End function
	.set _ZL18rocblas_dot_kernelIiLb0ELi512ELi8ELb1EDF16_PKPKDF16_DF16_EviT5_lT_lS4_lS5_liPT6_PT4_.num_vgpr, 11
	.set _ZL18rocblas_dot_kernelIiLb0ELi512ELi8ELb1EDF16_PKPKDF16_DF16_EviT5_lT_lS4_lS5_liPT6_PT4_.num_agpr, 0
	.set _ZL18rocblas_dot_kernelIiLb0ELi512ELi8ELb1EDF16_PKPKDF16_DF16_EviT5_lT_lS4_lS5_liPT6_PT4_.numbered_sgpr, 28
	.set _ZL18rocblas_dot_kernelIiLb0ELi512ELi8ELb1EDF16_PKPKDF16_DF16_EviT5_lT_lS4_lS5_liPT6_PT4_.num_named_barrier, 0
	.set _ZL18rocblas_dot_kernelIiLb0ELi512ELi8ELb1EDF16_PKPKDF16_DF16_EviT5_lT_lS4_lS5_liPT6_PT4_.private_seg_size, 0
	.set _ZL18rocblas_dot_kernelIiLb0ELi512ELi8ELb1EDF16_PKPKDF16_DF16_EviT5_lT_lS4_lS5_liPT6_PT4_.uses_vcc, 1
	.set _ZL18rocblas_dot_kernelIiLb0ELi512ELi8ELb1EDF16_PKPKDF16_DF16_EviT5_lT_lS4_lS5_liPT6_PT4_.uses_flat_scratch, 0
	.set _ZL18rocblas_dot_kernelIiLb0ELi512ELi8ELb1EDF16_PKPKDF16_DF16_EviT5_lT_lS4_lS5_liPT6_PT4_.has_dyn_sized_stack, 0
	.set _ZL18rocblas_dot_kernelIiLb0ELi512ELi8ELb1EDF16_PKPKDF16_DF16_EviT5_lT_lS4_lS5_liPT6_PT4_.has_recursion, 0
	.set _ZL18rocblas_dot_kernelIiLb0ELi512ELi8ELb1EDF16_PKPKDF16_DF16_EviT5_lT_lS4_lS5_liPT6_PT4_.has_indirect_call, 0
	.section	.AMDGPU.csdata,"",@progbits
; Kernel info:
; codeLenInByte = 1048
; TotalNumSgprs: 32
; NumVgprs: 11
; ScratchSize: 0
; MemoryBound: 0
; FloatMode: 240
; IeeeMode: 1
; LDSByteSize: 128 bytes/workgroup (compile time only)
; SGPRBlocks: 3
; VGPRBlocks: 2
; NumSGPRsForWavesPerEU: 32
; NumVGPRsForWavesPerEU: 11
; Occupancy: 10
; WaveLimiterHint : 0
; COMPUTE_PGM_RSRC2:SCRATCH_EN: 0
; COMPUTE_PGM_RSRC2:USER_SGPR: 6
; COMPUTE_PGM_RSRC2:TRAP_HANDLER: 0
; COMPUTE_PGM_RSRC2:TGID_X_EN: 1
; COMPUTE_PGM_RSRC2:TGID_Y_EN: 0
; COMPUTE_PGM_RSRC2:TGID_Z_EN: 1
; COMPUTE_PGM_RSRC2:TIDIG_COMP_CNT: 0
	.section	.text._ZL24rocblas_dot_kernel_magsqIiLb0ELi512ELi8ELb1EDF16_PKPKDF16_DF16_EviT5_lT_liPT6_PT4_,"axG",@progbits,_ZL24rocblas_dot_kernel_magsqIiLb0ELi512ELi8ELb1EDF16_PKPKDF16_DF16_EviT5_lT_liPT6_PT4_,comdat
	.globl	_ZL24rocblas_dot_kernel_magsqIiLb0ELi512ELi8ELb1EDF16_PKPKDF16_DF16_EviT5_lT_liPT6_PT4_ ; -- Begin function _ZL24rocblas_dot_kernel_magsqIiLb0ELi512ELi8ELb1EDF16_PKPKDF16_DF16_EviT5_lT_liPT6_PT4_
	.p2align	8
	.type	_ZL24rocblas_dot_kernel_magsqIiLb0ELi512ELi8ELb1EDF16_PKPKDF16_DF16_EviT5_lT_liPT6_PT4_,@function
_ZL24rocblas_dot_kernel_magsqIiLb0ELi512ELi8ELb1EDF16_PKPKDF16_DF16_EviT5_lT_liPT6_PT4_: ; @_ZL24rocblas_dot_kernel_magsqIiLb0ELi512ELi8ELb1EDF16_PKPKDF16_DF16_EviT5_lT_liPT6_PT4_
; %bb.0:
	s_mov_b32 s2, s7
	s_load_dword s7, s[4:5], 0x0
	s_load_dwordx4 s[8:11], s[4:5], 0x30
	s_load_dword s16, s[4:5], 0x40
	v_lshl_or_b32 v1, s6, 9, v0
	s_mov_b32 s3, 0
	s_waitcnt lgkmcnt(0)
	v_cmp_gt_i32_e32 vcc, s7, v1
	v_mov_b32_e32 v3, 0
	s_and_saveexec_b64 s[12:13], vcc
	s_cbranch_execz .LBB191_4
; %bb.1:
	s_load_dwordx4 s[20:23], s[4:5], 0x8
	s_load_dword s14, s[4:5], 0x18
	s_lshl_b64 s[0:1], s[2:3], 3
	s_waitcnt lgkmcnt(0)
	s_add_u32 s0, s20, s0
	s_addc_u32 s1, s21, s1
	s_load_dwordx2 s[0:1], s[0:1], 0x0
	v_mad_i64_i32 v[2:3], s[4:5], s14, v1, 0
	s_lshl_b32 s17, s16, 9
	s_lshl_b64 s[4:5], s[22:23], 1
	v_add_u32_e32 v4, s17, v1
	v_lshlrev_b64 v[1:2], 1, v[2:3]
	s_waitcnt lgkmcnt(0)
	s_add_u32 s0, s0, s4
	s_addc_u32 s1, s1, s5
	v_mov_b32_e32 v3, s1
	v_add_co_u32_e32 v1, vcc, s0, v1
	s_mul_hi_i32 s1, s14, s17
	s_mul_i32 s0, s14, s17
	s_lshl_b64 s[4:5], s[0:1], 1
	v_addc_co_u32_e32 v2, vcc, v3, v2, vcc
	v_mov_b32_e32 v3, 0
	s_mov_b64 s[14:15], 0
	v_mov_b32_e32 v5, s5
	s_mov_b32 s5, s3
.LBB191_2:                              ; =>This Inner Loop Header: Depth=1
	flat_load_ushort v6, v[1:2]
	s_add_i32 s18, s5, 1
	v_add_co_u32_e64 v1, s[0:1], s4, v1
	v_addc_co_u32_e64 v2, s[0:1], v2, v5, s[0:1]
	s_cmp_gt_u32 s5, 6
	v_cmp_le_i32_e32 vcc, s7, v4
	s_cselect_b64 s[0:1], -1, 0
	s_or_b64 s[0:1], s[0:1], vcc
	s_and_b64 s[0:1], exec, s[0:1]
	v_add_u32_e32 v4, s17, v4
	s_mov_b32 s5, s18
	s_or_b64 s[14:15], s[0:1], s[14:15]
	s_waitcnt vmcnt(0) lgkmcnt(0)
	v_fma_f16 v3, v6, v6, v3
	s_andn2_b64 exec, exec, s[14:15]
	s_cbranch_execnz .LBB191_2
; %bb.3:
	s_or_b64 exec, exec, s[14:15]
.LBB191_4:
	s_or_b64 exec, exec, s[12:13]
	v_and_b32_e32 v2, 63, v0
	v_cmp_gt_u32_e32 vcc, 64, v0
	v_lshlrev_b32_e32 v1, 1, v2
	s_and_saveexec_b64 s[0:1], vcc
; %bb.5:
	v_mov_b32_e32 v4, 0
	ds_write_b16 v1, v4
; %bb.6:
	s_or_b64 exec, exec, s[0:1]
	v_mbcnt_lo_u32_b32 v4, -1, 0
	v_mbcnt_hi_u32_b32 v5, -1, v4
	v_mov_b32_e32 v6, 0x80
	v_and_b32_e32 v4, 0xffff, v3
	v_lshl_or_b32 v6, v5, 2, v6
	ds_bpermute_b32 v4, v6, v4
	v_and_b32_e32 v6, 63, v5
	v_cmp_gt_u32_e64 s[0:1], 48, v6
	s_mov_b32 s4, 0xffff0000
	v_cndmask_b32_e64 v7, 0, 16, s[0:1]
	s_waitcnt lgkmcnt(0)
	v_add_f16_e32 v3, v3, v4
	v_and_or_b32 v4, v4, s4, v3
	v_add_lshl_u32 v7, v7, v5, 2
	ds_bpermute_b32 v4, v7, v4
	v_cmp_gt_u32_e64 s[0:1], 56, v6
	v_cndmask_b32_e64 v7, 0, 8, s[0:1]
	v_add_lshl_u32 v7, v7, v5, 2
	v_cmp_gt_u32_e64 s[0:1], 60, v6
	s_waitcnt lgkmcnt(0)
	v_add_f16_e32 v3, v3, v4
	v_and_or_b32 v4, v4, s4, v3
	ds_bpermute_b32 v4, v7, v4
	v_cndmask_b32_e64 v7, 0, 4, s[0:1]
	v_cmp_gt_u32_e64 s[0:1], 62, v6
	s_waitcnt lgkmcnt(0)
	s_barrier
	v_add_f16_e32 v8, v3, v4
	v_and_or_b32 v4, v4, s4, v8
	v_add_lshl_u32 v3, v7, v5, 2
	ds_bpermute_b32 v7, v3, v4
	v_cndmask_b32_e64 v4, 0, 2, s[0:1]
	v_add_lshl_u32 v4, v4, v5, 2
	v_cmp_ne_u32_e64 s[0:1], 63, v6
	v_addc_co_u32_e64 v5, s[0:1], 0, v5, s[0:1]
	s_waitcnt lgkmcnt(0)
	v_add_f16_e32 v8, v8, v7
	v_and_or_b32 v7, v7, s4, v8
	ds_bpermute_b32 v7, v4, v7
	v_lshlrev_b32_e32 v5, 2, v5
	v_cmp_eq_u32_e64 s[0:1], 0, v2
	s_waitcnt lgkmcnt(0)
	v_add_f16_e32 v6, v8, v7
	v_and_or_b32 v7, v7, s4, v6
	ds_bpermute_b32 v7, v5, v7
	s_and_saveexec_b64 s[4:5], s[0:1]
	s_cbranch_execz .LBB191_8
; %bb.7:
	s_waitcnt lgkmcnt(0)
	v_add_f16_e32 v2, v6, v7
	v_lshrrev_b32_e32 v6, 5, v0
	v_and_b32_e32 v6, 14, v6
	ds_write_b16 v6, v2
.LBB191_8:
	s_or_b64 exec, exec, s[4:5]
	v_cmp_gt_u32_e64 s[0:1], 8, v0
	v_mov_b32_e32 v2, 0
	s_waitcnt lgkmcnt(0)
	s_barrier
	s_and_saveexec_b64 s[4:5], s[0:1]
	s_cbranch_execnz .LBB191_12
; %bb.9:
	s_or_b64 exec, exec, s[4:5]
	s_and_saveexec_b64 s[0:1], vcc
	s_cbranch_execnz .LBB191_13
.LBB191_10:
	s_or_b64 exec, exec, s[0:1]
	v_cmp_eq_u32_e32 vcc, 0, v0
	s_and_saveexec_b64 s[0:1], vcc
	s_cbranch_execnz .LBB191_14
.LBB191_11:
	s_endpgm
.LBB191_12:
	ds_read_u16 v2, v1
	s_or_b64 exec, exec, s[4:5]
	s_and_saveexec_b64 s[0:1], vcc
	s_cbranch_execz .LBB191_10
.LBB191_13:
	s_waitcnt lgkmcnt(0)
	v_and_b32_e32 v1, 0xffff, v2
	ds_bpermute_b32 v1, v3, v1
	s_mov_b32 s4, 0xffff0000
	s_waitcnt lgkmcnt(0)
	v_add_f16_e32 v2, v2, v1
	v_and_or_b32 v1, v1, s4, v2
	ds_bpermute_b32 v1, v4, v1
	s_waitcnt lgkmcnt(0)
	v_add_f16_e32 v2, v2, v1
	v_and_or_b32 v1, v1, s4, v2
	ds_bpermute_b32 v1, v5, v1
	s_waitcnt lgkmcnt(0)
	v_add_f16_e32 v2, v2, v1
	s_or_b64 exec, exec, s[0:1]
	v_cmp_eq_u32_e32 vcc, 0, v0
	s_and_saveexec_b64 s[0:1], vcc
	s_cbranch_execz .LBB191_11
.LBB191_14:
	s_cmp_lg_u32 s16, 1
	s_mov_b64 s[0:1], -1
	s_cbranch_scc0 .LBB191_16
; %bb.15:
	s_mul_hi_u32 s1, s16, s2
	s_mul_i32 s0, s16, s2
	s_lshl_b64 s[0:1], s[0:1], 1
	s_mov_b32 s7, 0
	s_add_u32 s4, s8, s0
	s_addc_u32 s5, s9, s1
	s_lshl_b64 s[0:1], s[6:7], 1
	s_add_u32 s0, s4, s0
	s_addc_u32 s1, s5, s1
	v_mov_b32_e32 v0, 0
	s_waitcnt lgkmcnt(0)
	global_store_short v0, v2, s[0:1]
	s_mov_b64 s[0:1], 0
.LBB191_16:
	s_andn2_b64 vcc, exec, s[0:1]
	s_cbranch_vccnz .LBB191_11
; %bb.17:
	s_lshl_b64 s[0:1], s[2:3], 1
	s_add_u32 s0, s10, s0
	s_addc_u32 s1, s11, s1
	v_mov_b32_e32 v0, 0
	s_waitcnt lgkmcnt(0)
	global_store_short v0, v2, s[0:1]
	s_endpgm
	.section	.rodata,"a",@progbits
	.p2align	6, 0x0
	.amdhsa_kernel _ZL24rocblas_dot_kernel_magsqIiLb0ELi512ELi8ELb1EDF16_PKPKDF16_DF16_EviT5_lT_liPT6_PT4_
		.amdhsa_group_segment_fixed_size 128
		.amdhsa_private_segment_fixed_size 0
		.amdhsa_kernarg_size 320
		.amdhsa_user_sgpr_count 6
		.amdhsa_user_sgpr_private_segment_buffer 1
		.amdhsa_user_sgpr_dispatch_ptr 0
		.amdhsa_user_sgpr_queue_ptr 0
		.amdhsa_user_sgpr_kernarg_segment_ptr 1
		.amdhsa_user_sgpr_dispatch_id 0
		.amdhsa_user_sgpr_flat_scratch_init 0
		.amdhsa_user_sgpr_private_segment_size 0
		.amdhsa_uses_dynamic_stack 0
		.amdhsa_system_sgpr_private_segment_wavefront_offset 0
		.amdhsa_system_sgpr_workgroup_id_x 1
		.amdhsa_system_sgpr_workgroup_id_y 0
		.amdhsa_system_sgpr_workgroup_id_z 1
		.amdhsa_system_sgpr_workgroup_info 0
		.amdhsa_system_vgpr_workitem_id 0
		.amdhsa_next_free_vgpr 9
		.amdhsa_next_free_sgpr 24
		.amdhsa_reserve_vcc 1
		.amdhsa_reserve_flat_scratch 0
		.amdhsa_float_round_mode_32 0
		.amdhsa_float_round_mode_16_64 0
		.amdhsa_float_denorm_mode_32 3
		.amdhsa_float_denorm_mode_16_64 3
		.amdhsa_dx10_clamp 1
		.amdhsa_ieee_mode 1
		.amdhsa_fp16_overflow 0
		.amdhsa_exception_fp_ieee_invalid_op 0
		.amdhsa_exception_fp_denorm_src 0
		.amdhsa_exception_fp_ieee_div_zero 0
		.amdhsa_exception_fp_ieee_overflow 0
		.amdhsa_exception_fp_ieee_underflow 0
		.amdhsa_exception_fp_ieee_inexact 0
		.amdhsa_exception_int_div_zero 0
	.end_amdhsa_kernel
	.section	.text._ZL24rocblas_dot_kernel_magsqIiLb0ELi512ELi8ELb1EDF16_PKPKDF16_DF16_EviT5_lT_liPT6_PT4_,"axG",@progbits,_ZL24rocblas_dot_kernel_magsqIiLb0ELi512ELi8ELb1EDF16_PKPKDF16_DF16_EviT5_lT_liPT6_PT4_,comdat
.Lfunc_end191:
	.size	_ZL24rocblas_dot_kernel_magsqIiLb0ELi512ELi8ELb1EDF16_PKPKDF16_DF16_EviT5_lT_liPT6_PT4_, .Lfunc_end191-_ZL24rocblas_dot_kernel_magsqIiLb0ELi512ELi8ELb1EDF16_PKPKDF16_DF16_EviT5_lT_liPT6_PT4_
                                        ; -- End function
	.set _ZL24rocblas_dot_kernel_magsqIiLb0ELi512ELi8ELb1EDF16_PKPKDF16_DF16_EviT5_lT_liPT6_PT4_.num_vgpr, 9
	.set _ZL24rocblas_dot_kernel_magsqIiLb0ELi512ELi8ELb1EDF16_PKPKDF16_DF16_EviT5_lT_liPT6_PT4_.num_agpr, 0
	.set _ZL24rocblas_dot_kernel_magsqIiLb0ELi512ELi8ELb1EDF16_PKPKDF16_DF16_EviT5_lT_liPT6_PT4_.numbered_sgpr, 24
	.set _ZL24rocblas_dot_kernel_magsqIiLb0ELi512ELi8ELb1EDF16_PKPKDF16_DF16_EviT5_lT_liPT6_PT4_.num_named_barrier, 0
	.set _ZL24rocblas_dot_kernel_magsqIiLb0ELi512ELi8ELb1EDF16_PKPKDF16_DF16_EviT5_lT_liPT6_PT4_.private_seg_size, 0
	.set _ZL24rocblas_dot_kernel_magsqIiLb0ELi512ELi8ELb1EDF16_PKPKDF16_DF16_EviT5_lT_liPT6_PT4_.uses_vcc, 1
	.set _ZL24rocblas_dot_kernel_magsqIiLb0ELi512ELi8ELb1EDF16_PKPKDF16_DF16_EviT5_lT_liPT6_PT4_.uses_flat_scratch, 0
	.set _ZL24rocblas_dot_kernel_magsqIiLb0ELi512ELi8ELb1EDF16_PKPKDF16_DF16_EviT5_lT_liPT6_PT4_.has_dyn_sized_stack, 0
	.set _ZL24rocblas_dot_kernel_magsqIiLb0ELi512ELi8ELb1EDF16_PKPKDF16_DF16_EviT5_lT_liPT6_PT4_.has_recursion, 0
	.set _ZL24rocblas_dot_kernel_magsqIiLb0ELi512ELi8ELb1EDF16_PKPKDF16_DF16_EviT5_lT_liPT6_PT4_.has_indirect_call, 0
	.section	.AMDGPU.csdata,"",@progbits
; Kernel info:
; codeLenInByte = 932
; TotalNumSgprs: 28
; NumVgprs: 9
; ScratchSize: 0
; MemoryBound: 0
; FloatMode: 240
; IeeeMode: 1
; LDSByteSize: 128 bytes/workgroup (compile time only)
; SGPRBlocks: 3
; VGPRBlocks: 2
; NumSGPRsForWavesPerEU: 28
; NumVGPRsForWavesPerEU: 9
; Occupancy: 10
; WaveLimiterHint : 0
; COMPUTE_PGM_RSRC2:SCRATCH_EN: 0
; COMPUTE_PGM_RSRC2:USER_SGPR: 6
; COMPUTE_PGM_RSRC2:TRAP_HANDLER: 0
; COMPUTE_PGM_RSRC2:TGID_X_EN: 1
; COMPUTE_PGM_RSRC2:TGID_Y_EN: 0
; COMPUTE_PGM_RSRC2:TGID_Z_EN: 1
; COMPUTE_PGM_RSRC2:TIDIG_COMP_CNT: 0
	.section	.text._ZL28rocblas_dot_batched_4_kernelIiLi32ELi4ELb1Ef16rocblas_bfloat16PKS0_EviT5_lT_lS3_lS4_liPT4_,"axG",@progbits,_ZL28rocblas_dot_batched_4_kernelIiLi32ELi4ELb1Ef16rocblas_bfloat16PKS0_EviT5_lT_lS3_lS4_liPT4_,comdat
	.globl	_ZL28rocblas_dot_batched_4_kernelIiLi32ELi4ELb1Ef16rocblas_bfloat16PKS0_EviT5_lT_lS3_lS4_liPT4_ ; -- Begin function _ZL28rocblas_dot_batched_4_kernelIiLi32ELi4ELb1Ef16rocblas_bfloat16PKS0_EviT5_lT_lS3_lS4_liPT4_
	.p2align	8
	.type	_ZL28rocblas_dot_batched_4_kernelIiLi32ELi4ELb1Ef16rocblas_bfloat16PKS0_EviT5_lT_lS3_lS4_liPT4_,@function
_ZL28rocblas_dot_batched_4_kernelIiLi32ELi4ELb1Ef16rocblas_bfloat16PKS0_EviT5_lT_lS3_lS4_liPT4_: ; @_ZL28rocblas_dot_batched_4_kernelIiLi32ELi4ELb1Ef16rocblas_bfloat16PKS0_EviT5_lT_lS3_lS4_liPT4_
; %bb.0:
	s_load_dword s0, s[4:5], 0x48
	v_lshl_add_u32 v1, s6, 2, v1
	s_waitcnt lgkmcnt(0)
	v_cmp_gt_u32_e32 vcc, s0, v1
	s_and_saveexec_b64 s[0:1], vcc
	s_cbranch_execz .LBB192_11
; %bb.1:
	s_load_dword s12, s[4:5], 0x0
	s_load_dwordx2 s[6:7], s[4:5], 0x50
	v_mov_b32_e32 v2, 0
	v_mov_b32_e32 v7, v2
	s_waitcnt lgkmcnt(0)
	v_cmp_gt_i32_e32 vcc, s12, v0
	s_and_saveexec_b64 s[8:9], vcc
	s_cbranch_execz .LBB192_5
; %bb.2:
	s_load_dwordx4 s[0:3], s[4:5], 0x20
	s_load_dwordx4 s[16:19], s[4:5], 0x8
	s_load_dword s10, s[4:5], 0x18
	s_load_dwordx2 s[14:15], s[4:5], 0x30
	s_waitcnt lgkmcnt(0)
	v_mad_u64_u32 v[3:4], s[20:21], s0, v1, 0
	s_load_dword s0, s[4:5], 0x38
	s_load_dwordx2 s[20:21], s[4:5], 0x40
	v_mad_i64_i32 v[5:6], s[4:5], s10, v0, 0
	s_ashr_i32 s11, s10, 31
	v_mad_u64_u32 v[7:8], s[4:5], s1, v1, v[4:5]
	v_lshlrev_b64 v[5:6], 1, v[5:6]
	s_waitcnt lgkmcnt(0)
	s_ashr_i32 s1, s0, 31
	v_mov_b32_e32 v4, v7
	v_lshlrev_b64 v[3:4], 1, v[3:4]
	s_lshl_b64 s[4:5], s[18:19], 1
	v_add_co_u32_e32 v11, vcc, v5, v3
	s_add_u32 s13, s16, s4
	v_addc_co_u32_e32 v4, vcc, v6, v4, vcc
	s_addc_u32 s16, s17, s5
	v_mad_u64_u32 v[5:6], s[4:5], s20, v1, 0
	v_mad_i64_i32 v[7:8], s[4:5], s0, v0, 0
	v_mov_b32_e32 v3, v6
	v_mad_u64_u32 v[9:10], s[4:5], s21, v1, v[3:4]
	v_mov_b32_e32 v12, s16
	v_add_co_u32_e32 v3, vcc, s13, v11
	v_mov_b32_e32 v6, v9
	v_lshlrev_b64 v[7:8], 1, v[7:8]
	v_lshlrev_b64 v[5:6], 1, v[5:6]
	v_addc_co_u32_e32 v4, vcc, v12, v4, vcc
	s_lshl_b64 s[4:5], s[10:11], 6
	s_lshl_b64 s[10:11], s[14:15], 1
	v_add_co_u32_e32 v5, vcc, v7, v5
	s_add_u32 s2, s2, s10
	v_addc_co_u32_e32 v6, vcc, v8, v6, vcc
	s_addc_u32 s3, s3, s11
	v_mov_b32_e32 v7, s3
	v_add_co_u32_e32 v5, vcc, s2, v5
	v_addc_co_u32_e32 v6, vcc, v7, v6, vcc
	s_lshl_b64 s[2:3], s[0:1], 6
	v_mov_b32_e32 v7, 0
	s_mov_b64 s[10:11], 0
	v_mov_b32_e32 v8, v0
.LBB192_3:                              ; =>This Inner Loop Header: Depth=1
	global_load_ushort v9, v[5:6], off
	global_load_ushort v10, v[3:4], off
	v_mov_b32_e32 v12, s3
	v_add_co_u32_e32 v5, vcc, s2, v5
	v_add_u32_e32 v8, 32, v8
	v_addc_co_u32_e32 v6, vcc, v6, v12, vcc
	v_mov_b32_e32 v11, s5
	v_add_co_u32_e64 v3, s[0:1], s4, v3
	v_cmp_le_i32_e32 vcc, s12, v8
	v_addc_co_u32_e64 v4, s[0:1], v4, v11, s[0:1]
	s_or_b64 s[10:11], vcc, s[10:11]
	s_waitcnt vmcnt(1)
	v_lshlrev_b32_e32 v9, 16, v9
	s_waitcnt vmcnt(0)
	v_lshlrev_b32_e32 v10, 16, v10
	v_fmac_f32_e32 v7, v10, v9
	s_andn2_b64 exec, exec, s[10:11]
	s_cbranch_execnz .LBB192_3
; %bb.4:
	s_or_b64 exec, exec, s[10:11]
.LBB192_5:
	s_or_b64 exec, exec, s[8:9]
	v_mbcnt_lo_u32_b32 v3, -1, 0
	v_mbcnt_hi_u32_b32 v3, -1, v3
	v_and_b32_e32 v4, 63, v3
	v_cmp_gt_u32_e32 vcc, 48, v4
	v_cndmask_b32_e64 v5, 0, 16, vcc
	v_add_lshl_u32 v5, v5, v3, 2
	ds_bpermute_b32 v5, v5, v7
	v_cmp_gt_u32_e32 vcc, 56, v4
	v_cndmask_b32_e64 v6, 0, 8, vcc
	v_add_lshl_u32 v6, v6, v3, 2
	v_cmp_gt_u32_e32 vcc, 60, v4
	s_waitcnt lgkmcnt(0)
	v_add_f32_e32 v5, v7, v5
	ds_bpermute_b32 v6, v6, v5
	v_cndmask_b32_e64 v7, 0, 4, vcc
	v_add_lshl_u32 v7, v7, v3, 2
	v_cmp_gt_u32_e32 vcc, 62, v4
	s_waitcnt lgkmcnt(0)
	v_add_f32_e32 v5, v5, v6
	ds_bpermute_b32 v6, v7, v5
	v_cndmask_b32_e64 v7, 0, 2, vcc
	v_add_lshl_u32 v7, v7, v3, 2
	v_cmp_ne_u32_e32 vcc, 63, v4
	v_addc_co_u32_e32 v4, vcc, 0, v3, vcc
	s_waitcnt lgkmcnt(0)
	v_add_f32_e32 v5, v5, v6
	ds_bpermute_b32 v6, v7, v5
	v_lshlrev_b32_e32 v4, 2, v4
	v_cmp_eq_u32_e32 vcc, 0, v0
	s_waitcnt lgkmcnt(0)
	s_barrier
	v_add_f32_e32 v3, v5, v6
	ds_bpermute_b32 v4, v4, v3
	s_and_b64 exec, exec, vcc
	s_cbranch_execz .LBB192_11
; %bb.6:
	s_waitcnt lgkmcnt(0)
	v_add_f32_e32 v3, v3, v4
	s_mov_b32 s0, 0x7f800000
	v_and_b32_e32 v0, 0x7f800000, v3
	v_cmp_ne_u32_e32 vcc, s0, v0
                                        ; implicit-def: $vgpr0
	s_and_saveexec_b64 s[0:1], vcc
	s_xor_b64 s[0:1], exec, s[0:1]
; %bb.7:
	v_bfe_u32 v0, v3, 16, 1
	s_movk_i32 s2, 0x7fff
	v_add3_u32 v0, v3, v0, s2
                                        ; implicit-def: $vgpr3
; %bb.8:
	s_andn2_saveexec_b64 s[0:1], s[0:1]
; %bb.9:
	v_mov_b32_e32 v0, 0
	v_or_b32_e32 v4, 0x10000, v3
	v_cmp_eq_u32_sdwa vcc, v3, v0 src0_sel:WORD_0 src1_sel:DWORD
	v_cndmask_b32_e32 v0, v4, v3, vcc
; %bb.10:
	s_or_b64 exec, exec, s[0:1]
	v_lshlrev_b64 v[1:2], 1, v[1:2]
	v_mov_b32_e32 v3, s7
	v_add_co_u32_e32 v1, vcc, s6, v1
	v_addc_co_u32_e32 v2, vcc, v3, v2, vcc
	global_store_short_d16_hi v[1:2], v0, off
.LBB192_11:
	s_endpgm
	.section	.rodata,"a",@progbits
	.p2align	6, 0x0
	.amdhsa_kernel _ZL28rocblas_dot_batched_4_kernelIiLi32ELi4ELb1Ef16rocblas_bfloat16PKS0_EviT5_lT_lS3_lS4_liPT4_
		.amdhsa_group_segment_fixed_size 0
		.amdhsa_private_segment_fixed_size 0
		.amdhsa_kernarg_size 88
		.amdhsa_user_sgpr_count 6
		.amdhsa_user_sgpr_private_segment_buffer 1
		.amdhsa_user_sgpr_dispatch_ptr 0
		.amdhsa_user_sgpr_queue_ptr 0
		.amdhsa_user_sgpr_kernarg_segment_ptr 1
		.amdhsa_user_sgpr_dispatch_id 0
		.amdhsa_user_sgpr_flat_scratch_init 0
		.amdhsa_user_sgpr_private_segment_size 0
		.amdhsa_uses_dynamic_stack 0
		.amdhsa_system_sgpr_private_segment_wavefront_offset 0
		.amdhsa_system_sgpr_workgroup_id_x 1
		.amdhsa_system_sgpr_workgroup_id_y 0
		.amdhsa_system_sgpr_workgroup_id_z 0
		.amdhsa_system_sgpr_workgroup_info 0
		.amdhsa_system_vgpr_workitem_id 1
		.amdhsa_next_free_vgpr 13
		.amdhsa_next_free_sgpr 22
		.amdhsa_reserve_vcc 1
		.amdhsa_reserve_flat_scratch 0
		.amdhsa_float_round_mode_32 0
		.amdhsa_float_round_mode_16_64 0
		.amdhsa_float_denorm_mode_32 3
		.amdhsa_float_denorm_mode_16_64 3
		.amdhsa_dx10_clamp 1
		.amdhsa_ieee_mode 1
		.amdhsa_fp16_overflow 0
		.amdhsa_exception_fp_ieee_invalid_op 0
		.amdhsa_exception_fp_denorm_src 0
		.amdhsa_exception_fp_ieee_div_zero 0
		.amdhsa_exception_fp_ieee_overflow 0
		.amdhsa_exception_fp_ieee_underflow 0
		.amdhsa_exception_fp_ieee_inexact 0
		.amdhsa_exception_int_div_zero 0
	.end_amdhsa_kernel
	.section	.text._ZL28rocblas_dot_batched_4_kernelIiLi32ELi4ELb1Ef16rocblas_bfloat16PKS0_EviT5_lT_lS3_lS4_liPT4_,"axG",@progbits,_ZL28rocblas_dot_batched_4_kernelIiLi32ELi4ELb1Ef16rocblas_bfloat16PKS0_EviT5_lT_lS3_lS4_liPT4_,comdat
.Lfunc_end192:
	.size	_ZL28rocblas_dot_batched_4_kernelIiLi32ELi4ELb1Ef16rocblas_bfloat16PKS0_EviT5_lT_lS3_lS4_liPT4_, .Lfunc_end192-_ZL28rocblas_dot_batched_4_kernelIiLi32ELi4ELb1Ef16rocblas_bfloat16PKS0_EviT5_lT_lS3_lS4_liPT4_
                                        ; -- End function
	.set _ZL28rocblas_dot_batched_4_kernelIiLi32ELi4ELb1Ef16rocblas_bfloat16PKS0_EviT5_lT_lS3_lS4_liPT4_.num_vgpr, 13
	.set _ZL28rocblas_dot_batched_4_kernelIiLi32ELi4ELb1Ef16rocblas_bfloat16PKS0_EviT5_lT_lS3_lS4_liPT4_.num_agpr, 0
	.set _ZL28rocblas_dot_batched_4_kernelIiLi32ELi4ELb1Ef16rocblas_bfloat16PKS0_EviT5_lT_lS3_lS4_liPT4_.numbered_sgpr, 22
	.set _ZL28rocblas_dot_batched_4_kernelIiLi32ELi4ELb1Ef16rocblas_bfloat16PKS0_EviT5_lT_lS3_lS4_liPT4_.num_named_barrier, 0
	.set _ZL28rocblas_dot_batched_4_kernelIiLi32ELi4ELb1Ef16rocblas_bfloat16PKS0_EviT5_lT_lS3_lS4_liPT4_.private_seg_size, 0
	.set _ZL28rocblas_dot_batched_4_kernelIiLi32ELi4ELb1Ef16rocblas_bfloat16PKS0_EviT5_lT_lS3_lS4_liPT4_.uses_vcc, 1
	.set _ZL28rocblas_dot_batched_4_kernelIiLi32ELi4ELb1Ef16rocblas_bfloat16PKS0_EviT5_lT_lS3_lS4_liPT4_.uses_flat_scratch, 0
	.set _ZL28rocblas_dot_batched_4_kernelIiLi32ELi4ELb1Ef16rocblas_bfloat16PKS0_EviT5_lT_lS3_lS4_liPT4_.has_dyn_sized_stack, 0
	.set _ZL28rocblas_dot_batched_4_kernelIiLi32ELi4ELb1Ef16rocblas_bfloat16PKS0_EviT5_lT_lS3_lS4_liPT4_.has_recursion, 0
	.set _ZL28rocblas_dot_batched_4_kernelIiLi32ELi4ELb1Ef16rocblas_bfloat16PKS0_EviT5_lT_lS3_lS4_liPT4_.has_indirect_call, 0
	.section	.AMDGPU.csdata,"",@progbits
; Kernel info:
; codeLenInByte = 728
; TotalNumSgprs: 26
; NumVgprs: 13
; ScratchSize: 0
; MemoryBound: 0
; FloatMode: 240
; IeeeMode: 1
; LDSByteSize: 0 bytes/workgroup (compile time only)
; SGPRBlocks: 3
; VGPRBlocks: 3
; NumSGPRsForWavesPerEU: 26
; NumVGPRsForWavesPerEU: 13
; Occupancy: 10
; WaveLimiterHint : 0
; COMPUTE_PGM_RSRC2:SCRATCH_EN: 0
; COMPUTE_PGM_RSRC2:USER_SGPR: 6
; COMPUTE_PGM_RSRC2:TRAP_HANDLER: 0
; COMPUTE_PGM_RSRC2:TGID_X_EN: 1
; COMPUTE_PGM_RSRC2:TGID_Y_EN: 0
; COMPUTE_PGM_RSRC2:TGID_Z_EN: 0
; COMPUTE_PGM_RSRC2:TIDIG_COMP_CNT: 1
	.section	.text._ZL28rocblas_dot_batched_4_kernelIiLi64ELi4ELb1Ef16rocblas_bfloat16PKS0_EviT5_lT_lS3_lS4_liPT4_,"axG",@progbits,_ZL28rocblas_dot_batched_4_kernelIiLi64ELi4ELb1Ef16rocblas_bfloat16PKS0_EviT5_lT_lS3_lS4_liPT4_,comdat
	.globl	_ZL28rocblas_dot_batched_4_kernelIiLi64ELi4ELb1Ef16rocblas_bfloat16PKS0_EviT5_lT_lS3_lS4_liPT4_ ; -- Begin function _ZL28rocblas_dot_batched_4_kernelIiLi64ELi4ELb1Ef16rocblas_bfloat16PKS0_EviT5_lT_lS3_lS4_liPT4_
	.p2align	8
	.type	_ZL28rocblas_dot_batched_4_kernelIiLi64ELi4ELb1Ef16rocblas_bfloat16PKS0_EviT5_lT_lS3_lS4_liPT4_,@function
_ZL28rocblas_dot_batched_4_kernelIiLi64ELi4ELb1Ef16rocblas_bfloat16PKS0_EviT5_lT_lS3_lS4_liPT4_: ; @_ZL28rocblas_dot_batched_4_kernelIiLi64ELi4ELb1Ef16rocblas_bfloat16PKS0_EviT5_lT_lS3_lS4_liPT4_
; %bb.0:
	s_load_dword s0, s[4:5], 0x48
	v_lshl_add_u32 v1, s6, 2, v1
	s_waitcnt lgkmcnt(0)
	v_cmp_gt_u32_e32 vcc, s0, v1
	s_and_saveexec_b64 s[0:1], vcc
	s_cbranch_execz .LBB193_11
; %bb.1:
	s_load_dword s12, s[4:5], 0x0
	s_load_dwordx2 s[6:7], s[4:5], 0x50
	v_mov_b32_e32 v2, 0
	v_mov_b32_e32 v7, v2
	s_waitcnt lgkmcnt(0)
	v_cmp_gt_i32_e32 vcc, s12, v0
	s_and_saveexec_b64 s[8:9], vcc
	s_cbranch_execz .LBB193_5
; %bb.2:
	s_load_dwordx4 s[0:3], s[4:5], 0x20
	s_load_dwordx4 s[16:19], s[4:5], 0x8
	s_load_dword s10, s[4:5], 0x18
	s_load_dwordx2 s[14:15], s[4:5], 0x30
	s_waitcnt lgkmcnt(0)
	v_mad_u64_u32 v[3:4], s[20:21], s0, v1, 0
	s_load_dword s0, s[4:5], 0x38
	s_load_dwordx2 s[20:21], s[4:5], 0x40
	v_mad_i64_i32 v[5:6], s[4:5], s10, v0, 0
	s_ashr_i32 s11, s10, 31
	v_mad_u64_u32 v[7:8], s[4:5], s1, v1, v[4:5]
	v_lshlrev_b64 v[5:6], 1, v[5:6]
	s_waitcnt lgkmcnt(0)
	s_ashr_i32 s1, s0, 31
	v_mov_b32_e32 v4, v7
	v_lshlrev_b64 v[3:4], 1, v[3:4]
	s_lshl_b64 s[4:5], s[18:19], 1
	v_add_co_u32_e32 v11, vcc, v5, v3
	s_add_u32 s13, s16, s4
	v_addc_co_u32_e32 v4, vcc, v6, v4, vcc
	s_addc_u32 s16, s17, s5
	v_mad_u64_u32 v[5:6], s[4:5], s20, v1, 0
	v_mad_i64_i32 v[7:8], s[4:5], s0, v0, 0
	v_mov_b32_e32 v3, v6
	v_mad_u64_u32 v[9:10], s[4:5], s21, v1, v[3:4]
	v_mov_b32_e32 v12, s16
	v_add_co_u32_e32 v3, vcc, s13, v11
	v_mov_b32_e32 v6, v9
	v_lshlrev_b64 v[7:8], 1, v[7:8]
	v_lshlrev_b64 v[5:6], 1, v[5:6]
	v_addc_co_u32_e32 v4, vcc, v12, v4, vcc
	s_lshl_b64 s[4:5], s[10:11], 7
	s_lshl_b64 s[10:11], s[14:15], 1
	v_add_co_u32_e32 v5, vcc, v7, v5
	s_add_u32 s2, s2, s10
	v_addc_co_u32_e32 v6, vcc, v8, v6, vcc
	s_addc_u32 s3, s3, s11
	v_mov_b32_e32 v7, s3
	v_add_co_u32_e32 v5, vcc, s2, v5
	v_addc_co_u32_e32 v6, vcc, v7, v6, vcc
	s_lshl_b64 s[2:3], s[0:1], 7
	v_mov_b32_e32 v7, 0
	s_mov_b64 s[10:11], 0
	v_mov_b32_e32 v8, v0
.LBB193_3:                              ; =>This Inner Loop Header: Depth=1
	global_load_ushort v9, v[5:6], off
	global_load_ushort v10, v[3:4], off
	v_mov_b32_e32 v12, s3
	v_add_co_u32_e32 v5, vcc, s2, v5
	v_add_u32_e32 v8, 64, v8
	v_addc_co_u32_e32 v6, vcc, v6, v12, vcc
	v_mov_b32_e32 v11, s5
	v_add_co_u32_e64 v3, s[0:1], s4, v3
	v_cmp_le_i32_e32 vcc, s12, v8
	v_addc_co_u32_e64 v4, s[0:1], v4, v11, s[0:1]
	s_or_b64 s[10:11], vcc, s[10:11]
	s_waitcnt vmcnt(1)
	v_lshlrev_b32_e32 v9, 16, v9
	s_waitcnt vmcnt(0)
	v_lshlrev_b32_e32 v10, 16, v10
	v_fmac_f32_e32 v7, v10, v9
	s_andn2_b64 exec, exec, s[10:11]
	s_cbranch_execnz .LBB193_3
; %bb.4:
	s_or_b64 exec, exec, s[10:11]
.LBB193_5:
	s_or_b64 exec, exec, s[8:9]
	v_mbcnt_lo_u32_b32 v3, -1, 0
	v_mbcnt_hi_u32_b32 v3, -1, v3
	v_mov_b32_e32 v4, 0x80
	v_lshl_or_b32 v4, v3, 2, v4
	ds_bpermute_b32 v4, v4, v7
	v_and_b32_e32 v5, 63, v3
	v_cmp_gt_u32_e32 vcc, 48, v5
	v_cndmask_b32_e64 v6, 0, 16, vcc
	v_add_lshl_u32 v6, v6, v3, 2
	s_waitcnt lgkmcnt(0)
	v_add_f32_e32 v4, v7, v4
	ds_bpermute_b32 v6, v6, v4
	v_cmp_gt_u32_e32 vcc, 56, v5
	v_cndmask_b32_e64 v7, 0, 8, vcc
	v_add_lshl_u32 v7, v7, v3, 2
	v_cmp_gt_u32_e32 vcc, 60, v5
	s_waitcnt lgkmcnt(0)
	v_add_f32_e32 v4, v4, v6
	ds_bpermute_b32 v6, v7, v4
	v_cndmask_b32_e64 v7, 0, 4, vcc
	v_add_lshl_u32 v7, v7, v3, 2
	v_cmp_gt_u32_e32 vcc, 62, v5
	s_waitcnt lgkmcnt(0)
	v_add_f32_e32 v4, v4, v6
	ds_bpermute_b32 v6, v7, v4
	v_cndmask_b32_e64 v7, 0, 2, vcc
	v_add_lshl_u32 v7, v7, v3, 2
	v_cmp_ne_u32_e32 vcc, 63, v5
	v_addc_co_u32_e32 v5, vcc, 0, v3, vcc
	s_waitcnt lgkmcnt(0)
	v_add_f32_e32 v4, v4, v6
	ds_bpermute_b32 v6, v7, v4
	v_cmp_eq_u32_e32 vcc, 0, v0
	s_waitcnt lgkmcnt(0)
	s_barrier
	v_add_f32_e32 v3, v4, v6
	v_lshlrev_b32_e32 v4, 2, v5
	ds_bpermute_b32 v4, v4, v3
	s_and_b64 exec, exec, vcc
	s_cbranch_execz .LBB193_11
; %bb.6:
	s_waitcnt lgkmcnt(0)
	v_add_f32_e32 v3, v3, v4
	s_mov_b32 s0, 0x7f800000
	v_and_b32_e32 v0, 0x7f800000, v3
	v_cmp_ne_u32_e32 vcc, s0, v0
                                        ; implicit-def: $vgpr0
	s_and_saveexec_b64 s[0:1], vcc
	s_xor_b64 s[0:1], exec, s[0:1]
; %bb.7:
	v_bfe_u32 v0, v3, 16, 1
	s_movk_i32 s2, 0x7fff
	v_add3_u32 v0, v3, v0, s2
                                        ; implicit-def: $vgpr3
; %bb.8:
	s_andn2_saveexec_b64 s[0:1], s[0:1]
; %bb.9:
	v_mov_b32_e32 v0, 0
	v_or_b32_e32 v4, 0x10000, v3
	v_cmp_eq_u32_sdwa vcc, v3, v0 src0_sel:WORD_0 src1_sel:DWORD
	v_cndmask_b32_e32 v0, v4, v3, vcc
; %bb.10:
	s_or_b64 exec, exec, s[0:1]
	v_lshlrev_b64 v[1:2], 1, v[1:2]
	v_mov_b32_e32 v3, s7
	v_add_co_u32_e32 v1, vcc, s6, v1
	v_addc_co_u32_e32 v2, vcc, v3, v2, vcc
	global_store_short_d16_hi v[1:2], v0, off
.LBB193_11:
	s_endpgm
	.section	.rodata,"a",@progbits
	.p2align	6, 0x0
	.amdhsa_kernel _ZL28rocblas_dot_batched_4_kernelIiLi64ELi4ELb1Ef16rocblas_bfloat16PKS0_EviT5_lT_lS3_lS4_liPT4_
		.amdhsa_group_segment_fixed_size 0
		.amdhsa_private_segment_fixed_size 0
		.amdhsa_kernarg_size 88
		.amdhsa_user_sgpr_count 6
		.amdhsa_user_sgpr_private_segment_buffer 1
		.amdhsa_user_sgpr_dispatch_ptr 0
		.amdhsa_user_sgpr_queue_ptr 0
		.amdhsa_user_sgpr_kernarg_segment_ptr 1
		.amdhsa_user_sgpr_dispatch_id 0
		.amdhsa_user_sgpr_flat_scratch_init 0
		.amdhsa_user_sgpr_private_segment_size 0
		.amdhsa_uses_dynamic_stack 0
		.amdhsa_system_sgpr_private_segment_wavefront_offset 0
		.amdhsa_system_sgpr_workgroup_id_x 1
		.amdhsa_system_sgpr_workgroup_id_y 0
		.amdhsa_system_sgpr_workgroup_id_z 0
		.amdhsa_system_sgpr_workgroup_info 0
		.amdhsa_system_vgpr_workitem_id 1
		.amdhsa_next_free_vgpr 13
		.amdhsa_next_free_sgpr 22
		.amdhsa_reserve_vcc 1
		.amdhsa_reserve_flat_scratch 0
		.amdhsa_float_round_mode_32 0
		.amdhsa_float_round_mode_16_64 0
		.amdhsa_float_denorm_mode_32 3
		.amdhsa_float_denorm_mode_16_64 3
		.amdhsa_dx10_clamp 1
		.amdhsa_ieee_mode 1
		.amdhsa_fp16_overflow 0
		.amdhsa_exception_fp_ieee_invalid_op 0
		.amdhsa_exception_fp_denorm_src 0
		.amdhsa_exception_fp_ieee_div_zero 0
		.amdhsa_exception_fp_ieee_overflow 0
		.amdhsa_exception_fp_ieee_underflow 0
		.amdhsa_exception_fp_ieee_inexact 0
		.amdhsa_exception_int_div_zero 0
	.end_amdhsa_kernel
	.section	.text._ZL28rocblas_dot_batched_4_kernelIiLi64ELi4ELb1Ef16rocblas_bfloat16PKS0_EviT5_lT_lS3_lS4_liPT4_,"axG",@progbits,_ZL28rocblas_dot_batched_4_kernelIiLi64ELi4ELb1Ef16rocblas_bfloat16PKS0_EviT5_lT_lS3_lS4_liPT4_,comdat
.Lfunc_end193:
	.size	_ZL28rocblas_dot_batched_4_kernelIiLi64ELi4ELb1Ef16rocblas_bfloat16PKS0_EviT5_lT_lS3_lS4_liPT4_, .Lfunc_end193-_ZL28rocblas_dot_batched_4_kernelIiLi64ELi4ELb1Ef16rocblas_bfloat16PKS0_EviT5_lT_lS3_lS4_liPT4_
                                        ; -- End function
	.set _ZL28rocblas_dot_batched_4_kernelIiLi64ELi4ELb1Ef16rocblas_bfloat16PKS0_EviT5_lT_lS3_lS4_liPT4_.num_vgpr, 13
	.set _ZL28rocblas_dot_batched_4_kernelIiLi64ELi4ELb1Ef16rocblas_bfloat16PKS0_EviT5_lT_lS3_lS4_liPT4_.num_agpr, 0
	.set _ZL28rocblas_dot_batched_4_kernelIiLi64ELi4ELb1Ef16rocblas_bfloat16PKS0_EviT5_lT_lS3_lS4_liPT4_.numbered_sgpr, 22
	.set _ZL28rocblas_dot_batched_4_kernelIiLi64ELi4ELb1Ef16rocblas_bfloat16PKS0_EviT5_lT_lS3_lS4_liPT4_.num_named_barrier, 0
	.set _ZL28rocblas_dot_batched_4_kernelIiLi64ELi4ELb1Ef16rocblas_bfloat16PKS0_EviT5_lT_lS3_lS4_liPT4_.private_seg_size, 0
	.set _ZL28rocblas_dot_batched_4_kernelIiLi64ELi4ELb1Ef16rocblas_bfloat16PKS0_EviT5_lT_lS3_lS4_liPT4_.uses_vcc, 1
	.set _ZL28rocblas_dot_batched_4_kernelIiLi64ELi4ELb1Ef16rocblas_bfloat16PKS0_EviT5_lT_lS3_lS4_liPT4_.uses_flat_scratch, 0
	.set _ZL28rocblas_dot_batched_4_kernelIiLi64ELi4ELb1Ef16rocblas_bfloat16PKS0_EviT5_lT_lS3_lS4_liPT4_.has_dyn_sized_stack, 0
	.set _ZL28rocblas_dot_batched_4_kernelIiLi64ELi4ELb1Ef16rocblas_bfloat16PKS0_EviT5_lT_lS3_lS4_liPT4_.has_recursion, 0
	.set _ZL28rocblas_dot_batched_4_kernelIiLi64ELi4ELb1Ef16rocblas_bfloat16PKS0_EviT5_lT_lS3_lS4_liPT4_.has_indirect_call, 0
	.section	.AMDGPU.csdata,"",@progbits
; Kernel info:
; codeLenInByte = 760
; TotalNumSgprs: 26
; NumVgprs: 13
; ScratchSize: 0
; MemoryBound: 0
; FloatMode: 240
; IeeeMode: 1
; LDSByteSize: 0 bytes/workgroup (compile time only)
; SGPRBlocks: 3
; VGPRBlocks: 3
; NumSGPRsForWavesPerEU: 26
; NumVGPRsForWavesPerEU: 13
; Occupancy: 10
; WaveLimiterHint : 0
; COMPUTE_PGM_RSRC2:SCRATCH_EN: 0
; COMPUTE_PGM_RSRC2:USER_SGPR: 6
; COMPUTE_PGM_RSRC2:TRAP_HANDLER: 0
; COMPUTE_PGM_RSRC2:TGID_X_EN: 1
; COMPUTE_PGM_RSRC2:TGID_Y_EN: 0
; COMPUTE_PGM_RSRC2:TGID_Z_EN: 0
; COMPUTE_PGM_RSRC2:TIDIG_COMP_CNT: 1
	.section	.text._ZL26rocblas_dot_kernel_inc1by2ILb1ELi1024ELi32ELb1E16rocblas_bfloat16PKS0_fEviT4_llS3_lliPT5_PT3_,"axG",@progbits,_ZL26rocblas_dot_kernel_inc1by2ILb1ELi1024ELi32ELb1E16rocblas_bfloat16PKS0_fEviT4_llS3_lliPT5_PT3_,comdat
	.globl	_ZL26rocblas_dot_kernel_inc1by2ILb1ELi1024ELi32ELb1E16rocblas_bfloat16PKS0_fEviT4_llS3_lliPT5_PT3_ ; -- Begin function _ZL26rocblas_dot_kernel_inc1by2ILb1ELi1024ELi32ELb1E16rocblas_bfloat16PKS0_fEviT4_llS3_lliPT5_PT3_
	.p2align	8
	.type	_ZL26rocblas_dot_kernel_inc1by2ILb1ELi1024ELi32ELb1E16rocblas_bfloat16PKS0_fEviT4_llS3_lliPT5_PT3_,@function
_ZL26rocblas_dot_kernel_inc1by2ILb1ELi1024ELi32ELb1E16rocblas_bfloat16PKS0_fEviT4_llS3_lliPT5_PT3_: ; @_ZL26rocblas_dot_kernel_inc1by2ILb1ELi1024ELi32ELb1E16rocblas_bfloat16PKS0_fEviT4_llS3_lliPT5_PT3_
; %bb.0:
	s_mov_b32 s2, s7
	s_load_dword s24, s[4:5], 0x0
	s_load_dwordx2 s[18:19], s[4:5], 0x8
	s_load_dwordx4 s[12:15], s[4:5], 0x10
	s_load_dwordx2 s[16:17], s[4:5], 0x20
	s_load_dwordx2 s[6:7], s[4:5], 0x48
	s_load_dwordx4 s[8:11], s[4:5], 0x28
	v_lshlrev_b32_e32 v6, 1, v0
	s_waitcnt lgkmcnt(0)
	s_mul_i32 s0, s15, s2
	s_mul_hi_u32 s1, s14, s2
	s_add_i32 s15, s1, s0
	s_mul_i32 s0, s11, s2
	s_mul_hi_u32 s1, s10, s2
	s_add_i32 s4, s24, -1
	s_mov_b32 s3, 0
	s_mul_i32 s14, s14, s2
	s_add_i32 s11, s1, s0
	s_mul_i32 s10, s10, s2
	v_cmp_gt_i32_e32 vcc, s4, v6
	v_mov_b32_e32 v5, 0
	s_and_saveexec_b64 s[20:21], vcc
	s_cbranch_execz .LBB194_4
; %bb.1:
	s_lshl_b64 s[0:1], s[10:11], 1
	s_lshl_b64 s[22:23], s[8:9], 1
	s_add_u32 s5, s16, s22
	s_addc_u32 s22, s17, s23
	s_add_u32 s0, s5, s0
	v_lshlrev_b32_e32 v3, 2, v0
	s_addc_u32 s1, s22, s1
	v_mov_b32_e32 v2, s1
	v_add_co_u32_e32 v1, vcc, s0, v3
	s_lshl_b64 s[0:1], s[14:15], 1
	s_lshl_b64 s[22:23], s[12:13], 1
	s_add_u32 s5, s18, s22
	s_addc_u32 s22, s19, s23
	s_add_u32 s0, s5, s0
	v_addc_co_u32_e32 v2, vcc, 0, v2, vcc
	s_addc_u32 s1, s22, s1
	v_mov_b32_e32 v4, s1
	v_add_co_u32_e32 v3, vcc, s0, v3
	v_mov_b32_e32 v5, 0
	v_addc_co_u32_e32 v4, vcc, 0, v4, vcc
	s_mov_b64 s[22:23], 0
	s_mov_b32 s5, s3
.LBB194_2:                              ; =>This Inner Loop Header: Depth=1
	global_load_dword v7, v[1:2], off
	global_load_dword v8, v[3:4], off
	s_add_i32 s25, s5, 1
	v_add_u32_e32 v6, 0x800, v6
	s_cmp_gt_u32 s5, 30
	v_add_co_u32_e32 v1, vcc, 0x1000, v1
	v_cmp_le_i32_e64 s[0:1], s4, v6
	s_cselect_b64 s[26:27], -1, 0
	v_addc_co_u32_e32 v2, vcc, 0, v2, vcc
	s_or_b64 s[0:1], s[26:27], s[0:1]
	v_add_co_u32_e32 v3, vcc, 0x1000, v3
	s_and_b64 s[0:1], exec, s[0:1]
	s_mov_b32 s5, s25
	v_addc_co_u32_e32 v4, vcc, 0, v4, vcc
	s_or_b64 s[22:23], s[0:1], s[22:23]
	s_waitcnt vmcnt(1)
	v_and_b32_e32 v9, 0xffff0000, v7
	v_lshlrev_b32_e32 v7, 16, v7
	s_waitcnt vmcnt(0)
	v_and_b32_e32 v10, 0xffff0000, v8
	v_lshlrev_b32_e32 v8, 16, v8
	v_fmac_f32_e32 v5, v7, v8
	v_fmac_f32_e32 v5, v9, v10
	s_andn2_b64 exec, exec, s[22:23]
	s_cbranch_execnz .LBB194_2
; %bb.3:
	s_or_b64 exec, exec, s[22:23]
.LBB194_4:
	s_or_b64 exec, exec, s[20:21]
	s_bitcmp1_b32 s24, 0
	s_cselect_b64 s[0:1], -1, 0
	v_cmp_eq_u32_e32 vcc, s4, v6
	s_and_b64 s[20:21], s[0:1], vcc
	s_and_saveexec_b64 s[0:1], s[20:21]
	s_cbranch_execz .LBB194_6
; %bb.5:
	s_lshl_b64 s[14:15], s[14:15], 1
	s_add_u32 s5, s18, s14
	s_addc_u32 s14, s19, s15
	s_lshl_b64 s[12:13], s[12:13], 1
	s_add_u32 s12, s5, s12
	s_addc_u32 s13, s14, s13
	;; [unrolled: 3-line block ×3, first 2 shown]
	s_lshl_b64 s[8:9], s[8:9], 1
	s_add_u32 s8, s5, s8
	s_mov_b32 s5, 0
	s_addc_u32 s9, s10, s9
	s_lshl_b64 s[4:5], s[4:5], 1
	s_add_u32 s8, s8, s4
	s_addc_u32 s9, s9, s5
	s_add_u32 s4, s12, s4
	v_mov_b32_e32 v1, 0
	s_addc_u32 s5, s13, s5
	global_load_ushort v2, v1, s[4:5]
	global_load_ushort v3, v1, s[8:9]
	s_waitcnt vmcnt(1)
	v_lshlrev_b32_e32 v1, 16, v2
	s_waitcnt vmcnt(0)
	v_lshlrev_b32_e32 v2, 16, v3
	v_fmac_f32_e32 v5, v2, v1
.LBB194_6:
	s_or_b64 exec, exec, s[0:1]
	v_and_b32_e32 v3, 63, v0
	v_cmp_gt_u32_e32 vcc, 64, v0
	v_lshlrev_b32_e32 v1, 2, v3
	s_and_saveexec_b64 s[0:1], vcc
; %bb.7:
	v_mov_b32_e32 v2, 0
	ds_write_b32 v1, v2
; %bb.8:
	s_or_b64 exec, exec, s[0:1]
	v_mbcnt_lo_u32_b32 v2, -1, 0
	v_mbcnt_hi_u32_b32 v6, -1, v2
	v_mov_b32_e32 v2, 0x80
	v_lshl_or_b32 v2, v6, 2, v2
	ds_bpermute_b32 v2, v2, v5
	v_and_b32_e32 v7, 63, v6
	v_cmp_gt_u32_e64 s[0:1], 48, v7
	v_cndmask_b32_e64 v4, 0, 16, s[0:1]
	v_cmp_gt_u32_e64 s[0:1], 56, v7
	s_waitcnt lgkmcnt(0)
	v_add_f32_e32 v5, v5, v2
	v_add_lshl_u32 v2, v4, v6, 2
	ds_bpermute_b32 v4, v2, v5
	v_cndmask_b32_e64 v2, 0, 8, s[0:1]
	v_add_lshl_u32 v2, v2, v6, 2
	v_cmp_gt_u32_e64 s[0:1], 60, v7
	s_waitcnt lgkmcnt(0)
	v_add_f32_e32 v5, v5, v4
	ds_bpermute_b32 v8, v2, v5
	v_cndmask_b32_e64 v4, 0, 4, s[0:1]
	v_add_lshl_u32 v4, v4, v6, 2
	v_cmp_gt_u32_e64 s[0:1], 62, v7
	s_waitcnt lgkmcnt(0)
	s_barrier
	v_add_f32_e32 v8, v5, v8
	ds_bpermute_b32 v9, v4, v8
	v_cndmask_b32_e64 v5, 0, 2, s[0:1]
	v_add_lshl_u32 v5, v5, v6, 2
	v_cmp_ne_u32_e64 s[0:1], 63, v7
	v_addc_co_u32_e64 v6, s[0:1], 0, v6, s[0:1]
	s_waitcnt lgkmcnt(0)
	v_add_f32_e32 v8, v8, v9
	ds_bpermute_b32 v9, v5, v8
	v_lshlrev_b32_e32 v6, 2, v6
	v_cmp_eq_u32_e64 s[0:1], 0, v3
	s_waitcnt lgkmcnt(0)
	v_add_f32_e32 v7, v8, v9
	ds_bpermute_b32 v8, v6, v7
	s_and_saveexec_b64 s[4:5], s[0:1]
	s_cbranch_execz .LBB194_10
; %bb.9:
	s_waitcnt lgkmcnt(0)
	v_add_f32_e32 v3, v7, v8
	v_lshrrev_b32_e32 v7, 4, v0
	v_and_b32_e32 v7, 60, v7
	ds_write_b32 v7, v3
.LBB194_10:
	s_or_b64 exec, exec, s[4:5]
	v_cmp_gt_u32_e64 s[0:1], 16, v0
	v_mov_b32_e32 v3, 0
	s_waitcnt lgkmcnt(0)
	s_barrier
	s_and_saveexec_b64 s[4:5], s[0:1]
	s_cbranch_execnz .LBB194_14
; %bb.11:
	s_or_b64 exec, exec, s[4:5]
	s_and_saveexec_b64 s[0:1], vcc
	s_cbranch_execnz .LBB194_15
.LBB194_12:
	s_or_b64 exec, exec, s[0:1]
	v_cmp_eq_u32_e32 vcc, 0, v0
	s_and_saveexec_b64 s[0:1], vcc
	s_cbranch_execnz .LBB194_16
.LBB194_13:
	s_endpgm
.LBB194_14:
	ds_read_b32 v3, v1
	s_or_b64 exec, exec, s[4:5]
	s_and_saveexec_b64 s[0:1], vcc
	s_cbranch_execz .LBB194_12
.LBB194_15:
	s_waitcnt lgkmcnt(0)
	ds_bpermute_b32 v1, v2, v3
	s_waitcnt lgkmcnt(0)
	v_add_f32_e32 v1, v3, v1
	ds_bpermute_b32 v2, v4, v1
	s_waitcnt lgkmcnt(0)
	v_add_f32_e32 v1, v1, v2
	ds_bpermute_b32 v2, v5, v1
	s_waitcnt lgkmcnt(0)
	v_add_f32_e32 v1, v1, v2
	ds_bpermute_b32 v2, v6, v1
	s_waitcnt lgkmcnt(0)
	v_add_f32_e32 v3, v1, v2
	s_or_b64 exec, exec, s[0:1]
	v_cmp_eq_u32_e32 vcc, 0, v0
	s_and_saveexec_b64 s[0:1], vcc
	s_cbranch_execz .LBB194_13
.LBB194_16:
	s_mov_b32 s0, 0x7f800000
	s_waitcnt lgkmcnt(0)
	v_and_b32_e32 v0, 0x7f800000, v3
	v_cmp_ne_u32_e32 vcc, s0, v0
                                        ; implicit-def: $vgpr0
	s_and_saveexec_b64 s[0:1], vcc
	s_xor_b64 s[0:1], exec, s[0:1]
; %bb.17:
	v_bfe_u32 v0, v3, 16, 1
	s_movk_i32 s4, 0x7fff
	v_add3_u32 v0, v3, v0, s4
                                        ; implicit-def: $vgpr3
; %bb.18:
	s_andn2_saveexec_b64 s[0:1], s[0:1]
; %bb.19:
	v_mov_b32_e32 v0, 0
	v_or_b32_e32 v1, 0x10000, v3
	v_cmp_eq_u32_sdwa vcc, v3, v0 src0_sel:WORD_0 src1_sel:DWORD
	v_cndmask_b32_e32 v0, v1, v3, vcc
; %bb.20:
	s_or_b64 exec, exec, s[0:1]
	s_lshl_b64 s[0:1], s[2:3], 1
	s_add_u32 s0, s6, s0
	s_addc_u32 s1, s7, s1
	v_mov_b32_e32 v1, 0
	global_store_short_d16_hi v1, v0, s[0:1]
	s_endpgm
	.section	.rodata,"a",@progbits
	.p2align	6, 0x0
	.amdhsa_kernel _ZL26rocblas_dot_kernel_inc1by2ILb1ELi1024ELi32ELb1E16rocblas_bfloat16PKS0_fEviT4_llS3_lliPT5_PT3_
		.amdhsa_group_segment_fixed_size 256
		.amdhsa_private_segment_fixed_size 0
		.amdhsa_kernarg_size 80
		.amdhsa_user_sgpr_count 6
		.amdhsa_user_sgpr_private_segment_buffer 1
		.amdhsa_user_sgpr_dispatch_ptr 0
		.amdhsa_user_sgpr_queue_ptr 0
		.amdhsa_user_sgpr_kernarg_segment_ptr 1
		.amdhsa_user_sgpr_dispatch_id 0
		.amdhsa_user_sgpr_flat_scratch_init 0
		.amdhsa_user_sgpr_private_segment_size 0
		.amdhsa_uses_dynamic_stack 0
		.amdhsa_system_sgpr_private_segment_wavefront_offset 0
		.amdhsa_system_sgpr_workgroup_id_x 1
		.amdhsa_system_sgpr_workgroup_id_y 0
		.amdhsa_system_sgpr_workgroup_id_z 1
		.amdhsa_system_sgpr_workgroup_info 0
		.amdhsa_system_vgpr_workitem_id 0
		.amdhsa_next_free_vgpr 11
		.amdhsa_next_free_sgpr 28
		.amdhsa_reserve_vcc 1
		.amdhsa_reserve_flat_scratch 0
		.amdhsa_float_round_mode_32 0
		.amdhsa_float_round_mode_16_64 0
		.amdhsa_float_denorm_mode_32 3
		.amdhsa_float_denorm_mode_16_64 3
		.amdhsa_dx10_clamp 1
		.amdhsa_ieee_mode 1
		.amdhsa_fp16_overflow 0
		.amdhsa_exception_fp_ieee_invalid_op 0
		.amdhsa_exception_fp_denorm_src 0
		.amdhsa_exception_fp_ieee_div_zero 0
		.amdhsa_exception_fp_ieee_overflow 0
		.amdhsa_exception_fp_ieee_underflow 0
		.amdhsa_exception_fp_ieee_inexact 0
		.amdhsa_exception_int_div_zero 0
	.end_amdhsa_kernel
	.section	.text._ZL26rocblas_dot_kernel_inc1by2ILb1ELi1024ELi32ELb1E16rocblas_bfloat16PKS0_fEviT4_llS3_lliPT5_PT3_,"axG",@progbits,_ZL26rocblas_dot_kernel_inc1by2ILb1ELi1024ELi32ELb1E16rocblas_bfloat16PKS0_fEviT4_llS3_lliPT5_PT3_,comdat
.Lfunc_end194:
	.size	_ZL26rocblas_dot_kernel_inc1by2ILb1ELi1024ELi32ELb1E16rocblas_bfloat16PKS0_fEviT4_llS3_lliPT5_PT3_, .Lfunc_end194-_ZL26rocblas_dot_kernel_inc1by2ILb1ELi1024ELi32ELb1E16rocblas_bfloat16PKS0_fEviT4_llS3_lliPT5_PT3_
                                        ; -- End function
	.set _ZL26rocblas_dot_kernel_inc1by2ILb1ELi1024ELi32ELb1E16rocblas_bfloat16PKS0_fEviT4_llS3_lliPT5_PT3_.num_vgpr, 11
	.set _ZL26rocblas_dot_kernel_inc1by2ILb1ELi1024ELi32ELb1E16rocblas_bfloat16PKS0_fEviT4_llS3_lliPT5_PT3_.num_agpr, 0
	.set _ZL26rocblas_dot_kernel_inc1by2ILb1ELi1024ELi32ELb1E16rocblas_bfloat16PKS0_fEviT4_llS3_lliPT5_PT3_.numbered_sgpr, 28
	.set _ZL26rocblas_dot_kernel_inc1by2ILb1ELi1024ELi32ELb1E16rocblas_bfloat16PKS0_fEviT4_llS3_lliPT5_PT3_.num_named_barrier, 0
	.set _ZL26rocblas_dot_kernel_inc1by2ILb1ELi1024ELi32ELb1E16rocblas_bfloat16PKS0_fEviT4_llS3_lliPT5_PT3_.private_seg_size, 0
	.set _ZL26rocblas_dot_kernel_inc1by2ILb1ELi1024ELi32ELb1E16rocblas_bfloat16PKS0_fEviT4_llS3_lliPT5_PT3_.uses_vcc, 1
	.set _ZL26rocblas_dot_kernel_inc1by2ILb1ELi1024ELi32ELb1E16rocblas_bfloat16PKS0_fEviT4_llS3_lliPT5_PT3_.uses_flat_scratch, 0
	.set _ZL26rocblas_dot_kernel_inc1by2ILb1ELi1024ELi32ELb1E16rocblas_bfloat16PKS0_fEviT4_llS3_lliPT5_PT3_.has_dyn_sized_stack, 0
	.set _ZL26rocblas_dot_kernel_inc1by2ILb1ELi1024ELi32ELb1E16rocblas_bfloat16PKS0_fEviT4_llS3_lliPT5_PT3_.has_recursion, 0
	.set _ZL26rocblas_dot_kernel_inc1by2ILb1ELi1024ELi32ELb1E16rocblas_bfloat16PKS0_fEviT4_llS3_lliPT5_PT3_.has_indirect_call, 0
	.section	.AMDGPU.csdata,"",@progbits
; Kernel info:
; codeLenInByte = 1080
; TotalNumSgprs: 32
; NumVgprs: 11
; ScratchSize: 0
; MemoryBound: 0
; FloatMode: 240
; IeeeMode: 1
; LDSByteSize: 256 bytes/workgroup (compile time only)
; SGPRBlocks: 3
; VGPRBlocks: 2
; NumSGPRsForWavesPerEU: 32
; NumVGPRsForWavesPerEU: 11
; Occupancy: 10
; WaveLimiterHint : 0
; COMPUTE_PGM_RSRC2:SCRATCH_EN: 0
; COMPUTE_PGM_RSRC2:USER_SGPR: 6
; COMPUTE_PGM_RSRC2:TRAP_HANDLER: 0
; COMPUTE_PGM_RSRC2:TGID_X_EN: 1
; COMPUTE_PGM_RSRC2:TGID_Y_EN: 0
; COMPUTE_PGM_RSRC2:TGID_Z_EN: 1
; COMPUTE_PGM_RSRC2:TIDIG_COMP_CNT: 0
	.section	.text._ZL18rocblas_dot_kernelIiLb1ELi1024ELi32ELb1E16rocblas_bfloat16PKS0_fEviT5_lT_lS3_lS4_liPT6_PT4_,"axG",@progbits,_ZL18rocblas_dot_kernelIiLb1ELi1024ELi32ELb1E16rocblas_bfloat16PKS0_fEviT5_lT_lS3_lS4_liPT6_PT4_,comdat
	.globl	_ZL18rocblas_dot_kernelIiLb1ELi1024ELi32ELb1E16rocblas_bfloat16PKS0_fEviT5_lT_lS3_lS4_liPT6_PT4_ ; -- Begin function _ZL18rocblas_dot_kernelIiLb1ELi1024ELi32ELb1E16rocblas_bfloat16PKS0_fEviT5_lT_lS3_lS4_liPT6_PT4_
	.p2align	8
	.type	_ZL18rocblas_dot_kernelIiLb1ELi1024ELi32ELb1E16rocblas_bfloat16PKS0_fEviT5_lT_lS3_lS4_liPT6_PT4_,@function
_ZL18rocblas_dot_kernelIiLb1ELi1024ELi32ELb1E16rocblas_bfloat16PKS0_fEviT5_lT_lS3_lS4_liPT6_PT4_: ; @_ZL18rocblas_dot_kernelIiLb1ELi1024ELi32ELb1E16rocblas_bfloat16PKS0_fEviT5_lT_lS3_lS4_liPT6_PT4_
; %bb.0:
	s_load_dword s14, s[4:5], 0x0
	s_load_dwordx2 s[8:9], s[4:5], 0x58
	s_mov_b32 s6, s7
	s_mov_b32 s7, 0
	v_mov_b32_e32 v6, 0
	s_waitcnt lgkmcnt(0)
	v_cmp_gt_i32_e32 vcc, s14, v0
	s_and_saveexec_b64 s[10:11], vcc
	s_cbranch_execz .LBB195_4
; %bb.1:
	s_load_dword s22, s[4:5], 0x38
	s_load_dwordx2 s[12:13], s[4:5], 0x40
	s_load_dword s15, s[4:5], 0x60
	s_load_dwordx4 s[0:3], s[4:5], 0x20
	s_load_dwordx4 s[16:19], s[4:5], 0x8
	s_load_dword s23, s[4:5], 0x18
	s_load_dwordx2 s[20:21], s[4:5], 0x30
	s_waitcnt lgkmcnt(0)
	s_lshl_b32 s15, s15, 10
	s_mul_i32 s1, s1, s6
	s_mul_hi_u32 s24, s0, s6
	v_mad_i64_i32 v[1:2], s[4:5], s23, v0, 0
	s_add_i32 s1, s24, s1
	s_mul_i32 s0, s0, s6
	s_lshl_b64 s[0:1], s[0:1], 1
	s_lshl_b64 s[4:5], s[18:19], 1
	s_add_u32 s4, s16, s4
	s_addc_u32 s5, s17, s5
	v_lshlrev_b64 v[1:2], 1, v[1:2]
	s_add_u32 s0, s4, s0
	s_addc_u32 s1, s5, s1
	v_mov_b32_e32 v3, s1
	v_add_co_u32_e32 v1, vcc, s0, v1
	s_mul_hi_i32 s1, s23, s15
	s_mul_i32 s0, s23, s15
	v_addc_co_u32_e32 v2, vcc, v3, v2, vcc
	s_lshl_b64 s[4:5], s[0:1], 1
	s_mul_i32 s13, s13, s6
	s_mul_hi_u32 s16, s12, s6
	v_mad_i64_i32 v[3:4], s[0:1], s22, v0, 0
	s_add_i32 s1, s16, s13
	s_mul_i32 s0, s12, s6
	s_lshl_b64 s[0:1], s[0:1], 1
	s_lshl_b64 s[12:13], s[20:21], 1
	s_add_u32 s2, s2, s12
	s_addc_u32 s3, s3, s13
	v_lshlrev_b64 v[3:4], 1, v[3:4]
	s_add_u32 s0, s2, s0
	s_addc_u32 s1, s3, s1
	v_mov_b32_e32 v6, s1
	v_add_co_u32_e32 v3, vcc, s0, v3
	s_mul_hi_i32 s1, s22, s15
	s_mul_i32 s0, s22, s15
	s_lshl_b64 s[2:3], s[0:1], 1
	v_or_b32_e32 v5, s15, v0
	v_addc_co_u32_e32 v4, vcc, v6, v4, vcc
	v_mov_b32_e32 v6, 0
	s_mov_b64 s[12:13], 0
	v_mov_b32_e32 v7, s5
	v_mov_b32_e32 v8, s3
	s_mov_b32 s3, s7
.LBB195_2:                              ; =>This Inner Loop Header: Depth=1
	global_load_ushort v9, v[1:2], off
	global_load_ushort v10, v[3:4], off
	v_add_co_u32_e64 v1, s[0:1], s4, v1
	v_addc_co_u32_e64 v2, s[0:1], v2, v7, s[0:1]
	s_add_i32 s5, s3, 1
	v_add_co_u32_e64 v3, s[0:1], s2, v3
	v_addc_co_u32_e64 v4, s[0:1], v4, v8, s[0:1]
	s_cmp_gt_u32 s3, 30
	v_cmp_le_i32_e32 vcc, s14, v5
	s_cselect_b64 s[0:1], -1, 0
	s_or_b64 s[0:1], s[0:1], vcc
	s_and_b64 s[0:1], exec, s[0:1]
	v_add_u32_e32 v5, s15, v5
	s_mov_b32 s3, s5
	s_or_b64 s[12:13], s[0:1], s[12:13]
	s_waitcnt vmcnt(1)
	v_lshlrev_b32_e32 v9, 16, v9
	s_waitcnt vmcnt(0)
	v_lshlrev_b32_e32 v10, 16, v10
	v_fmac_f32_e32 v6, v10, v9
	s_andn2_b64 exec, exec, s[12:13]
	s_cbranch_execnz .LBB195_2
; %bb.3:
	s_or_b64 exec, exec, s[12:13]
.LBB195_4:
	s_or_b64 exec, exec, s[10:11]
	v_and_b32_e32 v3, 63, v0
	v_cmp_gt_u32_e32 vcc, 64, v0
	v_lshlrev_b32_e32 v1, 2, v3
	s_and_saveexec_b64 s[0:1], vcc
; %bb.5:
	v_mov_b32_e32 v2, 0
	ds_write_b32 v1, v2
; %bb.6:
	s_or_b64 exec, exec, s[0:1]
	v_mbcnt_lo_u32_b32 v2, -1, 0
	v_mbcnt_hi_u32_b32 v7, -1, v2
	v_mov_b32_e32 v2, 0x80
	v_lshl_or_b32 v2, v7, 2, v2
	ds_bpermute_b32 v2, v2, v6
	v_and_b32_e32 v8, 63, v7
	v_cmp_gt_u32_e64 s[0:1], 48, v8
	v_cndmask_b32_e64 v4, 0, 16, s[0:1]
	v_cmp_gt_u32_e64 s[0:1], 56, v8
	s_waitcnt lgkmcnt(0)
	v_add_f32_e32 v5, v6, v2
	v_add_lshl_u32 v2, v4, v7, 2
	ds_bpermute_b32 v4, v2, v5
	v_cndmask_b32_e64 v2, 0, 8, s[0:1]
	v_add_lshl_u32 v2, v2, v7, 2
	v_cmp_gt_u32_e64 s[0:1], 60, v8
	s_waitcnt lgkmcnt(0)
	v_add_f32_e32 v5, v5, v4
	ds_bpermute_b32 v6, v2, v5
	v_cndmask_b32_e64 v4, 0, 4, s[0:1]
	v_add_lshl_u32 v4, v4, v7, 2
	v_cmp_gt_u32_e64 s[0:1], 62, v8
	s_waitcnt lgkmcnt(0)
	s_barrier
	v_add_f32_e32 v6, v5, v6
	ds_bpermute_b32 v9, v4, v6
	v_cndmask_b32_e64 v5, 0, 2, s[0:1]
	v_add_lshl_u32 v5, v5, v7, 2
	v_cmp_ne_u32_e64 s[0:1], 63, v8
	v_addc_co_u32_e64 v8, s[0:1], 0, v7, s[0:1]
	s_waitcnt lgkmcnt(0)
	v_add_f32_e32 v6, v6, v9
	ds_bpermute_b32 v9, v5, v6
	v_cmp_eq_u32_e64 s[0:1], 0, v3
	s_waitcnt lgkmcnt(0)
	v_add_f32_e32 v7, v6, v9
	v_lshlrev_b32_e32 v6, 2, v8
	ds_bpermute_b32 v8, v6, v7
	s_and_saveexec_b64 s[2:3], s[0:1]
	s_cbranch_execz .LBB195_8
; %bb.7:
	s_waitcnt lgkmcnt(0)
	v_add_f32_e32 v3, v7, v8
	v_lshrrev_b32_e32 v7, 4, v0
	v_and_b32_e32 v7, 60, v7
	ds_write_b32 v7, v3
.LBB195_8:
	s_or_b64 exec, exec, s[2:3]
	v_cmp_gt_u32_e64 s[0:1], 16, v0
	v_mov_b32_e32 v3, 0
	s_waitcnt lgkmcnt(0)
	s_barrier
	s_and_saveexec_b64 s[2:3], s[0:1]
	s_cbranch_execnz .LBB195_12
; %bb.9:
	s_or_b64 exec, exec, s[2:3]
	s_and_saveexec_b64 s[0:1], vcc
	s_cbranch_execnz .LBB195_13
.LBB195_10:
	s_or_b64 exec, exec, s[0:1]
	v_cmp_eq_u32_e32 vcc, 0, v0
	s_and_saveexec_b64 s[0:1], vcc
	s_cbranch_execnz .LBB195_14
.LBB195_11:
	s_endpgm
.LBB195_12:
	ds_read_b32 v3, v1
	s_or_b64 exec, exec, s[2:3]
	s_and_saveexec_b64 s[0:1], vcc
	s_cbranch_execz .LBB195_10
.LBB195_13:
	s_waitcnt lgkmcnt(0)
	ds_bpermute_b32 v1, v2, v3
	s_waitcnt lgkmcnt(0)
	v_add_f32_e32 v1, v3, v1
	ds_bpermute_b32 v2, v4, v1
	s_waitcnt lgkmcnt(0)
	v_add_f32_e32 v1, v1, v2
	;; [unrolled: 3-line block ×4, first 2 shown]
	s_or_b64 exec, exec, s[0:1]
	v_cmp_eq_u32_e32 vcc, 0, v0
	s_and_saveexec_b64 s[0:1], vcc
	s_cbranch_execz .LBB195_11
.LBB195_14:
	s_mov_b32 s0, 0x7f800000
	s_waitcnt lgkmcnt(0)
	v_and_b32_e32 v0, 0x7f800000, v3
	v_cmp_ne_u32_e32 vcc, s0, v0
                                        ; implicit-def: $vgpr0
	s_and_saveexec_b64 s[0:1], vcc
	s_xor_b64 s[0:1], exec, s[0:1]
; %bb.15:
	v_bfe_u32 v0, v3, 16, 1
	s_movk_i32 s2, 0x7fff
	v_add3_u32 v0, v3, v0, s2
                                        ; implicit-def: $vgpr3
; %bb.16:
	s_andn2_saveexec_b64 s[0:1], s[0:1]
; %bb.17:
	v_mov_b32_e32 v0, 0
	v_or_b32_e32 v1, 0x10000, v3
	v_cmp_eq_u32_sdwa vcc, v3, v0 src0_sel:WORD_0 src1_sel:DWORD
	v_cndmask_b32_e32 v0, v1, v3, vcc
; %bb.18:
	s_or_b64 exec, exec, s[0:1]
	s_lshl_b64 s[0:1], s[6:7], 1
	s_add_u32 s0, s8, s0
	s_addc_u32 s1, s9, s1
	v_mov_b32_e32 v1, 0
	global_store_short_d16_hi v1, v0, s[0:1]
	s_endpgm
	.section	.rodata,"a",@progbits
	.p2align	6, 0x0
	.amdhsa_kernel _ZL18rocblas_dot_kernelIiLb1ELi1024ELi32ELb1E16rocblas_bfloat16PKS0_fEviT5_lT_lS3_lS4_liPT6_PT4_
		.amdhsa_group_segment_fixed_size 256
		.amdhsa_private_segment_fixed_size 0
		.amdhsa_kernarg_size 352
		.amdhsa_user_sgpr_count 6
		.amdhsa_user_sgpr_private_segment_buffer 1
		.amdhsa_user_sgpr_dispatch_ptr 0
		.amdhsa_user_sgpr_queue_ptr 0
		.amdhsa_user_sgpr_kernarg_segment_ptr 1
		.amdhsa_user_sgpr_dispatch_id 0
		.amdhsa_user_sgpr_flat_scratch_init 0
		.amdhsa_user_sgpr_private_segment_size 0
		.amdhsa_uses_dynamic_stack 0
		.amdhsa_system_sgpr_private_segment_wavefront_offset 0
		.amdhsa_system_sgpr_workgroup_id_x 1
		.amdhsa_system_sgpr_workgroup_id_y 0
		.amdhsa_system_sgpr_workgroup_id_z 1
		.amdhsa_system_sgpr_workgroup_info 0
		.amdhsa_system_vgpr_workitem_id 0
		.amdhsa_next_free_vgpr 11
		.amdhsa_next_free_sgpr 25
		.amdhsa_reserve_vcc 1
		.amdhsa_reserve_flat_scratch 0
		.amdhsa_float_round_mode_32 0
		.amdhsa_float_round_mode_16_64 0
		.amdhsa_float_denorm_mode_32 3
		.amdhsa_float_denorm_mode_16_64 3
		.amdhsa_dx10_clamp 1
		.amdhsa_ieee_mode 1
		.amdhsa_fp16_overflow 0
		.amdhsa_exception_fp_ieee_invalid_op 0
		.amdhsa_exception_fp_denorm_src 0
		.amdhsa_exception_fp_ieee_div_zero 0
		.amdhsa_exception_fp_ieee_overflow 0
		.amdhsa_exception_fp_ieee_underflow 0
		.amdhsa_exception_fp_ieee_inexact 0
		.amdhsa_exception_int_div_zero 0
	.end_amdhsa_kernel
	.section	.text._ZL18rocblas_dot_kernelIiLb1ELi1024ELi32ELb1E16rocblas_bfloat16PKS0_fEviT5_lT_lS3_lS4_liPT6_PT4_,"axG",@progbits,_ZL18rocblas_dot_kernelIiLb1ELi1024ELi32ELb1E16rocblas_bfloat16PKS0_fEviT5_lT_lS3_lS4_liPT6_PT4_,comdat
.Lfunc_end195:
	.size	_ZL18rocblas_dot_kernelIiLb1ELi1024ELi32ELb1E16rocblas_bfloat16PKS0_fEviT5_lT_lS3_lS4_liPT6_PT4_, .Lfunc_end195-_ZL18rocblas_dot_kernelIiLb1ELi1024ELi32ELb1E16rocblas_bfloat16PKS0_fEviT5_lT_lS3_lS4_liPT6_PT4_
                                        ; -- End function
	.set _ZL18rocblas_dot_kernelIiLb1ELi1024ELi32ELb1E16rocblas_bfloat16PKS0_fEviT5_lT_lS3_lS4_liPT6_PT4_.num_vgpr, 11
	.set _ZL18rocblas_dot_kernelIiLb1ELi1024ELi32ELb1E16rocblas_bfloat16PKS0_fEviT5_lT_lS3_lS4_liPT6_PT4_.num_agpr, 0
	.set _ZL18rocblas_dot_kernelIiLb1ELi1024ELi32ELb1E16rocblas_bfloat16PKS0_fEviT5_lT_lS3_lS4_liPT6_PT4_.numbered_sgpr, 25
	.set _ZL18rocblas_dot_kernelIiLb1ELi1024ELi32ELb1E16rocblas_bfloat16PKS0_fEviT5_lT_lS3_lS4_liPT6_PT4_.num_named_barrier, 0
	.set _ZL18rocblas_dot_kernelIiLb1ELi1024ELi32ELb1E16rocblas_bfloat16PKS0_fEviT5_lT_lS3_lS4_liPT6_PT4_.private_seg_size, 0
	.set _ZL18rocblas_dot_kernelIiLb1ELi1024ELi32ELb1E16rocblas_bfloat16PKS0_fEviT5_lT_lS3_lS4_liPT6_PT4_.uses_vcc, 1
	.set _ZL18rocblas_dot_kernelIiLb1ELi1024ELi32ELb1E16rocblas_bfloat16PKS0_fEviT5_lT_lS3_lS4_liPT6_PT4_.uses_flat_scratch, 0
	.set _ZL18rocblas_dot_kernelIiLb1ELi1024ELi32ELb1E16rocblas_bfloat16PKS0_fEviT5_lT_lS3_lS4_liPT6_PT4_.has_dyn_sized_stack, 0
	.set _ZL18rocblas_dot_kernelIiLb1ELi1024ELi32ELb1E16rocblas_bfloat16PKS0_fEviT5_lT_lS3_lS4_liPT6_PT4_.has_recursion, 0
	.set _ZL18rocblas_dot_kernelIiLb1ELi1024ELi32ELb1E16rocblas_bfloat16PKS0_fEviT5_lT_lS3_lS4_liPT6_PT4_.has_indirect_call, 0
	.section	.AMDGPU.csdata,"",@progbits
; Kernel info:
; codeLenInByte = 1008
; TotalNumSgprs: 29
; NumVgprs: 11
; ScratchSize: 0
; MemoryBound: 0
; FloatMode: 240
; IeeeMode: 1
; LDSByteSize: 256 bytes/workgroup (compile time only)
; SGPRBlocks: 3
; VGPRBlocks: 2
; NumSGPRsForWavesPerEU: 29
; NumVGPRsForWavesPerEU: 11
; Occupancy: 10
; WaveLimiterHint : 0
; COMPUTE_PGM_RSRC2:SCRATCH_EN: 0
; COMPUTE_PGM_RSRC2:USER_SGPR: 6
; COMPUTE_PGM_RSRC2:TRAP_HANDLER: 0
; COMPUTE_PGM_RSRC2:TGID_X_EN: 1
; COMPUTE_PGM_RSRC2:TGID_Y_EN: 0
; COMPUTE_PGM_RSRC2:TGID_Z_EN: 1
; COMPUTE_PGM_RSRC2:TIDIG_COMP_CNT: 0
	.section	.text._ZL24rocblas_dot_kernel_magsqIiLb1ELi1024ELi32ELb1E16rocblas_bfloat16PKS0_fEviT5_lT_liPT6_PT4_,"axG",@progbits,_ZL24rocblas_dot_kernel_magsqIiLb1ELi1024ELi32ELb1E16rocblas_bfloat16PKS0_fEviT5_lT_liPT6_PT4_,comdat
	.globl	_ZL24rocblas_dot_kernel_magsqIiLb1ELi1024ELi32ELb1E16rocblas_bfloat16PKS0_fEviT5_lT_liPT6_PT4_ ; -- Begin function _ZL24rocblas_dot_kernel_magsqIiLb1ELi1024ELi32ELb1E16rocblas_bfloat16PKS0_fEviT5_lT_liPT6_PT4_
	.p2align	8
	.type	_ZL24rocblas_dot_kernel_magsqIiLb1ELi1024ELi32ELb1E16rocblas_bfloat16PKS0_fEviT5_lT_liPT6_PT4_,@function
_ZL24rocblas_dot_kernel_magsqIiLb1ELi1024ELi32ELb1E16rocblas_bfloat16PKS0_fEviT5_lT_liPT6_PT4_: ; @_ZL24rocblas_dot_kernel_magsqIiLb1ELi1024ELi32ELb1E16rocblas_bfloat16PKS0_fEviT5_lT_liPT6_PT4_
; %bb.0:
	s_mov_b32 s2, s7
	s_load_dword s12, s[4:5], 0x0
	s_load_dwordx2 s[6:7], s[4:5], 0x38
	s_mov_b32 s3, 0
	v_mov_b32_e32 v3, 0
	s_waitcnt lgkmcnt(0)
	v_cmp_gt_i32_e32 vcc, s12, v0
	s_and_saveexec_b64 s[8:9], vcc
	s_cbranch_execz .LBB196_4
; %bb.1:
	s_load_dword s10, s[4:5], 0x40
	s_load_dwordx2 s[0:1], s[4:5], 0x20
	s_load_dwordx4 s[16:19], s[4:5], 0x8
	s_load_dword s11, s[4:5], 0x18
	s_waitcnt lgkmcnt(0)
	s_lshl_b32 s13, s10, 10
	s_mul_i32 s1, s1, s2
	s_mul_hi_u32 s10, s0, s2
	v_mad_i64_i32 v[1:2], s[4:5], s11, v0, 0
	s_add_i32 s1, s10, s1
	s_mul_i32 s0, s0, s2
	s_lshl_b64 s[0:1], s[0:1], 1
	s_lshl_b64 s[4:5], s[18:19], 1
	s_add_u32 s4, s16, s4
	s_addc_u32 s5, s17, s5
	v_lshlrev_b64 v[1:2], 1, v[1:2]
	s_add_u32 s0, s4, s0
	s_addc_u32 s1, s5, s1
	v_mov_b32_e32 v3, s1
	v_add_co_u32_e32 v1, vcc, s0, v1
	s_mul_hi_i32 s1, s11, s13
	s_mul_i32 s0, s11, s13
	s_lshl_b64 s[4:5], s[0:1], 1
	v_or_b32_e32 v4, s13, v0
	v_addc_co_u32_e32 v2, vcc, v3, v2, vcc
	v_mov_b32_e32 v3, 0
	s_mov_b64 s[10:11], 0
	v_mov_b32_e32 v5, s5
	s_mov_b32 s5, s3
.LBB196_2:                              ; =>This Inner Loop Header: Depth=1
	global_load_ushort v6, v[1:2], off
	s_add_i32 s14, s5, 1
	v_add_co_u32_e64 v1, s[0:1], s4, v1
	v_addc_co_u32_e64 v2, s[0:1], v2, v5, s[0:1]
	s_cmp_gt_u32 s5, 30
	v_cmp_le_i32_e32 vcc, s12, v4
	s_cselect_b64 s[0:1], -1, 0
	s_or_b64 s[0:1], s[0:1], vcc
	s_and_b64 s[0:1], exec, s[0:1]
	v_add_u32_e32 v4, s13, v4
	s_mov_b32 s5, s14
	s_or_b64 s[10:11], s[0:1], s[10:11]
	s_waitcnt vmcnt(0)
	v_lshlrev_b32_e32 v6, 16, v6
	v_fmac_f32_e32 v3, v6, v6
	s_andn2_b64 exec, exec, s[10:11]
	s_cbranch_execnz .LBB196_2
; %bb.3:
	s_or_b64 exec, exec, s[10:11]
.LBB196_4:
	s_or_b64 exec, exec, s[8:9]
	v_and_b32_e32 v5, 63, v0
	v_cmp_gt_u32_e32 vcc, 64, v0
	v_lshlrev_b32_e32 v1, 2, v5
	s_and_saveexec_b64 s[0:1], vcc
; %bb.5:
	v_mov_b32_e32 v2, 0
	ds_write_b32 v1, v2
; %bb.6:
	s_or_b64 exec, exec, s[0:1]
	v_mbcnt_lo_u32_b32 v2, -1, 0
	v_mbcnt_hi_u32_b32 v7, -1, v2
	v_mov_b32_e32 v2, 0x80
	v_lshl_or_b32 v2, v7, 2, v2
	ds_bpermute_b32 v2, v2, v3
	v_and_b32_e32 v8, 63, v7
	v_cmp_gt_u32_e64 s[0:1], 48, v8
	v_cndmask_b32_e64 v4, 0, 16, s[0:1]
	v_cmp_gt_u32_e64 s[0:1], 56, v8
	s_waitcnt lgkmcnt(0)
	v_add_f32_e32 v3, v3, v2
	v_add_lshl_u32 v2, v4, v7, 2
	ds_bpermute_b32 v4, v2, v3
	v_cndmask_b32_e64 v2, 0, 8, s[0:1]
	v_add_lshl_u32 v2, v2, v7, 2
	v_cmp_gt_u32_e64 s[0:1], 60, v8
	s_waitcnt lgkmcnt(0)
	v_add_f32_e32 v3, v3, v4
	ds_bpermute_b32 v6, v2, v3
	v_cndmask_b32_e64 v4, 0, 4, s[0:1]
	v_add_lshl_u32 v4, v4, v7, 2
	v_cmp_gt_u32_e64 s[0:1], 62, v8
	s_waitcnt lgkmcnt(0)
	s_barrier
	v_add_f32_e32 v3, v3, v6
	ds_bpermute_b32 v9, v4, v3
	v_cndmask_b32_e64 v6, 0, 2, s[0:1]
	v_add_lshl_u32 v6, v6, v7, 2
	v_cmp_ne_u32_e64 s[0:1], 63, v8
	v_addc_co_u32_e64 v7, s[0:1], 0, v7, s[0:1]
	s_waitcnt lgkmcnt(0)
	v_add_f32_e32 v3, v3, v9
	ds_bpermute_b32 v9, v6, v3
	v_lshlrev_b32_e32 v7, 2, v7
	v_cmp_eq_u32_e64 s[0:1], 0, v5
	s_waitcnt lgkmcnt(0)
	v_add_f32_e32 v3, v3, v9
	ds_bpermute_b32 v8, v7, v3
	s_and_saveexec_b64 s[4:5], s[0:1]
	s_cbranch_execz .LBB196_8
; %bb.7:
	v_lshrrev_b32_e32 v5, 4, v0
	s_waitcnt lgkmcnt(0)
	v_add_f32_e32 v3, v3, v8
	v_and_b32_e32 v5, 60, v5
	ds_write_b32 v5, v3
.LBB196_8:
	s_or_b64 exec, exec, s[4:5]
	v_cmp_gt_u32_e64 s[0:1], 16, v0
	v_mov_b32_e32 v3, 0
	s_waitcnt lgkmcnt(0)
	s_barrier
	s_and_saveexec_b64 s[4:5], s[0:1]
	s_cbranch_execnz .LBB196_12
; %bb.9:
	s_or_b64 exec, exec, s[4:5]
	s_and_saveexec_b64 s[0:1], vcc
	s_cbranch_execnz .LBB196_13
.LBB196_10:
	s_or_b64 exec, exec, s[0:1]
	v_cmp_eq_u32_e32 vcc, 0, v0
	s_and_saveexec_b64 s[0:1], vcc
	s_cbranch_execnz .LBB196_14
.LBB196_11:
	s_endpgm
.LBB196_12:
	ds_read_b32 v3, v1
	s_or_b64 exec, exec, s[4:5]
	s_and_saveexec_b64 s[0:1], vcc
	s_cbranch_execz .LBB196_10
.LBB196_13:
	s_waitcnt lgkmcnt(0)
	ds_bpermute_b32 v1, v2, v3
	s_waitcnt lgkmcnt(0)
	v_add_f32_e32 v1, v3, v1
	ds_bpermute_b32 v2, v4, v1
	s_waitcnt lgkmcnt(0)
	v_add_f32_e32 v1, v1, v2
	;; [unrolled: 3-line block ×4, first 2 shown]
	s_or_b64 exec, exec, s[0:1]
	v_cmp_eq_u32_e32 vcc, 0, v0
	s_and_saveexec_b64 s[0:1], vcc
	s_cbranch_execz .LBB196_11
.LBB196_14:
	s_mov_b32 s0, 0x7f800000
	s_waitcnt lgkmcnt(0)
	v_and_b32_e32 v0, 0x7f800000, v3
	v_cmp_ne_u32_e32 vcc, s0, v0
                                        ; implicit-def: $vgpr0
	s_and_saveexec_b64 s[0:1], vcc
	s_xor_b64 s[0:1], exec, s[0:1]
; %bb.15:
	v_bfe_u32 v0, v3, 16, 1
	s_movk_i32 s4, 0x7fff
	v_add3_u32 v0, v3, v0, s4
                                        ; implicit-def: $vgpr3
; %bb.16:
	s_andn2_saveexec_b64 s[0:1], s[0:1]
; %bb.17:
	v_mov_b32_e32 v0, 0
	v_or_b32_e32 v1, 0x10000, v3
	v_cmp_eq_u32_sdwa vcc, v3, v0 src0_sel:WORD_0 src1_sel:DWORD
	v_cndmask_b32_e32 v0, v1, v3, vcc
; %bb.18:
	s_or_b64 exec, exec, s[0:1]
	s_lshl_b64 s[0:1], s[2:3], 1
	s_add_u32 s0, s6, s0
	s_addc_u32 s1, s7, s1
	v_mov_b32_e32 v1, 0
	global_store_short_d16_hi v1, v0, s[0:1]
	s_endpgm
	.section	.rodata,"a",@progbits
	.p2align	6, 0x0
	.amdhsa_kernel _ZL24rocblas_dot_kernel_magsqIiLb1ELi1024ELi32ELb1E16rocblas_bfloat16PKS0_fEviT5_lT_liPT6_PT4_
		.amdhsa_group_segment_fixed_size 256
		.amdhsa_private_segment_fixed_size 0
		.amdhsa_kernarg_size 320
		.amdhsa_user_sgpr_count 6
		.amdhsa_user_sgpr_private_segment_buffer 1
		.amdhsa_user_sgpr_dispatch_ptr 0
		.amdhsa_user_sgpr_queue_ptr 0
		.amdhsa_user_sgpr_kernarg_segment_ptr 1
		.amdhsa_user_sgpr_dispatch_id 0
		.amdhsa_user_sgpr_flat_scratch_init 0
		.amdhsa_user_sgpr_private_segment_size 0
		.amdhsa_uses_dynamic_stack 0
		.amdhsa_system_sgpr_private_segment_wavefront_offset 0
		.amdhsa_system_sgpr_workgroup_id_x 1
		.amdhsa_system_sgpr_workgroup_id_y 0
		.amdhsa_system_sgpr_workgroup_id_z 1
		.amdhsa_system_sgpr_workgroup_info 0
		.amdhsa_system_vgpr_workitem_id 0
		.amdhsa_next_free_vgpr 10
		.amdhsa_next_free_sgpr 20
		.amdhsa_reserve_vcc 1
		.amdhsa_reserve_flat_scratch 0
		.amdhsa_float_round_mode_32 0
		.amdhsa_float_round_mode_16_64 0
		.amdhsa_float_denorm_mode_32 3
		.amdhsa_float_denorm_mode_16_64 3
		.amdhsa_dx10_clamp 1
		.amdhsa_ieee_mode 1
		.amdhsa_fp16_overflow 0
		.amdhsa_exception_fp_ieee_invalid_op 0
		.amdhsa_exception_fp_denorm_src 0
		.amdhsa_exception_fp_ieee_div_zero 0
		.amdhsa_exception_fp_ieee_overflow 0
		.amdhsa_exception_fp_ieee_underflow 0
		.amdhsa_exception_fp_ieee_inexact 0
		.amdhsa_exception_int_div_zero 0
	.end_amdhsa_kernel
	.section	.text._ZL24rocblas_dot_kernel_magsqIiLb1ELi1024ELi32ELb1E16rocblas_bfloat16PKS0_fEviT5_lT_liPT6_PT4_,"axG",@progbits,_ZL24rocblas_dot_kernel_magsqIiLb1ELi1024ELi32ELb1E16rocblas_bfloat16PKS0_fEviT5_lT_liPT6_PT4_,comdat
.Lfunc_end196:
	.size	_ZL24rocblas_dot_kernel_magsqIiLb1ELi1024ELi32ELb1E16rocblas_bfloat16PKS0_fEviT5_lT_liPT6_PT4_, .Lfunc_end196-_ZL24rocblas_dot_kernel_magsqIiLb1ELi1024ELi32ELb1E16rocblas_bfloat16PKS0_fEviT5_lT_liPT6_PT4_
                                        ; -- End function
	.set _ZL24rocblas_dot_kernel_magsqIiLb1ELi1024ELi32ELb1E16rocblas_bfloat16PKS0_fEviT5_lT_liPT6_PT4_.num_vgpr, 10
	.set _ZL24rocblas_dot_kernel_magsqIiLb1ELi1024ELi32ELb1E16rocblas_bfloat16PKS0_fEviT5_lT_liPT6_PT4_.num_agpr, 0
	.set _ZL24rocblas_dot_kernel_magsqIiLb1ELi1024ELi32ELb1E16rocblas_bfloat16PKS0_fEviT5_lT_liPT6_PT4_.numbered_sgpr, 20
	.set _ZL24rocblas_dot_kernel_magsqIiLb1ELi1024ELi32ELb1E16rocblas_bfloat16PKS0_fEviT5_lT_liPT6_PT4_.num_named_barrier, 0
	.set _ZL24rocblas_dot_kernel_magsqIiLb1ELi1024ELi32ELb1E16rocblas_bfloat16PKS0_fEviT5_lT_liPT6_PT4_.private_seg_size, 0
	.set _ZL24rocblas_dot_kernel_magsqIiLb1ELi1024ELi32ELb1E16rocblas_bfloat16PKS0_fEviT5_lT_liPT6_PT4_.uses_vcc, 1
	.set _ZL24rocblas_dot_kernel_magsqIiLb1ELi1024ELi32ELb1E16rocblas_bfloat16PKS0_fEviT5_lT_liPT6_PT4_.uses_flat_scratch, 0
	.set _ZL24rocblas_dot_kernel_magsqIiLb1ELi1024ELi32ELb1E16rocblas_bfloat16PKS0_fEviT5_lT_liPT6_PT4_.has_dyn_sized_stack, 0
	.set _ZL24rocblas_dot_kernel_magsqIiLb1ELi1024ELi32ELb1E16rocblas_bfloat16PKS0_fEviT5_lT_liPT6_PT4_.has_recursion, 0
	.set _ZL24rocblas_dot_kernel_magsqIiLb1ELi1024ELi32ELb1E16rocblas_bfloat16PKS0_fEviT5_lT_liPT6_PT4_.has_indirect_call, 0
	.section	.AMDGPU.csdata,"",@progbits
; Kernel info:
; codeLenInByte = 868
; TotalNumSgprs: 24
; NumVgprs: 10
; ScratchSize: 0
; MemoryBound: 0
; FloatMode: 240
; IeeeMode: 1
; LDSByteSize: 256 bytes/workgroup (compile time only)
; SGPRBlocks: 2
; VGPRBlocks: 2
; NumSGPRsForWavesPerEU: 24
; NumVGPRsForWavesPerEU: 10
; Occupancy: 10
; WaveLimiterHint : 0
; COMPUTE_PGM_RSRC2:SCRATCH_EN: 0
; COMPUTE_PGM_RSRC2:USER_SGPR: 6
; COMPUTE_PGM_RSRC2:TRAP_HANDLER: 0
; COMPUTE_PGM_RSRC2:TGID_X_EN: 1
; COMPUTE_PGM_RSRC2:TGID_Y_EN: 0
; COMPUTE_PGM_RSRC2:TGID_Z_EN: 1
; COMPUTE_PGM_RSRC2:TIDIG_COMP_CNT: 0
	.section	.text._ZL38rocblas_dot_kernel_gfx942_float_doubleIiLi1024E16rocblas_bfloat16PKS0_fEviT2_lT_lS3_lS4_lPT3_PT1_,"axG",@progbits,_ZL38rocblas_dot_kernel_gfx942_float_doubleIiLi1024E16rocblas_bfloat16PKS0_fEviT2_lT_lS3_lS4_lPT3_PT1_,comdat
	.globl	_ZL38rocblas_dot_kernel_gfx942_float_doubleIiLi1024E16rocblas_bfloat16PKS0_fEviT2_lT_lS3_lS4_lPT3_PT1_ ; -- Begin function _ZL38rocblas_dot_kernel_gfx942_float_doubleIiLi1024E16rocblas_bfloat16PKS0_fEviT2_lT_lS3_lS4_lPT3_PT1_
	.p2align	8
	.type	_ZL38rocblas_dot_kernel_gfx942_float_doubleIiLi1024E16rocblas_bfloat16PKS0_fEviT2_lT_lS3_lS4_lPT3_PT1_,@function
_ZL38rocblas_dot_kernel_gfx942_float_doubleIiLi1024E16rocblas_bfloat16PKS0_fEviT2_lT_lS3_lS4_lPT3_PT1_: ; @_ZL38rocblas_dot_kernel_gfx942_float_doubleIiLi1024E16rocblas_bfloat16PKS0_fEviT2_lT_lS3_lS4_lPT3_PT1_
; %bb.0:
	s_endpgm
	.section	.rodata,"a",@progbits
	.p2align	6, 0x0
	.amdhsa_kernel _ZL38rocblas_dot_kernel_gfx942_float_doubleIiLi1024E16rocblas_bfloat16PKS0_fEviT2_lT_lS3_lS4_lPT3_PT1_
		.amdhsa_group_segment_fixed_size 0
		.amdhsa_private_segment_fixed_size 0
		.amdhsa_kernarg_size 88
		.amdhsa_user_sgpr_count 6
		.amdhsa_user_sgpr_private_segment_buffer 1
		.amdhsa_user_sgpr_dispatch_ptr 0
		.amdhsa_user_sgpr_queue_ptr 0
		.amdhsa_user_sgpr_kernarg_segment_ptr 1
		.amdhsa_user_sgpr_dispatch_id 0
		.amdhsa_user_sgpr_flat_scratch_init 0
		.amdhsa_user_sgpr_private_segment_size 0
		.amdhsa_uses_dynamic_stack 0
		.amdhsa_system_sgpr_private_segment_wavefront_offset 0
		.amdhsa_system_sgpr_workgroup_id_x 1
		.amdhsa_system_sgpr_workgroup_id_y 0
		.amdhsa_system_sgpr_workgroup_id_z 0
		.amdhsa_system_sgpr_workgroup_info 0
		.amdhsa_system_vgpr_workitem_id 0
		.amdhsa_next_free_vgpr 1
		.amdhsa_next_free_sgpr 0
		.amdhsa_reserve_vcc 0
		.amdhsa_reserve_flat_scratch 0
		.amdhsa_float_round_mode_32 0
		.amdhsa_float_round_mode_16_64 0
		.amdhsa_float_denorm_mode_32 3
		.amdhsa_float_denorm_mode_16_64 3
		.amdhsa_dx10_clamp 1
		.amdhsa_ieee_mode 1
		.amdhsa_fp16_overflow 0
		.amdhsa_exception_fp_ieee_invalid_op 0
		.amdhsa_exception_fp_denorm_src 0
		.amdhsa_exception_fp_ieee_div_zero 0
		.amdhsa_exception_fp_ieee_overflow 0
		.amdhsa_exception_fp_ieee_underflow 0
		.amdhsa_exception_fp_ieee_inexact 0
		.amdhsa_exception_int_div_zero 0
	.end_amdhsa_kernel
	.section	.text._ZL38rocblas_dot_kernel_gfx942_float_doubleIiLi1024E16rocblas_bfloat16PKS0_fEviT2_lT_lS3_lS4_lPT3_PT1_,"axG",@progbits,_ZL38rocblas_dot_kernel_gfx942_float_doubleIiLi1024E16rocblas_bfloat16PKS0_fEviT2_lT_lS3_lS4_lPT3_PT1_,comdat
.Lfunc_end197:
	.size	_ZL38rocblas_dot_kernel_gfx942_float_doubleIiLi1024E16rocblas_bfloat16PKS0_fEviT2_lT_lS3_lS4_lPT3_PT1_, .Lfunc_end197-_ZL38rocblas_dot_kernel_gfx942_float_doubleIiLi1024E16rocblas_bfloat16PKS0_fEviT2_lT_lS3_lS4_lPT3_PT1_
                                        ; -- End function
	.set _ZL38rocblas_dot_kernel_gfx942_float_doubleIiLi1024E16rocblas_bfloat16PKS0_fEviT2_lT_lS3_lS4_lPT3_PT1_.num_vgpr, 0
	.set _ZL38rocblas_dot_kernel_gfx942_float_doubleIiLi1024E16rocblas_bfloat16PKS0_fEviT2_lT_lS3_lS4_lPT3_PT1_.num_agpr, 0
	.set _ZL38rocblas_dot_kernel_gfx942_float_doubleIiLi1024E16rocblas_bfloat16PKS0_fEviT2_lT_lS3_lS4_lPT3_PT1_.numbered_sgpr, 0
	.set _ZL38rocblas_dot_kernel_gfx942_float_doubleIiLi1024E16rocblas_bfloat16PKS0_fEviT2_lT_lS3_lS4_lPT3_PT1_.num_named_barrier, 0
	.set _ZL38rocblas_dot_kernel_gfx942_float_doubleIiLi1024E16rocblas_bfloat16PKS0_fEviT2_lT_lS3_lS4_lPT3_PT1_.private_seg_size, 0
	.set _ZL38rocblas_dot_kernel_gfx942_float_doubleIiLi1024E16rocblas_bfloat16PKS0_fEviT2_lT_lS3_lS4_lPT3_PT1_.uses_vcc, 0
	.set _ZL38rocblas_dot_kernel_gfx942_float_doubleIiLi1024E16rocblas_bfloat16PKS0_fEviT2_lT_lS3_lS4_lPT3_PT1_.uses_flat_scratch, 0
	.set _ZL38rocblas_dot_kernel_gfx942_float_doubleIiLi1024E16rocblas_bfloat16PKS0_fEviT2_lT_lS3_lS4_lPT3_PT1_.has_dyn_sized_stack, 0
	.set _ZL38rocblas_dot_kernel_gfx942_float_doubleIiLi1024E16rocblas_bfloat16PKS0_fEviT2_lT_lS3_lS4_lPT3_PT1_.has_recursion, 0
	.set _ZL38rocblas_dot_kernel_gfx942_float_doubleIiLi1024E16rocblas_bfloat16PKS0_fEviT2_lT_lS3_lS4_lPT3_PT1_.has_indirect_call, 0
	.section	.AMDGPU.csdata,"",@progbits
; Kernel info:
; codeLenInByte = 4
; TotalNumSgprs: 4
; NumVgprs: 0
; ScratchSize: 0
; MemoryBound: 0
; FloatMode: 240
; IeeeMode: 1
; LDSByteSize: 0 bytes/workgroup (compile time only)
; SGPRBlocks: 0
; VGPRBlocks: 0
; NumSGPRsForWavesPerEU: 4
; NumVGPRsForWavesPerEU: 1
; Occupancy: 10
; WaveLimiterHint : 0
; COMPUTE_PGM_RSRC2:SCRATCH_EN: 0
; COMPUTE_PGM_RSRC2:USER_SGPR: 6
; COMPUTE_PGM_RSRC2:TRAP_HANDLER: 0
; COMPUTE_PGM_RSRC2:TGID_X_EN: 1
; COMPUTE_PGM_RSRC2:TGID_Y_EN: 0
; COMPUTE_PGM_RSRC2:TGID_Z_EN: 0
; COMPUTE_PGM_RSRC2:TIDIG_COMP_CNT: 0
	.section	.text._ZL30rocblas_reduction_kernel_part2ILi1024ELi4E25rocblas_finalize_identityf16rocblas_bfloat16EviPT2_PT3_,"axG",@progbits,_ZL30rocblas_reduction_kernel_part2ILi1024ELi4E25rocblas_finalize_identityf16rocblas_bfloat16EviPT2_PT3_,comdat
	.globl	_ZL30rocblas_reduction_kernel_part2ILi1024ELi4E25rocblas_finalize_identityf16rocblas_bfloat16EviPT2_PT3_ ; -- Begin function _ZL30rocblas_reduction_kernel_part2ILi1024ELi4E25rocblas_finalize_identityf16rocblas_bfloat16EviPT2_PT3_
	.p2align	8
	.type	_ZL30rocblas_reduction_kernel_part2ILi1024ELi4E25rocblas_finalize_identityf16rocblas_bfloat16EviPT2_PT3_,@function
_ZL30rocblas_reduction_kernel_part2ILi1024ELi4E25rocblas_finalize_identityf16rocblas_bfloat16EviPT2_PT3_: ; @_ZL30rocblas_reduction_kernel_part2ILi1024ELi4E25rocblas_finalize_identityf16rocblas_bfloat16EviPT2_PT3_
; %bb.0:
	s_load_dword s12, s[4:5], 0x0
	s_load_dwordx4 s[0:3], s[4:5], 0x8
	v_lshlrev_b32_e32 v4, 2, v0
	s_mov_b32 s7, 0
	v_mov_b32_e32 v3, 0
	s_waitcnt lgkmcnt(0)
	s_ashr_i32 s8, s12, 31
	s_mul_i32 s5, s8, s6
	s_lshr_b32 s8, s8, 30
	s_add_i32 s8, s12, s8
	s_mul_hi_u32 s4, s12, s6
	s_and_b32 s13, s8, -4
	s_add_i32 s5, s4, s5
	s_mul_i32 s4, s12, s6
	v_cmp_gt_i32_e32 vcc, s13, v4
	s_and_saveexec_b64 s[8:9], vcc
	s_cbranch_execz .LBB198_4
; %bb.1:
	s_lshl_b64 s[10:11], s[4:5], 2
	s_add_u32 s10, s0, s10
	v_lshlrev_b32_e32 v1, 4, v0
	s_addc_u32 s11, s1, s11
	v_mov_b32_e32 v2, s11
	v_add_co_u32_e32 v1, vcc, s10, v1
	v_addc_co_u32_e32 v2, vcc, 0, v2, vcc
	v_add_co_u32_e32 v1, vcc, 8, v1
	v_mov_b32_e32 v3, 0
	v_addc_co_u32_e32 v2, vcc, 0, v2, vcc
	s_mov_b64 s[10:11], 0
.LBB198_2:                              ; =>This Inner Loop Header: Depth=1
	global_load_dwordx4 v[5:8], v[1:2], off offset:-8
	v_add_co_u32_e32 v1, vcc, 0x4000, v1
	v_add_u32_e32 v4, 0x1000, v4
	v_addc_co_u32_e32 v2, vcc, 0, v2, vcc
	v_cmp_le_i32_e32 vcc, s13, v4
	s_or_b64 s[10:11], vcc, s[10:11]
	s_waitcnt vmcnt(0)
	v_add_f32_e32 v3, v3, v5
	v_add_f32_e32 v3, v3, v6
	;; [unrolled: 1-line block ×4, first 2 shown]
	s_andn2_b64 exec, exec, s[10:11]
	s_cbranch_execnz .LBB198_2
; %bb.3:
	s_or_b64 exec, exec, s[10:11]
.LBB198_4:
	s_or_b64 exec, exec, s[8:9]
	s_sub_i32 s8, s12, s13
	v_cmp_gt_u32_e32 vcc, s8, v0
	s_and_saveexec_b64 s[8:9], vcc
	s_cbranch_execz .LBB198_6
; %bb.5:
	s_lshl_b64 s[4:5], s[4:5], 2
	v_xad_u32 v1, v0, -1, s12
	v_mov_b32_e32 v2, 0
	s_add_u32 s0, s0, s4
	v_lshlrev_b64 v[1:2], 2, v[1:2]
	s_addc_u32 s1, s1, s5
	v_mov_b32_e32 v4, s1
	v_add_co_u32_e32 v1, vcc, s0, v1
	v_addc_co_u32_e32 v2, vcc, v4, v2, vcc
	global_load_dword v1, v[1:2], off
	s_waitcnt vmcnt(0)
	v_add_f32_e32 v3, v3, v1
.LBB198_6:
	s_or_b64 exec, exec, s[8:9]
	v_and_b32_e32 v5, 63, v0
	v_cmp_gt_u32_e32 vcc, 64, v0
	v_lshlrev_b32_e32 v1, 2, v5
	s_and_saveexec_b64 s[0:1], vcc
; %bb.7:
	v_mov_b32_e32 v2, 0
	ds_write_b32 v1, v2
; %bb.8:
	s_or_b64 exec, exec, s[0:1]
	v_mbcnt_lo_u32_b32 v2, -1, 0
	v_mbcnt_hi_u32_b32 v7, -1, v2
	v_mov_b32_e32 v2, 0x80
	v_lshl_or_b32 v2, v7, 2, v2
	ds_bpermute_b32 v2, v2, v3
	v_and_b32_e32 v8, 63, v7
	v_cmp_gt_u32_e64 s[0:1], 48, v8
	v_cndmask_b32_e64 v4, 0, 16, s[0:1]
	v_cmp_gt_u32_e64 s[0:1], 56, v8
	s_waitcnt lgkmcnt(0)
	v_add_f32_e32 v3, v3, v2
	v_add_lshl_u32 v2, v4, v7, 2
	ds_bpermute_b32 v4, v2, v3
	v_cndmask_b32_e64 v2, 0, 8, s[0:1]
	v_add_lshl_u32 v2, v2, v7, 2
	v_cmp_gt_u32_e64 s[0:1], 60, v8
	s_waitcnt lgkmcnt(0)
	v_add_f32_e32 v3, v3, v4
	ds_bpermute_b32 v6, v2, v3
	v_cndmask_b32_e64 v4, 0, 4, s[0:1]
	v_add_lshl_u32 v4, v4, v7, 2
	v_cmp_gt_u32_e64 s[0:1], 62, v8
	s_waitcnt lgkmcnt(0)
	s_barrier
	v_add_f32_e32 v3, v3, v6
	ds_bpermute_b32 v9, v4, v3
	v_cndmask_b32_e64 v6, 0, 2, s[0:1]
	v_add_lshl_u32 v6, v6, v7, 2
	v_cmp_ne_u32_e64 s[0:1], 63, v8
	v_addc_co_u32_e64 v7, s[0:1], 0, v7, s[0:1]
	s_waitcnt lgkmcnt(0)
	v_add_f32_e32 v3, v3, v9
	ds_bpermute_b32 v9, v6, v3
	v_lshlrev_b32_e32 v7, 2, v7
	v_cmp_eq_u32_e64 s[0:1], 0, v5
	s_waitcnt lgkmcnt(0)
	v_add_f32_e32 v3, v3, v9
	ds_bpermute_b32 v8, v7, v3
	s_and_saveexec_b64 s[4:5], s[0:1]
	s_cbranch_execz .LBB198_10
; %bb.9:
	v_lshrrev_b32_e32 v5, 4, v0
	s_waitcnt lgkmcnt(0)
	v_add_f32_e32 v3, v3, v8
	v_and_b32_e32 v5, 60, v5
	ds_write_b32 v5, v3
.LBB198_10:
	s_or_b64 exec, exec, s[4:5]
	v_cmp_gt_u32_e64 s[0:1], 16, v0
	v_mov_b32_e32 v3, 0
	s_waitcnt lgkmcnt(0)
	s_barrier
	s_and_saveexec_b64 s[4:5], s[0:1]
	s_cbranch_execnz .LBB198_14
; %bb.11:
	s_or_b64 exec, exec, s[4:5]
	s_and_saveexec_b64 s[0:1], vcc
	s_cbranch_execnz .LBB198_15
.LBB198_12:
	s_or_b64 exec, exec, s[0:1]
	v_cmp_eq_u32_e32 vcc, 0, v0
	s_and_saveexec_b64 s[0:1], vcc
	s_cbranch_execnz .LBB198_16
.LBB198_13:
	s_endpgm
.LBB198_14:
	ds_read_b32 v3, v1
	s_or_b64 exec, exec, s[4:5]
	s_and_saveexec_b64 s[0:1], vcc
	s_cbranch_execz .LBB198_12
.LBB198_15:
	s_waitcnt lgkmcnt(0)
	ds_bpermute_b32 v1, v2, v3
	s_waitcnt lgkmcnt(0)
	v_add_f32_e32 v1, v3, v1
	ds_bpermute_b32 v2, v4, v1
	s_waitcnt lgkmcnt(0)
	v_add_f32_e32 v1, v1, v2
	;; [unrolled: 3-line block ×4, first 2 shown]
	s_or_b64 exec, exec, s[0:1]
	v_cmp_eq_u32_e32 vcc, 0, v0
	s_and_saveexec_b64 s[0:1], vcc
	s_cbranch_execz .LBB198_13
.LBB198_16:
	s_mov_b32 s0, 0x7f800000
	s_waitcnt lgkmcnt(0)
	v_and_b32_e32 v0, 0x7f800000, v3
	v_cmp_ne_u32_e32 vcc, s0, v0
                                        ; implicit-def: $vgpr0
	s_and_saveexec_b64 s[0:1], vcc
	s_xor_b64 s[0:1], exec, s[0:1]
; %bb.17:
	v_bfe_u32 v0, v3, 16, 1
	s_movk_i32 s4, 0x7fff
	v_add3_u32 v0, v3, v0, s4
                                        ; implicit-def: $vgpr3
; %bb.18:
	s_andn2_saveexec_b64 s[0:1], s[0:1]
; %bb.19:
	v_mov_b32_e32 v0, 0
	v_or_b32_e32 v1, 0x10000, v3
	v_cmp_eq_u32_sdwa vcc, v3, v0 src0_sel:WORD_0 src1_sel:DWORD
	v_cndmask_b32_e32 v0, v1, v3, vcc
; %bb.20:
	s_or_b64 exec, exec, s[0:1]
	s_lshl_b64 s[0:1], s[6:7], 1
	s_add_u32 s0, s2, s0
	s_addc_u32 s1, s3, s1
	v_mov_b32_e32 v1, 0
	global_store_short_d16_hi v1, v0, s[0:1]
	s_endpgm
	.section	.rodata,"a",@progbits
	.p2align	6, 0x0
	.amdhsa_kernel _ZL30rocblas_reduction_kernel_part2ILi1024ELi4E25rocblas_finalize_identityf16rocblas_bfloat16EviPT2_PT3_
		.amdhsa_group_segment_fixed_size 256
		.amdhsa_private_segment_fixed_size 0
		.amdhsa_kernarg_size 24
		.amdhsa_user_sgpr_count 6
		.amdhsa_user_sgpr_private_segment_buffer 1
		.amdhsa_user_sgpr_dispatch_ptr 0
		.amdhsa_user_sgpr_queue_ptr 0
		.amdhsa_user_sgpr_kernarg_segment_ptr 1
		.amdhsa_user_sgpr_dispatch_id 0
		.amdhsa_user_sgpr_flat_scratch_init 0
		.amdhsa_user_sgpr_private_segment_size 0
		.amdhsa_uses_dynamic_stack 0
		.amdhsa_system_sgpr_private_segment_wavefront_offset 0
		.amdhsa_system_sgpr_workgroup_id_x 1
		.amdhsa_system_sgpr_workgroup_id_y 0
		.amdhsa_system_sgpr_workgroup_id_z 0
		.amdhsa_system_sgpr_workgroup_info 0
		.amdhsa_system_vgpr_workitem_id 0
		.amdhsa_next_free_vgpr 10
		.amdhsa_next_free_sgpr 14
		.amdhsa_reserve_vcc 1
		.amdhsa_reserve_flat_scratch 0
		.amdhsa_float_round_mode_32 0
		.amdhsa_float_round_mode_16_64 0
		.amdhsa_float_denorm_mode_32 3
		.amdhsa_float_denorm_mode_16_64 3
		.amdhsa_dx10_clamp 1
		.amdhsa_ieee_mode 1
		.amdhsa_fp16_overflow 0
		.amdhsa_exception_fp_ieee_invalid_op 0
		.amdhsa_exception_fp_denorm_src 0
		.amdhsa_exception_fp_ieee_div_zero 0
		.amdhsa_exception_fp_ieee_overflow 0
		.amdhsa_exception_fp_ieee_underflow 0
		.amdhsa_exception_fp_ieee_inexact 0
		.amdhsa_exception_int_div_zero 0
	.end_amdhsa_kernel
	.section	.text._ZL30rocblas_reduction_kernel_part2ILi1024ELi4E25rocblas_finalize_identityf16rocblas_bfloat16EviPT2_PT3_,"axG",@progbits,_ZL30rocblas_reduction_kernel_part2ILi1024ELi4E25rocblas_finalize_identityf16rocblas_bfloat16EviPT2_PT3_,comdat
.Lfunc_end198:
	.size	_ZL30rocblas_reduction_kernel_part2ILi1024ELi4E25rocblas_finalize_identityf16rocblas_bfloat16EviPT2_PT3_, .Lfunc_end198-_ZL30rocblas_reduction_kernel_part2ILi1024ELi4E25rocblas_finalize_identityf16rocblas_bfloat16EviPT2_PT3_
                                        ; -- End function
	.set _ZL30rocblas_reduction_kernel_part2ILi1024ELi4E25rocblas_finalize_identityf16rocblas_bfloat16EviPT2_PT3_.num_vgpr, 10
	.set _ZL30rocblas_reduction_kernel_part2ILi1024ELi4E25rocblas_finalize_identityf16rocblas_bfloat16EviPT2_PT3_.num_agpr, 0
	.set _ZL30rocblas_reduction_kernel_part2ILi1024ELi4E25rocblas_finalize_identityf16rocblas_bfloat16EviPT2_PT3_.numbered_sgpr, 14
	.set _ZL30rocblas_reduction_kernel_part2ILi1024ELi4E25rocblas_finalize_identityf16rocblas_bfloat16EviPT2_PT3_.num_named_barrier, 0
	.set _ZL30rocblas_reduction_kernel_part2ILi1024ELi4E25rocblas_finalize_identityf16rocblas_bfloat16EviPT2_PT3_.private_seg_size, 0
	.set _ZL30rocblas_reduction_kernel_part2ILi1024ELi4E25rocblas_finalize_identityf16rocblas_bfloat16EviPT2_PT3_.uses_vcc, 1
	.set _ZL30rocblas_reduction_kernel_part2ILi1024ELi4E25rocblas_finalize_identityf16rocblas_bfloat16EviPT2_PT3_.uses_flat_scratch, 0
	.set _ZL30rocblas_reduction_kernel_part2ILi1024ELi4E25rocblas_finalize_identityf16rocblas_bfloat16EviPT2_PT3_.has_dyn_sized_stack, 0
	.set _ZL30rocblas_reduction_kernel_part2ILi1024ELi4E25rocblas_finalize_identityf16rocblas_bfloat16EviPT2_PT3_.has_recursion, 0
	.set _ZL30rocblas_reduction_kernel_part2ILi1024ELi4E25rocblas_finalize_identityf16rocblas_bfloat16EviPT2_PT3_.has_indirect_call, 0
	.section	.AMDGPU.csdata,"",@progbits
; Kernel info:
; codeLenInByte = 868
; TotalNumSgprs: 18
; NumVgprs: 10
; ScratchSize: 0
; MemoryBound: 0
; FloatMode: 240
; IeeeMode: 1
; LDSByteSize: 256 bytes/workgroup (compile time only)
; SGPRBlocks: 2
; VGPRBlocks: 2
; NumSGPRsForWavesPerEU: 18
; NumVGPRsForWavesPerEU: 10
; Occupancy: 10
; WaveLimiterHint : 0
; COMPUTE_PGM_RSRC2:SCRATCH_EN: 0
; COMPUTE_PGM_RSRC2:USER_SGPR: 6
; COMPUTE_PGM_RSRC2:TRAP_HANDLER: 0
; COMPUTE_PGM_RSRC2:TGID_X_EN: 1
; COMPUTE_PGM_RSRC2:TGID_Y_EN: 0
; COMPUTE_PGM_RSRC2:TGID_Z_EN: 0
; COMPUTE_PGM_RSRC2:TIDIG_COMP_CNT: 0
	.section	.text._ZL23rocblas_dot_kernel_inc1ILb0ELi512ELi8ELb1E16rocblas_bfloat16PKS0_fEviT4_llS3_lliPT5_PT3_,"axG",@progbits,_ZL23rocblas_dot_kernel_inc1ILb0ELi512ELi8ELb1E16rocblas_bfloat16PKS0_fEviT4_llS3_lliPT5_PT3_,comdat
	.globl	_ZL23rocblas_dot_kernel_inc1ILb0ELi512ELi8ELb1E16rocblas_bfloat16PKS0_fEviT4_llS3_lliPT5_PT3_ ; -- Begin function _ZL23rocblas_dot_kernel_inc1ILb0ELi512ELi8ELb1E16rocblas_bfloat16PKS0_fEviT4_llS3_lliPT5_PT3_
	.p2align	8
	.type	_ZL23rocblas_dot_kernel_inc1ILb0ELi512ELi8ELb1E16rocblas_bfloat16PKS0_fEviT4_llS3_lliPT5_PT3_,@function
_ZL23rocblas_dot_kernel_inc1ILb0ELi512ELi8ELb1E16rocblas_bfloat16PKS0_fEviT4_llS3_lliPT5_PT3_: ; @_ZL23rocblas_dot_kernel_inc1ILb0ELi512ELi8ELb1E16rocblas_bfloat16PKS0_fEviT4_llS3_lliPT5_PT3_
; %bb.0:
	s_mov_b32 s2, s7
	s_load_dword s18, s[4:5], 0x50
	s_load_dword s7, s[4:5], 0x0
	s_load_dwordx4 s[8:11], s[4:5], 0x40
	v_lshl_or_b32 v1, s6, 9, v0
	s_mov_b32 s3, 0
	v_mov_b32_e32 v3, 0
	s_waitcnt lgkmcnt(0)
	v_cmp_gt_i32_e32 vcc, s7, v1
	s_and_saveexec_b64 s[12:13], vcc
	s_cbranch_execz .LBB199_4
; %bb.1:
	s_load_dwordx4 s[20:23], s[4:5], 0x10
	s_load_dwordx2 s[0:1], s[4:5], 0x8
	s_load_dwordx2 s[14:15], s[4:5], 0x20
	s_load_dwordx4 s[24:27], s[4:5], 0x28
	v_ashrrev_i32_e32 v2, 31, v1
	s_waitcnt lgkmcnt(0)
	s_mul_i32 s4, s23, s2
	s_mul_hi_u32 s5, s22, s2
	s_add_i32 s5, s5, s4
	s_mul_i32 s4, s22, s2
	s_lshl_b64 s[4:5], s[4:5], 1
	s_add_u32 s4, s0, s4
	s_addc_u32 s5, s1, s5
	s_lshl_b64 s[0:1], s[20:21], 1
	s_add_u32 s19, s4, s0
	s_addc_u32 s21, s5, s1
	s_mul_i32 s0, s27, s2
	s_mul_hi_u32 s1, s26, s2
	s_add_i32 s1, s1, s0
	s_mul_i32 s0, s26, s2
	s_lshl_b64 s[0:1], s[0:1], 1
	s_add_u32 s4, s14, s0
	s_addc_u32 s5, s15, s1
	s_lshl_b64 s[0:1], s[24:25], 1
	s_add_u32 s20, s4, s0
	s_addc_u32 s0, s5, s1
	s_lshl_b32 s4, s18, 9
	s_ashr_i32 s5, s4, 31
	v_add_u32_e32 v4, s4, v1
	v_lshlrev_b64 v[1:2], 1, v[1:2]
	s_lshl_b64 s[14:15], s[4:5], 1
	v_mov_b32_e32 v3, 0
	s_mov_b64 s[16:17], 0
	v_mov_b32_e32 v5, s0
	v_mov_b32_e32 v6, s21
	;; [unrolled: 1-line block ×3, first 2 shown]
	s_mov_b32 s5, s3
.LBB199_2:                              ; =>This Inner Loop Header: Depth=1
	v_add_co_u32_e32 v8, vcc, s20, v1
	v_addc_co_u32_e32 v9, vcc, v5, v2, vcc
	v_add_co_u32_e32 v10, vcc, s19, v1
	v_addc_co_u32_e32 v11, vcc, v6, v2, vcc
	global_load_ushort v12, v[10:11], off
	global_load_ushort v13, v[8:9], off
	s_add_i32 s15, s5, 1
	v_add_co_u32_e64 v1, s[0:1], s14, v1
	v_addc_co_u32_e64 v2, s[0:1], v2, v7, s[0:1]
	s_cmp_gt_u32 s5, 6
	v_cmp_le_i32_e32 vcc, s7, v4
	s_cselect_b64 s[0:1], -1, 0
	s_or_b64 s[0:1], s[0:1], vcc
	s_and_b64 s[0:1], exec, s[0:1]
	v_add_u32_e32 v4, s4, v4
	s_mov_b32 s5, s15
	s_or_b64 s[16:17], s[0:1], s[16:17]
	s_waitcnt vmcnt(1)
	v_lshlrev_b32_e32 v8, 16, v12
	s_waitcnt vmcnt(0)
	v_lshlrev_b32_e32 v9, 16, v13
	v_fmac_f32_e32 v3, v9, v8
	s_andn2_b64 exec, exec, s[16:17]
	s_cbranch_execnz .LBB199_2
; %bb.3:
	s_or_b64 exec, exec, s[16:17]
.LBB199_4:
	s_or_b64 exec, exec, s[12:13]
	v_and_b32_e32 v1, 63, v0
	v_cmp_gt_u32_e32 vcc, 64, v0
	v_lshlrev_b32_e32 v2, 2, v1
	s_and_saveexec_b64 s[0:1], vcc
; %bb.5:
	v_mov_b32_e32 v4, 0
	ds_write_b32 v2, v4
; %bb.6:
	s_or_b64 exec, exec, s[0:1]
	v_mbcnt_lo_u32_b32 v4, -1, 0
	v_mbcnt_hi_u32_b32 v5, -1, v4
	v_mov_b32_e32 v4, 0x80
	v_lshl_or_b32 v4, v5, 2, v4
	ds_bpermute_b32 v4, v4, v3
	v_and_b32_e32 v6, 63, v5
	v_cmp_gt_u32_e64 s[0:1], 48, v6
	v_cndmask_b32_e64 v7, 0, 16, s[0:1]
	v_cmp_gt_u32_e64 s[0:1], 56, v6
	s_waitcnt lgkmcnt(0)
	v_add_f32_e32 v3, v3, v4
	v_add_lshl_u32 v4, v7, v5, 2
	ds_bpermute_b32 v4, v4, v3
	v_cndmask_b32_e64 v7, 0, 8, s[0:1]
	v_add_lshl_u32 v7, v7, v5, 2
	v_cmp_gt_u32_e64 s[0:1], 60, v6
	s_waitcnt lgkmcnt(0)
	v_add_f32_e32 v4, v3, v4
	ds_bpermute_b32 v7, v7, v4
	v_cndmask_b32_e64 v3, 0, 4, s[0:1]
	v_add_lshl_u32 v3, v3, v5, 2
	v_cmp_gt_u32_e64 s[0:1], 62, v6
	s_waitcnt lgkmcnt(0)
	s_barrier
	v_add_f32_e32 v7, v4, v7
	ds_bpermute_b32 v8, v3, v7
	v_cndmask_b32_e64 v4, 0, 2, s[0:1]
	v_add_lshl_u32 v4, v4, v5, 2
	v_cmp_ne_u32_e64 s[0:1], 63, v6
	v_addc_co_u32_e64 v5, s[0:1], 0, v5, s[0:1]
	s_waitcnt lgkmcnt(0)
	v_add_f32_e32 v7, v7, v8
	ds_bpermute_b32 v8, v4, v7
	v_lshlrev_b32_e32 v5, 2, v5
	v_cmp_eq_u32_e64 s[0:1], 0, v1
	s_waitcnt lgkmcnt(0)
	v_add_f32_e32 v6, v7, v8
	ds_bpermute_b32 v7, v5, v6
	s_and_saveexec_b64 s[4:5], s[0:1]
	s_cbranch_execz .LBB199_8
; %bb.7:
	s_waitcnt lgkmcnt(0)
	v_add_f32_e32 v1, v6, v7
	v_lshrrev_b32_e32 v6, 4, v0
	v_and_b32_e32 v6, 28, v6
	ds_write_b32 v6, v1
.LBB199_8:
	s_or_b64 exec, exec, s[4:5]
	v_cmp_gt_u32_e64 s[0:1], 8, v0
	v_mov_b32_e32 v1, 0
	s_waitcnt lgkmcnt(0)
	s_barrier
	s_and_saveexec_b64 s[4:5], s[0:1]
	s_cbranch_execnz .LBB199_12
; %bb.9:
	s_or_b64 exec, exec, s[4:5]
	s_and_saveexec_b64 s[0:1], vcc
	s_cbranch_execnz .LBB199_13
.LBB199_10:
	s_or_b64 exec, exec, s[0:1]
	v_cmp_eq_u32_e32 vcc, 0, v0
	s_and_saveexec_b64 s[0:1], vcc
	s_cbranch_execnz .LBB199_14
.LBB199_11:
	s_endpgm
.LBB199_12:
	ds_read_b32 v1, v2
	s_or_b64 exec, exec, s[4:5]
	s_and_saveexec_b64 s[0:1], vcc
	s_cbranch_execz .LBB199_10
.LBB199_13:
	s_waitcnt lgkmcnt(0)
	ds_bpermute_b32 v2, v3, v1
	s_waitcnt lgkmcnt(0)
	v_add_f32_e32 v1, v1, v2
	ds_bpermute_b32 v2, v4, v1
	s_waitcnt lgkmcnt(0)
	v_add_f32_e32 v1, v1, v2
	;; [unrolled: 3-line block ×3, first 2 shown]
	s_or_b64 exec, exec, s[0:1]
	v_cmp_eq_u32_e32 vcc, 0, v0
	s_and_saveexec_b64 s[0:1], vcc
	s_cbranch_execz .LBB199_11
.LBB199_14:
	s_cmp_lg_u32 s18, 1
	s_mov_b64 s[0:1], -1
	s_cbranch_scc0 .LBB199_16
; %bb.15:
	s_mul_hi_u32 s1, s18, s2
	s_mul_i32 s0, s18, s2
	s_lshl_b64 s[0:1], s[0:1], 2
	s_mov_b32 s7, 0
	s_add_u32 s4, s8, s0
	s_addc_u32 s5, s9, s1
	s_lshl_b64 s[0:1], s[6:7], 2
	s_add_u32 s0, s4, s0
	s_addc_u32 s1, s5, s1
	v_mov_b32_e32 v0, 0
	s_waitcnt lgkmcnt(0)
	global_store_dword v0, v1, s[0:1]
	s_mov_b64 s[0:1], 0
.LBB199_16:
	s_andn2_b64 vcc, exec, s[0:1]
	s_cbranch_vccnz .LBB199_11
; %bb.17:
	s_mov_b32 s0, 0x7f800000
	s_waitcnt lgkmcnt(0)
	v_and_b32_e32 v0, 0x7f800000, v1
	v_cmp_ne_u32_e32 vcc, s0, v0
                                        ; implicit-def: $vgpr0
	s_and_saveexec_b64 s[0:1], vcc
	s_xor_b64 s[0:1], exec, s[0:1]
; %bb.18:
	v_bfe_u32 v0, v1, 16, 1
	s_movk_i32 s4, 0x7fff
	v_add3_u32 v0, v1, v0, s4
                                        ; implicit-def: $vgpr1
; %bb.19:
	s_andn2_saveexec_b64 s[0:1], s[0:1]
; %bb.20:
	v_mov_b32_e32 v0, 0
	v_or_b32_e32 v2, 0x10000, v1
	v_cmp_eq_u32_sdwa vcc, v1, v0 src0_sel:WORD_0 src1_sel:DWORD
	v_cndmask_b32_e32 v0, v2, v1, vcc
; %bb.21:
	s_or_b64 exec, exec, s[0:1]
	s_lshl_b64 s[0:1], s[2:3], 1
	s_add_u32 s0, s10, s0
	s_addc_u32 s1, s11, s1
	v_mov_b32_e32 v1, 0
	global_store_short_d16_hi v1, v0, s[0:1]
	s_endpgm
	.section	.rodata,"a",@progbits
	.p2align	6, 0x0
	.amdhsa_kernel _ZL23rocblas_dot_kernel_inc1ILb0ELi512ELi8ELb1E16rocblas_bfloat16PKS0_fEviT4_llS3_lliPT5_PT3_
		.amdhsa_group_segment_fixed_size 256
		.amdhsa_private_segment_fixed_size 0
		.amdhsa_kernarg_size 336
		.amdhsa_user_sgpr_count 6
		.amdhsa_user_sgpr_private_segment_buffer 1
		.amdhsa_user_sgpr_dispatch_ptr 0
		.amdhsa_user_sgpr_queue_ptr 0
		.amdhsa_user_sgpr_kernarg_segment_ptr 1
		.amdhsa_user_sgpr_dispatch_id 0
		.amdhsa_user_sgpr_flat_scratch_init 0
		.amdhsa_user_sgpr_private_segment_size 0
		.amdhsa_uses_dynamic_stack 0
		.amdhsa_system_sgpr_private_segment_wavefront_offset 0
		.amdhsa_system_sgpr_workgroup_id_x 1
		.amdhsa_system_sgpr_workgroup_id_y 0
		.amdhsa_system_sgpr_workgroup_id_z 1
		.amdhsa_system_sgpr_workgroup_info 0
		.amdhsa_system_vgpr_workitem_id 0
		.amdhsa_next_free_vgpr 14
		.amdhsa_next_free_sgpr 28
		.amdhsa_reserve_vcc 1
		.amdhsa_reserve_flat_scratch 0
		.amdhsa_float_round_mode_32 0
		.amdhsa_float_round_mode_16_64 0
		.amdhsa_float_denorm_mode_32 3
		.amdhsa_float_denorm_mode_16_64 3
		.amdhsa_dx10_clamp 1
		.amdhsa_ieee_mode 1
		.amdhsa_fp16_overflow 0
		.amdhsa_exception_fp_ieee_invalid_op 0
		.amdhsa_exception_fp_denorm_src 0
		.amdhsa_exception_fp_ieee_div_zero 0
		.amdhsa_exception_fp_ieee_overflow 0
		.amdhsa_exception_fp_ieee_underflow 0
		.amdhsa_exception_fp_ieee_inexact 0
		.amdhsa_exception_int_div_zero 0
	.end_amdhsa_kernel
	.section	.text._ZL23rocblas_dot_kernel_inc1ILb0ELi512ELi8ELb1E16rocblas_bfloat16PKS0_fEviT4_llS3_lliPT5_PT3_,"axG",@progbits,_ZL23rocblas_dot_kernel_inc1ILb0ELi512ELi8ELb1E16rocblas_bfloat16PKS0_fEviT4_llS3_lliPT5_PT3_,comdat
.Lfunc_end199:
	.size	_ZL23rocblas_dot_kernel_inc1ILb0ELi512ELi8ELb1E16rocblas_bfloat16PKS0_fEviT4_llS3_lliPT5_PT3_, .Lfunc_end199-_ZL23rocblas_dot_kernel_inc1ILb0ELi512ELi8ELb1E16rocblas_bfloat16PKS0_fEviT4_llS3_lliPT5_PT3_
                                        ; -- End function
	.set _ZL23rocblas_dot_kernel_inc1ILb0ELi512ELi8ELb1E16rocblas_bfloat16PKS0_fEviT4_llS3_lliPT5_PT3_.num_vgpr, 14
	.set _ZL23rocblas_dot_kernel_inc1ILb0ELi512ELi8ELb1E16rocblas_bfloat16PKS0_fEviT4_llS3_lliPT5_PT3_.num_agpr, 0
	.set _ZL23rocblas_dot_kernel_inc1ILb0ELi512ELi8ELb1E16rocblas_bfloat16PKS0_fEviT4_llS3_lliPT5_PT3_.numbered_sgpr, 28
	.set _ZL23rocblas_dot_kernel_inc1ILb0ELi512ELi8ELb1E16rocblas_bfloat16PKS0_fEviT4_llS3_lliPT5_PT3_.num_named_barrier, 0
	.set _ZL23rocblas_dot_kernel_inc1ILb0ELi512ELi8ELb1E16rocblas_bfloat16PKS0_fEviT4_llS3_lliPT5_PT3_.private_seg_size, 0
	.set _ZL23rocblas_dot_kernel_inc1ILb0ELi512ELi8ELb1E16rocblas_bfloat16PKS0_fEviT4_llS3_lliPT5_PT3_.uses_vcc, 1
	.set _ZL23rocblas_dot_kernel_inc1ILb0ELi512ELi8ELb1E16rocblas_bfloat16PKS0_fEviT4_llS3_lliPT5_PT3_.uses_flat_scratch, 0
	.set _ZL23rocblas_dot_kernel_inc1ILb0ELi512ELi8ELb1E16rocblas_bfloat16PKS0_fEviT4_llS3_lliPT5_PT3_.has_dyn_sized_stack, 0
	.set _ZL23rocblas_dot_kernel_inc1ILb0ELi512ELi8ELb1E16rocblas_bfloat16PKS0_fEviT4_llS3_lliPT5_PT3_.has_recursion, 0
	.set _ZL23rocblas_dot_kernel_inc1ILb0ELi512ELi8ELb1E16rocblas_bfloat16PKS0_fEviT4_llS3_lliPT5_PT3_.has_indirect_call, 0
	.section	.AMDGPU.csdata,"",@progbits
; Kernel info:
; codeLenInByte = 1004
; TotalNumSgprs: 32
; NumVgprs: 14
; ScratchSize: 0
; MemoryBound: 0
; FloatMode: 240
; IeeeMode: 1
; LDSByteSize: 256 bytes/workgroup (compile time only)
; SGPRBlocks: 3
; VGPRBlocks: 3
; NumSGPRsForWavesPerEU: 32
; NumVGPRsForWavesPerEU: 14
; Occupancy: 10
; WaveLimiterHint : 0
; COMPUTE_PGM_RSRC2:SCRATCH_EN: 0
; COMPUTE_PGM_RSRC2:USER_SGPR: 6
; COMPUTE_PGM_RSRC2:TRAP_HANDLER: 0
; COMPUTE_PGM_RSRC2:TGID_X_EN: 1
; COMPUTE_PGM_RSRC2:TGID_Y_EN: 0
; COMPUTE_PGM_RSRC2:TGID_Z_EN: 1
; COMPUTE_PGM_RSRC2:TIDIG_COMP_CNT: 0
	.section	.text._ZL18rocblas_dot_kernelIiLb0ELi512ELi8ELb1E16rocblas_bfloat16PKS0_fEviT5_lT_lS3_lS4_liPT6_PT4_,"axG",@progbits,_ZL18rocblas_dot_kernelIiLb0ELi512ELi8ELb1E16rocblas_bfloat16PKS0_fEviT5_lT_lS3_lS4_liPT6_PT4_,comdat
	.globl	_ZL18rocblas_dot_kernelIiLb0ELi512ELi8ELb1E16rocblas_bfloat16PKS0_fEviT5_lT_lS3_lS4_liPT6_PT4_ ; -- Begin function _ZL18rocblas_dot_kernelIiLb0ELi512ELi8ELb1E16rocblas_bfloat16PKS0_fEviT5_lT_lS3_lS4_liPT6_PT4_
	.p2align	8
	.type	_ZL18rocblas_dot_kernelIiLb0ELi512ELi8ELb1E16rocblas_bfloat16PKS0_fEviT5_lT_lS3_lS4_liPT6_PT4_,@function
_ZL18rocblas_dot_kernelIiLb0ELi512ELi8ELb1E16rocblas_bfloat16PKS0_fEviT5_lT_lS3_lS4_liPT6_PT4_: ; @_ZL18rocblas_dot_kernelIiLb0ELi512ELi8ELb1E16rocblas_bfloat16PKS0_fEviT5_lT_lS3_lS4_liPT6_PT4_
; %bb.0:
	s_mov_b32 s12, s7
	s_load_dword s18, s[4:5], 0x60
	s_load_dword s7, s[4:5], 0x0
	s_load_dwordx4 s[8:11], s[4:5], 0x50
	v_lshl_or_b32 v3, s6, 9, v0
	s_mov_b32 s13, 0
	v_mov_b32_e32 v6, 0
	s_waitcnt lgkmcnt(0)
	v_cmp_gt_i32_e32 vcc, s7, v3
	s_and_saveexec_b64 s[14:15], vcc
	s_cbranch_execz .LBB200_4
; %bb.1:
	s_load_dword s26, s[4:5], 0x18
	s_load_dwordx4 s[20:23], s[4:5], 0x8
	s_load_dwordx4 s[0:3], s[4:5], 0x20
	s_load_dwordx2 s[16:17], s[4:5], 0x30
	s_lshl_b32 s19, s18, 9
	s_waitcnt lgkmcnt(0)
	v_mad_i64_i32 v[1:2], s[24:25], s26, v3, 0
	s_load_dword s27, s[4:5], 0x38
	s_load_dwordx2 s[24:25], s[4:5], 0x40
	s_mul_i32 s1, s1, s12
	s_mul_hi_u32 s4, s0, s12
	s_add_i32 s1, s4, s1
	s_mul_i32 s0, s0, s12
	s_lshl_b64 s[0:1], s[0:1], 1
	s_lshl_b64 s[4:5], s[22:23], 1
	s_add_u32 s4, s20, s4
	s_addc_u32 s5, s21, s5
	v_lshlrev_b64 v[1:2], 1, v[1:2]
	s_add_u32 s0, s4, s0
	s_addc_u32 s1, s5, s1
	v_mov_b32_e32 v4, s1
	v_add_co_u32_e32 v1, vcc, s0, v1
	v_add_u32_e32 v5, s19, v3
	v_addc_co_u32_e32 v2, vcc, v4, v2, vcc
	s_waitcnt lgkmcnt(0)
	v_mad_i64_i32 v[3:4], s[0:1], s27, v3, 0
	s_mul_hi_i32 s1, s26, s19
	s_mul_i32 s0, s26, s19
	s_lshl_b64 s[4:5], s[0:1], 1
	s_mul_i32 s0, s25, s12
	s_mul_hi_u32 s1, s24, s12
	s_add_i32 s1, s1, s0
	s_mul_i32 s0, s24, s12
	s_lshl_b64 s[0:1], s[0:1], 1
	s_lshl_b64 s[16:17], s[16:17], 1
	s_add_u32 s2, s2, s16
	s_addc_u32 s3, s3, s17
	v_lshlrev_b64 v[3:4], 1, v[3:4]
	s_add_u32 s0, s2, s0
	s_addc_u32 s1, s3, s1
	v_mov_b32_e32 v6, s1
	v_add_co_u32_e32 v3, vcc, s0, v3
	s_mul_hi_i32 s1, s27, s19
	s_mul_i32 s0, s27, s19
	s_lshl_b64 s[2:3], s[0:1], 1
	v_addc_co_u32_e32 v4, vcc, v6, v4, vcc
	v_mov_b32_e32 v6, 0
	s_mov_b64 s[16:17], 0
	v_mov_b32_e32 v7, s5
	v_mov_b32_e32 v8, s3
	s_mov_b32 s3, s13
.LBB200_2:                              ; =>This Inner Loop Header: Depth=1
	global_load_ushort v9, v[1:2], off
	global_load_ushort v10, v[3:4], off
	v_add_co_u32_e64 v1, s[0:1], s4, v1
	v_addc_co_u32_e64 v2, s[0:1], v2, v7, s[0:1]
	s_add_i32 s5, s3, 1
	v_add_co_u32_e64 v3, s[0:1], s2, v3
	v_addc_co_u32_e64 v4, s[0:1], v4, v8, s[0:1]
	s_cmp_gt_u32 s3, 6
	v_cmp_le_i32_e32 vcc, s7, v5
	s_cselect_b64 s[0:1], -1, 0
	s_or_b64 s[0:1], s[0:1], vcc
	s_and_b64 s[0:1], exec, s[0:1]
	v_add_u32_e32 v5, s19, v5
	s_mov_b32 s3, s5
	s_or_b64 s[16:17], s[0:1], s[16:17]
	s_waitcnt vmcnt(1)
	v_lshlrev_b32_e32 v9, 16, v9
	s_waitcnt vmcnt(0)
	v_lshlrev_b32_e32 v10, 16, v10
	v_fmac_f32_e32 v6, v10, v9
	s_andn2_b64 exec, exec, s[16:17]
	s_cbranch_execnz .LBB200_2
; %bb.3:
	s_or_b64 exec, exec, s[16:17]
.LBB200_4:
	s_or_b64 exec, exec, s[14:15]
	v_and_b32_e32 v1, 63, v0
	v_cmp_gt_u32_e32 vcc, 64, v0
	v_lshlrev_b32_e32 v2, 2, v1
	s_and_saveexec_b64 s[0:1], vcc
; %bb.5:
	v_mov_b32_e32 v3, 0
	ds_write_b32 v2, v3
; %bb.6:
	s_or_b64 exec, exec, s[0:1]
	v_mbcnt_lo_u32_b32 v3, -1, 0
	v_mbcnt_hi_u32_b32 v5, -1, v3
	v_mov_b32_e32 v3, 0x80
	v_lshl_or_b32 v3, v5, 2, v3
	ds_bpermute_b32 v3, v3, v6
	v_and_b32_e32 v7, 63, v5
	v_cmp_gt_u32_e64 s[0:1], 48, v7
	v_cndmask_b32_e64 v4, 0, 16, s[0:1]
	v_add_lshl_u32 v4, v4, v5, 2
	s_waitcnt lgkmcnt(0)
	v_add_f32_e32 v3, v6, v3
	ds_bpermute_b32 v4, v4, v3
	v_cmp_gt_u32_e64 s[0:1], 56, v7
	v_cndmask_b32_e64 v6, 0, 8, s[0:1]
	v_add_lshl_u32 v6, v6, v5, 2
	v_cmp_gt_u32_e64 s[0:1], 60, v7
	s_waitcnt lgkmcnt(0)
	v_add_f32_e32 v4, v3, v4
	ds_bpermute_b32 v6, v6, v4
	v_cndmask_b32_e64 v3, 0, 4, s[0:1]
	v_add_lshl_u32 v3, v3, v5, 2
	v_cmp_gt_u32_e64 s[0:1], 62, v7
	s_waitcnt lgkmcnt(0)
	v_add_f32_e32 v6, v4, v6
	ds_bpermute_b32 v8, v3, v6
	v_cndmask_b32_e64 v4, 0, 2, s[0:1]
	v_add_lshl_u32 v4, v4, v5, 2
	v_cmp_ne_u32_e64 s[0:1], 63, v7
	v_addc_co_u32_e64 v5, s[0:1], 0, v5, s[0:1]
	s_waitcnt lgkmcnt(0)
	v_add_f32_e32 v6, v6, v8
	ds_bpermute_b32 v8, v4, v6
	v_lshlrev_b32_e32 v5, 2, v5
	v_cmp_eq_u32_e64 s[0:1], 0, v1
	s_waitcnt lgkmcnt(0)
	s_barrier
	v_add_f32_e32 v6, v6, v8
	ds_bpermute_b32 v7, v5, v6
	s_and_saveexec_b64 s[2:3], s[0:1]
	s_cbranch_execz .LBB200_8
; %bb.7:
	s_waitcnt lgkmcnt(0)
	v_add_f32_e32 v1, v6, v7
	v_lshrrev_b32_e32 v6, 4, v0
	v_and_b32_e32 v6, 28, v6
	ds_write_b32 v6, v1
.LBB200_8:
	s_or_b64 exec, exec, s[2:3]
	v_cmp_gt_u32_e64 s[0:1], 8, v0
	v_mov_b32_e32 v1, 0
	s_waitcnt lgkmcnt(0)
	s_barrier
	s_and_saveexec_b64 s[2:3], s[0:1]
	s_cbranch_execnz .LBB200_12
; %bb.9:
	s_or_b64 exec, exec, s[2:3]
	s_and_saveexec_b64 s[0:1], vcc
	s_cbranch_execnz .LBB200_13
.LBB200_10:
	s_or_b64 exec, exec, s[0:1]
	v_cmp_eq_u32_e32 vcc, 0, v0
	s_and_saveexec_b64 s[0:1], vcc
	s_cbranch_execnz .LBB200_14
.LBB200_11:
	s_endpgm
.LBB200_12:
	ds_read_b32 v1, v2
	s_or_b64 exec, exec, s[2:3]
	s_and_saveexec_b64 s[0:1], vcc
	s_cbranch_execz .LBB200_10
.LBB200_13:
	s_waitcnt lgkmcnt(0)
	ds_bpermute_b32 v2, v3, v1
	s_waitcnt lgkmcnt(0)
	v_add_f32_e32 v1, v1, v2
	ds_bpermute_b32 v2, v4, v1
	s_waitcnt lgkmcnt(0)
	v_add_f32_e32 v1, v1, v2
	;; [unrolled: 3-line block ×3, first 2 shown]
	s_or_b64 exec, exec, s[0:1]
	v_cmp_eq_u32_e32 vcc, 0, v0
	s_and_saveexec_b64 s[0:1], vcc
	s_cbranch_execz .LBB200_11
.LBB200_14:
	s_cmp_lg_u32 s18, 1
	s_mov_b64 s[0:1], -1
	s_cbranch_scc0 .LBB200_16
; %bb.15:
	s_mul_hi_u32 s1, s18, s12
	s_mul_i32 s0, s18, s12
	s_lshl_b64 s[0:1], s[0:1], 2
	s_mov_b32 s7, 0
	s_add_u32 s2, s8, s0
	s_addc_u32 s3, s9, s1
	s_lshl_b64 s[0:1], s[6:7], 2
	s_add_u32 s0, s2, s0
	s_addc_u32 s1, s3, s1
	v_mov_b32_e32 v0, 0
	s_waitcnt lgkmcnt(0)
	global_store_dword v0, v1, s[0:1]
	s_mov_b64 s[0:1], 0
.LBB200_16:
	s_andn2_b64 vcc, exec, s[0:1]
	s_cbranch_vccnz .LBB200_11
; %bb.17:
	s_mov_b32 s0, 0x7f800000
	s_waitcnt lgkmcnt(0)
	v_and_b32_e32 v0, 0x7f800000, v1
	v_cmp_ne_u32_e32 vcc, s0, v0
                                        ; implicit-def: $vgpr0
	s_and_saveexec_b64 s[0:1], vcc
	s_xor_b64 s[0:1], exec, s[0:1]
; %bb.18:
	v_bfe_u32 v0, v1, 16, 1
	s_movk_i32 s2, 0x7fff
	v_add3_u32 v0, v1, v0, s2
                                        ; implicit-def: $vgpr1
; %bb.19:
	s_andn2_saveexec_b64 s[0:1], s[0:1]
; %bb.20:
	v_mov_b32_e32 v0, 0
	v_or_b32_e32 v2, 0x10000, v1
	v_cmp_eq_u32_sdwa vcc, v1, v0 src0_sel:WORD_0 src1_sel:DWORD
	v_cndmask_b32_e32 v0, v2, v1, vcc
; %bb.21:
	s_or_b64 exec, exec, s[0:1]
	s_lshl_b64 s[0:1], s[12:13], 1
	s_add_u32 s0, s10, s0
	s_addc_u32 s1, s11, s1
	v_mov_b32_e32 v1, 0
	global_store_short_d16_hi v1, v0, s[0:1]
	s_endpgm
	.section	.rodata,"a",@progbits
	.p2align	6, 0x0
	.amdhsa_kernel _ZL18rocblas_dot_kernelIiLb0ELi512ELi8ELb1E16rocblas_bfloat16PKS0_fEviT5_lT_lS3_lS4_liPT6_PT4_
		.amdhsa_group_segment_fixed_size 256
		.amdhsa_private_segment_fixed_size 0
		.amdhsa_kernarg_size 352
		.amdhsa_user_sgpr_count 6
		.amdhsa_user_sgpr_private_segment_buffer 1
		.amdhsa_user_sgpr_dispatch_ptr 0
		.amdhsa_user_sgpr_queue_ptr 0
		.amdhsa_user_sgpr_kernarg_segment_ptr 1
		.amdhsa_user_sgpr_dispatch_id 0
		.amdhsa_user_sgpr_flat_scratch_init 0
		.amdhsa_user_sgpr_private_segment_size 0
		.amdhsa_uses_dynamic_stack 0
		.amdhsa_system_sgpr_private_segment_wavefront_offset 0
		.amdhsa_system_sgpr_workgroup_id_x 1
		.amdhsa_system_sgpr_workgroup_id_y 0
		.amdhsa_system_sgpr_workgroup_id_z 1
		.amdhsa_system_sgpr_workgroup_info 0
		.amdhsa_system_vgpr_workitem_id 0
		.amdhsa_next_free_vgpr 11
		.amdhsa_next_free_sgpr 28
		.amdhsa_reserve_vcc 1
		.amdhsa_reserve_flat_scratch 0
		.amdhsa_float_round_mode_32 0
		.amdhsa_float_round_mode_16_64 0
		.amdhsa_float_denorm_mode_32 3
		.amdhsa_float_denorm_mode_16_64 3
		.amdhsa_dx10_clamp 1
		.amdhsa_ieee_mode 1
		.amdhsa_fp16_overflow 0
		.amdhsa_exception_fp_ieee_invalid_op 0
		.amdhsa_exception_fp_denorm_src 0
		.amdhsa_exception_fp_ieee_div_zero 0
		.amdhsa_exception_fp_ieee_overflow 0
		.amdhsa_exception_fp_ieee_underflow 0
		.amdhsa_exception_fp_ieee_inexact 0
		.amdhsa_exception_int_div_zero 0
	.end_amdhsa_kernel
	.section	.text._ZL18rocblas_dot_kernelIiLb0ELi512ELi8ELb1E16rocblas_bfloat16PKS0_fEviT5_lT_lS3_lS4_liPT6_PT4_,"axG",@progbits,_ZL18rocblas_dot_kernelIiLb0ELi512ELi8ELb1E16rocblas_bfloat16PKS0_fEviT5_lT_lS3_lS4_liPT6_PT4_,comdat
.Lfunc_end200:
	.size	_ZL18rocblas_dot_kernelIiLb0ELi512ELi8ELb1E16rocblas_bfloat16PKS0_fEviT5_lT_lS3_lS4_liPT6_PT4_, .Lfunc_end200-_ZL18rocblas_dot_kernelIiLb0ELi512ELi8ELb1E16rocblas_bfloat16PKS0_fEviT5_lT_lS3_lS4_liPT6_PT4_
                                        ; -- End function
	.set _ZL18rocblas_dot_kernelIiLb0ELi512ELi8ELb1E16rocblas_bfloat16PKS0_fEviT5_lT_lS3_lS4_liPT6_PT4_.num_vgpr, 11
	.set _ZL18rocblas_dot_kernelIiLb0ELi512ELi8ELb1E16rocblas_bfloat16PKS0_fEviT5_lT_lS3_lS4_liPT6_PT4_.num_agpr, 0
	.set _ZL18rocblas_dot_kernelIiLb0ELi512ELi8ELb1E16rocblas_bfloat16PKS0_fEviT5_lT_lS3_lS4_liPT6_PT4_.numbered_sgpr, 28
	.set _ZL18rocblas_dot_kernelIiLb0ELi512ELi8ELb1E16rocblas_bfloat16PKS0_fEviT5_lT_lS3_lS4_liPT6_PT4_.num_named_barrier, 0
	.set _ZL18rocblas_dot_kernelIiLb0ELi512ELi8ELb1E16rocblas_bfloat16PKS0_fEviT5_lT_lS3_lS4_liPT6_PT4_.private_seg_size, 0
	.set _ZL18rocblas_dot_kernelIiLb0ELi512ELi8ELb1E16rocblas_bfloat16PKS0_fEviT5_lT_lS3_lS4_liPT6_PT4_.uses_vcc, 1
	.set _ZL18rocblas_dot_kernelIiLb0ELi512ELi8ELb1E16rocblas_bfloat16PKS0_fEviT5_lT_lS3_lS4_liPT6_PT4_.uses_flat_scratch, 0
	.set _ZL18rocblas_dot_kernelIiLb0ELi512ELi8ELb1E16rocblas_bfloat16PKS0_fEviT5_lT_lS3_lS4_liPT6_PT4_.has_dyn_sized_stack, 0
	.set _ZL18rocblas_dot_kernelIiLb0ELi512ELi8ELb1E16rocblas_bfloat16PKS0_fEviT5_lT_lS3_lS4_liPT6_PT4_.has_recursion, 0
	.set _ZL18rocblas_dot_kernelIiLb0ELi512ELi8ELb1E16rocblas_bfloat16PKS0_fEviT5_lT_lS3_lS4_liPT6_PT4_.has_indirect_call, 0
	.section	.AMDGPU.csdata,"",@progbits
; Kernel info:
; codeLenInByte = 1080
; TotalNumSgprs: 32
; NumVgprs: 11
; ScratchSize: 0
; MemoryBound: 0
; FloatMode: 240
; IeeeMode: 1
; LDSByteSize: 256 bytes/workgroup (compile time only)
; SGPRBlocks: 3
; VGPRBlocks: 2
; NumSGPRsForWavesPerEU: 32
; NumVGPRsForWavesPerEU: 11
; Occupancy: 10
; WaveLimiterHint : 0
; COMPUTE_PGM_RSRC2:SCRATCH_EN: 0
; COMPUTE_PGM_RSRC2:USER_SGPR: 6
; COMPUTE_PGM_RSRC2:TRAP_HANDLER: 0
; COMPUTE_PGM_RSRC2:TGID_X_EN: 1
; COMPUTE_PGM_RSRC2:TGID_Y_EN: 0
; COMPUTE_PGM_RSRC2:TGID_Z_EN: 1
; COMPUTE_PGM_RSRC2:TIDIG_COMP_CNT: 0
	.section	.text._ZL24rocblas_dot_kernel_magsqIiLb0ELi512ELi8ELb1E16rocblas_bfloat16PKS0_fEviT5_lT_liPT6_PT4_,"axG",@progbits,_ZL24rocblas_dot_kernel_magsqIiLb0ELi512ELi8ELb1E16rocblas_bfloat16PKS0_fEviT5_lT_liPT6_PT4_,comdat
	.globl	_ZL24rocblas_dot_kernel_magsqIiLb0ELi512ELi8ELb1E16rocblas_bfloat16PKS0_fEviT5_lT_liPT6_PT4_ ; -- Begin function _ZL24rocblas_dot_kernel_magsqIiLb0ELi512ELi8ELb1E16rocblas_bfloat16PKS0_fEviT5_lT_liPT6_PT4_
	.p2align	8
	.type	_ZL24rocblas_dot_kernel_magsqIiLb0ELi512ELi8ELb1E16rocblas_bfloat16PKS0_fEviT5_lT_liPT6_PT4_,@function
_ZL24rocblas_dot_kernel_magsqIiLb0ELi512ELi8ELb1E16rocblas_bfloat16PKS0_fEviT5_lT_liPT6_PT4_: ; @_ZL24rocblas_dot_kernel_magsqIiLb0ELi512ELi8ELb1E16rocblas_bfloat16PKS0_fEviT5_lT_liPT6_PT4_
; %bb.0:
	s_mov_b32 s2, s7
	s_load_dword s7, s[4:5], 0x0
	s_load_dwordx4 s[8:11], s[4:5], 0x30
	s_load_dword s16, s[4:5], 0x40
	v_lshl_or_b32 v1, s6, 9, v0
	s_mov_b32 s3, 0
	s_waitcnt lgkmcnt(0)
	v_cmp_gt_i32_e32 vcc, s7, v1
	v_mov_b32_e32 v3, 0
	s_and_saveexec_b64 s[12:13], vcc
	s_cbranch_execz .LBB201_4
; %bb.1:
	s_load_dword s14, s[4:5], 0x18
	s_load_dwordx4 s[20:23], s[4:5], 0x8
	s_load_dwordx2 s[0:1], s[4:5], 0x20
	s_lshl_b32 s17, s16, 9
	v_add_u32_e32 v4, s17, v1
	s_waitcnt lgkmcnt(0)
	v_mad_i64_i32 v[2:3], s[4:5], s14, v1, 0
	s_mul_i32 s1, s1, s2
	s_mul_hi_u32 s4, s0, s2
	s_add_i32 s1, s4, s1
	s_mul_i32 s0, s0, s2
	s_lshl_b64 s[0:1], s[0:1], 1
	s_lshl_b64 s[4:5], s[22:23], 1
	s_add_u32 s4, s20, s4
	s_addc_u32 s5, s21, s5
	v_lshlrev_b64 v[1:2], 1, v[2:3]
	s_add_u32 s0, s4, s0
	s_addc_u32 s1, s5, s1
	v_mov_b32_e32 v3, s1
	v_add_co_u32_e32 v1, vcc, s0, v1
	s_mul_hi_i32 s1, s14, s17
	s_mul_i32 s0, s14, s17
	s_lshl_b64 s[4:5], s[0:1], 1
	v_addc_co_u32_e32 v2, vcc, v3, v2, vcc
	v_mov_b32_e32 v3, 0
	s_mov_b64 s[14:15], 0
	v_mov_b32_e32 v5, s5
	s_mov_b32 s5, s3
.LBB201_2:                              ; =>This Inner Loop Header: Depth=1
	global_load_ushort v6, v[1:2], off
	s_add_i32 s18, s5, 1
	v_add_co_u32_e64 v1, s[0:1], s4, v1
	v_addc_co_u32_e64 v2, s[0:1], v2, v5, s[0:1]
	s_cmp_gt_u32 s5, 6
	v_cmp_le_i32_e32 vcc, s7, v4
	s_cselect_b64 s[0:1], -1, 0
	s_or_b64 s[0:1], s[0:1], vcc
	s_and_b64 s[0:1], exec, s[0:1]
	v_add_u32_e32 v4, s17, v4
	s_mov_b32 s5, s18
	s_or_b64 s[14:15], s[0:1], s[14:15]
	s_waitcnt vmcnt(0)
	v_lshlrev_b32_e32 v6, 16, v6
	v_fmac_f32_e32 v3, v6, v6
	s_andn2_b64 exec, exec, s[14:15]
	s_cbranch_execnz .LBB201_2
; %bb.3:
	s_or_b64 exec, exec, s[14:15]
.LBB201_4:
	s_or_b64 exec, exec, s[12:13]
	v_and_b32_e32 v1, 63, v0
	v_cmp_gt_u32_e32 vcc, 64, v0
	v_lshlrev_b32_e32 v2, 2, v1
	s_and_saveexec_b64 s[0:1], vcc
; %bb.5:
	v_mov_b32_e32 v4, 0
	ds_write_b32 v2, v4
; %bb.6:
	s_or_b64 exec, exec, s[0:1]
	v_mbcnt_lo_u32_b32 v4, -1, 0
	v_mbcnt_hi_u32_b32 v5, -1, v4
	v_mov_b32_e32 v4, 0x80
	v_lshl_or_b32 v4, v5, 2, v4
	ds_bpermute_b32 v4, v4, v3
	v_and_b32_e32 v6, 63, v5
	v_cmp_gt_u32_e64 s[0:1], 48, v6
	v_cndmask_b32_e64 v7, 0, 16, s[0:1]
	v_cmp_gt_u32_e64 s[0:1], 56, v6
	s_waitcnt lgkmcnt(0)
	v_add_f32_e32 v3, v3, v4
	v_add_lshl_u32 v4, v7, v5, 2
	ds_bpermute_b32 v4, v4, v3
	v_cndmask_b32_e64 v7, 0, 8, s[0:1]
	v_add_lshl_u32 v7, v7, v5, 2
	v_cmp_gt_u32_e64 s[0:1], 60, v6
	s_waitcnt lgkmcnt(0)
	v_add_f32_e32 v4, v3, v4
	ds_bpermute_b32 v7, v7, v4
	v_cndmask_b32_e64 v3, 0, 4, s[0:1]
	v_add_lshl_u32 v3, v3, v5, 2
	v_cmp_gt_u32_e64 s[0:1], 62, v6
	s_waitcnt lgkmcnt(0)
	s_barrier
	v_add_f32_e32 v7, v4, v7
	ds_bpermute_b32 v8, v3, v7
	v_cndmask_b32_e64 v4, 0, 2, s[0:1]
	v_add_lshl_u32 v4, v4, v5, 2
	v_cmp_ne_u32_e64 s[0:1], 63, v6
	v_addc_co_u32_e64 v5, s[0:1], 0, v5, s[0:1]
	s_waitcnt lgkmcnt(0)
	v_add_f32_e32 v7, v7, v8
	ds_bpermute_b32 v8, v4, v7
	v_lshlrev_b32_e32 v5, 2, v5
	v_cmp_eq_u32_e64 s[0:1], 0, v1
	s_waitcnt lgkmcnt(0)
	v_add_f32_e32 v6, v7, v8
	ds_bpermute_b32 v7, v5, v6
	s_and_saveexec_b64 s[4:5], s[0:1]
	s_cbranch_execz .LBB201_8
; %bb.7:
	s_waitcnt lgkmcnt(0)
	v_add_f32_e32 v1, v6, v7
	v_lshrrev_b32_e32 v6, 4, v0
	v_and_b32_e32 v6, 28, v6
	ds_write_b32 v6, v1
.LBB201_8:
	s_or_b64 exec, exec, s[4:5]
	v_cmp_gt_u32_e64 s[0:1], 8, v0
	v_mov_b32_e32 v1, 0
	s_waitcnt lgkmcnt(0)
	s_barrier
	s_and_saveexec_b64 s[4:5], s[0:1]
	s_cbranch_execnz .LBB201_12
; %bb.9:
	s_or_b64 exec, exec, s[4:5]
	s_and_saveexec_b64 s[0:1], vcc
	s_cbranch_execnz .LBB201_13
.LBB201_10:
	s_or_b64 exec, exec, s[0:1]
	v_cmp_eq_u32_e32 vcc, 0, v0
	s_and_saveexec_b64 s[0:1], vcc
	s_cbranch_execnz .LBB201_14
.LBB201_11:
	s_endpgm
.LBB201_12:
	ds_read_b32 v1, v2
	s_or_b64 exec, exec, s[4:5]
	s_and_saveexec_b64 s[0:1], vcc
	s_cbranch_execz .LBB201_10
.LBB201_13:
	s_waitcnt lgkmcnt(0)
	ds_bpermute_b32 v2, v3, v1
	s_waitcnt lgkmcnt(0)
	v_add_f32_e32 v1, v1, v2
	ds_bpermute_b32 v2, v4, v1
	s_waitcnt lgkmcnt(0)
	v_add_f32_e32 v1, v1, v2
	ds_bpermute_b32 v2, v5, v1
	s_waitcnt lgkmcnt(0)
	v_add_f32_e32 v1, v1, v2
	s_or_b64 exec, exec, s[0:1]
	v_cmp_eq_u32_e32 vcc, 0, v0
	s_and_saveexec_b64 s[0:1], vcc
	s_cbranch_execz .LBB201_11
.LBB201_14:
	s_cmp_lg_u32 s16, 1
	s_mov_b64 s[0:1], -1
	s_cbranch_scc0 .LBB201_16
; %bb.15:
	s_mul_hi_u32 s1, s16, s2
	s_mul_i32 s0, s16, s2
	s_lshl_b64 s[0:1], s[0:1], 2
	s_mov_b32 s7, 0
	s_add_u32 s4, s8, s0
	s_addc_u32 s5, s9, s1
	s_lshl_b64 s[0:1], s[6:7], 2
	s_add_u32 s0, s4, s0
	s_addc_u32 s1, s5, s1
	v_mov_b32_e32 v0, 0
	s_waitcnt lgkmcnt(0)
	global_store_dword v0, v1, s[0:1]
	s_mov_b64 s[0:1], 0
.LBB201_16:
	s_andn2_b64 vcc, exec, s[0:1]
	s_cbranch_vccnz .LBB201_11
; %bb.17:
	s_mov_b32 s0, 0x7f800000
	s_waitcnt lgkmcnt(0)
	v_and_b32_e32 v0, 0x7f800000, v1
	v_cmp_ne_u32_e32 vcc, s0, v0
                                        ; implicit-def: $vgpr0
	s_and_saveexec_b64 s[0:1], vcc
	s_xor_b64 s[0:1], exec, s[0:1]
; %bb.18:
	v_bfe_u32 v0, v1, 16, 1
	s_movk_i32 s4, 0x7fff
	v_add3_u32 v0, v1, v0, s4
                                        ; implicit-def: $vgpr1
; %bb.19:
	s_andn2_saveexec_b64 s[0:1], s[0:1]
; %bb.20:
	v_mov_b32_e32 v0, 0
	v_or_b32_e32 v2, 0x10000, v1
	v_cmp_eq_u32_sdwa vcc, v1, v0 src0_sel:WORD_0 src1_sel:DWORD
	v_cndmask_b32_e32 v0, v2, v1, vcc
; %bb.21:
	s_or_b64 exec, exec, s[0:1]
	s_lshl_b64 s[0:1], s[2:3], 1
	s_add_u32 s0, s10, s0
	s_addc_u32 s1, s11, s1
	v_mov_b32_e32 v1, 0
	global_store_short_d16_hi v1, v0, s[0:1]
	s_endpgm
	.section	.rodata,"a",@progbits
	.p2align	6, 0x0
	.amdhsa_kernel _ZL24rocblas_dot_kernel_magsqIiLb0ELi512ELi8ELb1E16rocblas_bfloat16PKS0_fEviT5_lT_liPT6_PT4_
		.amdhsa_group_segment_fixed_size 256
		.amdhsa_private_segment_fixed_size 0
		.amdhsa_kernarg_size 320
		.amdhsa_user_sgpr_count 6
		.amdhsa_user_sgpr_private_segment_buffer 1
		.amdhsa_user_sgpr_dispatch_ptr 0
		.amdhsa_user_sgpr_queue_ptr 0
		.amdhsa_user_sgpr_kernarg_segment_ptr 1
		.amdhsa_user_sgpr_dispatch_id 0
		.amdhsa_user_sgpr_flat_scratch_init 0
		.amdhsa_user_sgpr_private_segment_size 0
		.amdhsa_uses_dynamic_stack 0
		.amdhsa_system_sgpr_private_segment_wavefront_offset 0
		.amdhsa_system_sgpr_workgroup_id_x 1
		.amdhsa_system_sgpr_workgroup_id_y 0
		.amdhsa_system_sgpr_workgroup_id_z 1
		.amdhsa_system_sgpr_workgroup_info 0
		.amdhsa_system_vgpr_workitem_id 0
		.amdhsa_next_free_vgpr 9
		.amdhsa_next_free_sgpr 24
		.amdhsa_reserve_vcc 1
		.amdhsa_reserve_flat_scratch 0
		.amdhsa_float_round_mode_32 0
		.amdhsa_float_round_mode_16_64 0
		.amdhsa_float_denorm_mode_32 3
		.amdhsa_float_denorm_mode_16_64 3
		.amdhsa_dx10_clamp 1
		.amdhsa_ieee_mode 1
		.amdhsa_fp16_overflow 0
		.amdhsa_exception_fp_ieee_invalid_op 0
		.amdhsa_exception_fp_denorm_src 0
		.amdhsa_exception_fp_ieee_div_zero 0
		.amdhsa_exception_fp_ieee_overflow 0
		.amdhsa_exception_fp_ieee_underflow 0
		.amdhsa_exception_fp_ieee_inexact 0
		.amdhsa_exception_int_div_zero 0
	.end_amdhsa_kernel
	.section	.text._ZL24rocblas_dot_kernel_magsqIiLb0ELi512ELi8ELb1E16rocblas_bfloat16PKS0_fEviT5_lT_liPT6_PT4_,"axG",@progbits,_ZL24rocblas_dot_kernel_magsqIiLb0ELi512ELi8ELb1E16rocblas_bfloat16PKS0_fEviT5_lT_liPT6_PT4_,comdat
.Lfunc_end201:
	.size	_ZL24rocblas_dot_kernel_magsqIiLb0ELi512ELi8ELb1E16rocblas_bfloat16PKS0_fEviT5_lT_liPT6_PT4_, .Lfunc_end201-_ZL24rocblas_dot_kernel_magsqIiLb0ELi512ELi8ELb1E16rocblas_bfloat16PKS0_fEviT5_lT_liPT6_PT4_
                                        ; -- End function
	.set _ZL24rocblas_dot_kernel_magsqIiLb0ELi512ELi8ELb1E16rocblas_bfloat16PKS0_fEviT5_lT_liPT6_PT4_.num_vgpr, 9
	.set _ZL24rocblas_dot_kernel_magsqIiLb0ELi512ELi8ELb1E16rocblas_bfloat16PKS0_fEviT5_lT_liPT6_PT4_.num_agpr, 0
	.set _ZL24rocblas_dot_kernel_magsqIiLb0ELi512ELi8ELb1E16rocblas_bfloat16PKS0_fEviT5_lT_liPT6_PT4_.numbered_sgpr, 24
	.set _ZL24rocblas_dot_kernel_magsqIiLb0ELi512ELi8ELb1E16rocblas_bfloat16PKS0_fEviT5_lT_liPT6_PT4_.num_named_barrier, 0
	.set _ZL24rocblas_dot_kernel_magsqIiLb0ELi512ELi8ELb1E16rocblas_bfloat16PKS0_fEviT5_lT_liPT6_PT4_.private_seg_size, 0
	.set _ZL24rocblas_dot_kernel_magsqIiLb0ELi512ELi8ELb1E16rocblas_bfloat16PKS0_fEviT5_lT_liPT6_PT4_.uses_vcc, 1
	.set _ZL24rocblas_dot_kernel_magsqIiLb0ELi512ELi8ELb1E16rocblas_bfloat16PKS0_fEviT5_lT_liPT6_PT4_.uses_flat_scratch, 0
	.set _ZL24rocblas_dot_kernel_magsqIiLb0ELi512ELi8ELb1E16rocblas_bfloat16PKS0_fEviT5_lT_liPT6_PT4_.has_dyn_sized_stack, 0
	.set _ZL24rocblas_dot_kernel_magsqIiLb0ELi512ELi8ELb1E16rocblas_bfloat16PKS0_fEviT5_lT_liPT6_PT4_.has_recursion, 0
	.set _ZL24rocblas_dot_kernel_magsqIiLb0ELi512ELi8ELb1E16rocblas_bfloat16PKS0_fEviT5_lT_liPT6_PT4_.has_indirect_call, 0
	.section	.AMDGPU.csdata,"",@progbits
; Kernel info:
; codeLenInByte = 936
; TotalNumSgprs: 28
; NumVgprs: 9
; ScratchSize: 0
; MemoryBound: 0
; FloatMode: 240
; IeeeMode: 1
; LDSByteSize: 256 bytes/workgroup (compile time only)
; SGPRBlocks: 3
; VGPRBlocks: 2
; NumSGPRsForWavesPerEU: 28
; NumVGPRsForWavesPerEU: 9
; Occupancy: 10
; WaveLimiterHint : 0
; COMPUTE_PGM_RSRC2:SCRATCH_EN: 0
; COMPUTE_PGM_RSRC2:USER_SGPR: 6
; COMPUTE_PGM_RSRC2:TRAP_HANDLER: 0
; COMPUTE_PGM_RSRC2:TGID_X_EN: 1
; COMPUTE_PGM_RSRC2:TGID_Y_EN: 0
; COMPUTE_PGM_RSRC2:TGID_Z_EN: 1
; COMPUTE_PGM_RSRC2:TIDIG_COMP_CNT: 0
	.section	.text._ZL30rocblas_reduction_kernel_part2ILi512ELi8E25rocblas_finalize_identityf16rocblas_bfloat16EviPT2_PT3_,"axG",@progbits,_ZL30rocblas_reduction_kernel_part2ILi512ELi8E25rocblas_finalize_identityf16rocblas_bfloat16EviPT2_PT3_,comdat
	.globl	_ZL30rocblas_reduction_kernel_part2ILi512ELi8E25rocblas_finalize_identityf16rocblas_bfloat16EviPT2_PT3_ ; -- Begin function _ZL30rocblas_reduction_kernel_part2ILi512ELi8E25rocblas_finalize_identityf16rocblas_bfloat16EviPT2_PT3_
	.p2align	8
	.type	_ZL30rocblas_reduction_kernel_part2ILi512ELi8E25rocblas_finalize_identityf16rocblas_bfloat16EviPT2_PT3_,@function
_ZL30rocblas_reduction_kernel_part2ILi512ELi8E25rocblas_finalize_identityf16rocblas_bfloat16EviPT2_PT3_: ; @_ZL30rocblas_reduction_kernel_part2ILi512ELi8E25rocblas_finalize_identityf16rocblas_bfloat16EviPT2_PT3_
; %bb.0:
	s_load_dword s12, s[4:5], 0x0
	s_load_dwordx4 s[0:3], s[4:5], 0x8
	v_lshlrev_b32_e32 v4, 3, v0
	s_mov_b32 s7, 0
	v_mov_b32_e32 v3, 0
	s_waitcnt lgkmcnt(0)
	s_ashr_i32 s8, s12, 31
	s_mul_i32 s5, s8, s6
	s_lshr_b32 s8, s8, 29
	s_add_i32 s8, s12, s8
	s_mul_hi_u32 s4, s12, s6
	s_and_b32 s13, s8, -8
	s_add_i32 s5, s4, s5
	s_mul_i32 s4, s12, s6
	v_cmp_gt_i32_e32 vcc, s13, v4
	s_and_saveexec_b64 s[8:9], vcc
	s_cbranch_execz .LBB202_4
; %bb.1:
	s_lshl_b64 s[10:11], s[4:5], 2
	s_add_u32 s10, s0, s10
	v_lshlrev_b32_e32 v1, 5, v0
	s_addc_u32 s11, s1, s11
	v_mov_b32_e32 v2, s11
	v_add_co_u32_e32 v1, vcc, s10, v1
	v_addc_co_u32_e32 v2, vcc, 0, v2, vcc
	v_add_co_u32_e32 v1, vcc, 28, v1
	v_mov_b32_e32 v3, 0
	v_addc_co_u32_e32 v2, vcc, 0, v2, vcc
	s_mov_b64 s[10:11], 0
.LBB202_2:                              ; =>This Inner Loop Header: Depth=1
	global_load_dwordx4 v[5:8], v[1:2], off offset:-28
	global_load_dwordx4 v[9:12], v[1:2], off offset:-12
	v_add_co_u32_e32 v1, vcc, 0x4000, v1
	v_add_u32_e32 v4, 0x1000, v4
	v_addc_co_u32_e32 v2, vcc, 0, v2, vcc
	v_cmp_le_i32_e32 vcc, s13, v4
	s_or_b64 s[10:11], vcc, s[10:11]
	s_waitcnt vmcnt(1)
	v_add_f32_e32 v3, v3, v5
	v_add_f32_e32 v3, v3, v6
	;; [unrolled: 1-line block ×4, first 2 shown]
	s_waitcnt vmcnt(0)
	v_add_f32_e32 v3, v3, v9
	v_add_f32_e32 v3, v3, v10
	;; [unrolled: 1-line block ×4, first 2 shown]
	s_andn2_b64 exec, exec, s[10:11]
	s_cbranch_execnz .LBB202_2
; %bb.3:
	s_or_b64 exec, exec, s[10:11]
.LBB202_4:
	s_or_b64 exec, exec, s[8:9]
	s_sub_i32 s8, s12, s13
	v_cmp_gt_u32_e32 vcc, s8, v0
	s_and_saveexec_b64 s[8:9], vcc
	s_cbranch_execz .LBB202_6
; %bb.5:
	s_lshl_b64 s[4:5], s[4:5], 2
	v_xad_u32 v1, v0, -1, s12
	v_mov_b32_e32 v2, 0
	s_add_u32 s0, s0, s4
	v_lshlrev_b64 v[1:2], 2, v[1:2]
	s_addc_u32 s1, s1, s5
	v_mov_b32_e32 v4, s1
	v_add_co_u32_e32 v1, vcc, s0, v1
	v_addc_co_u32_e32 v2, vcc, v4, v2, vcc
	global_load_dword v1, v[1:2], off
	s_waitcnt vmcnt(0)
	v_add_f32_e32 v3, v3, v1
.LBB202_6:
	s_or_b64 exec, exec, s[8:9]
	v_and_b32_e32 v2, 63, v0
	v_cmp_gt_u32_e32 vcc, 64, v0
	v_lshlrev_b32_e32 v1, 2, v2
	s_and_saveexec_b64 s[0:1], vcc
; %bb.7:
	v_mov_b32_e32 v4, 0
	ds_write_b32 v1, v4
; %bb.8:
	s_or_b64 exec, exec, s[0:1]
	v_mbcnt_lo_u32_b32 v4, -1, 0
	v_mbcnt_hi_u32_b32 v5, -1, v4
	v_mov_b32_e32 v4, 0x80
	v_lshl_or_b32 v4, v5, 2, v4
	ds_bpermute_b32 v4, v4, v3
	v_and_b32_e32 v6, 63, v5
	v_cmp_gt_u32_e64 s[0:1], 48, v6
	v_cndmask_b32_e64 v7, 0, 16, s[0:1]
	v_cmp_gt_u32_e64 s[0:1], 56, v6
	s_waitcnt lgkmcnt(0)
	v_add_f32_e32 v3, v3, v4
	v_add_lshl_u32 v4, v7, v5, 2
	ds_bpermute_b32 v4, v4, v3
	v_cndmask_b32_e64 v7, 0, 8, s[0:1]
	v_add_lshl_u32 v7, v7, v5, 2
	v_cmp_gt_u32_e64 s[0:1], 60, v6
	s_waitcnt lgkmcnt(0)
	v_add_f32_e32 v4, v3, v4
	ds_bpermute_b32 v7, v7, v4
	v_cndmask_b32_e64 v3, 0, 4, s[0:1]
	v_add_lshl_u32 v3, v3, v5, 2
	v_cmp_gt_u32_e64 s[0:1], 62, v6
	s_waitcnt lgkmcnt(0)
	s_barrier
	v_add_f32_e32 v7, v4, v7
	ds_bpermute_b32 v8, v3, v7
	v_cndmask_b32_e64 v4, 0, 2, s[0:1]
	v_add_lshl_u32 v4, v4, v5, 2
	v_cmp_ne_u32_e64 s[0:1], 63, v6
	v_addc_co_u32_e64 v5, s[0:1], 0, v5, s[0:1]
	s_waitcnt lgkmcnt(0)
	v_add_f32_e32 v7, v7, v8
	ds_bpermute_b32 v8, v4, v7
	v_lshlrev_b32_e32 v5, 2, v5
	v_cmp_eq_u32_e64 s[0:1], 0, v2
	s_waitcnt lgkmcnt(0)
	v_add_f32_e32 v6, v7, v8
	ds_bpermute_b32 v7, v5, v6
	s_and_saveexec_b64 s[4:5], s[0:1]
	s_cbranch_execz .LBB202_10
; %bb.9:
	s_waitcnt lgkmcnt(0)
	v_add_f32_e32 v2, v6, v7
	v_lshrrev_b32_e32 v6, 4, v0
	v_and_b32_e32 v6, 28, v6
	ds_write_b32 v6, v2
.LBB202_10:
	s_or_b64 exec, exec, s[4:5]
	v_cmp_gt_u32_e64 s[0:1], 8, v0
	v_mov_b32_e32 v2, 0
	s_waitcnt lgkmcnt(0)
	s_barrier
	s_and_saveexec_b64 s[4:5], s[0:1]
	s_cbranch_execnz .LBB202_14
; %bb.11:
	s_or_b64 exec, exec, s[4:5]
	s_and_saveexec_b64 s[0:1], vcc
	s_cbranch_execnz .LBB202_15
.LBB202_12:
	s_or_b64 exec, exec, s[0:1]
	v_cmp_eq_u32_e32 vcc, 0, v0
	s_and_saveexec_b64 s[0:1], vcc
	s_cbranch_execnz .LBB202_16
.LBB202_13:
	s_endpgm
.LBB202_14:
	ds_read_b32 v2, v1
	s_or_b64 exec, exec, s[4:5]
	s_and_saveexec_b64 s[0:1], vcc
	s_cbranch_execz .LBB202_12
.LBB202_15:
	s_waitcnt lgkmcnt(0)
	ds_bpermute_b32 v1, v3, v2
	s_waitcnt lgkmcnt(0)
	v_add_f32_e32 v1, v2, v1
	ds_bpermute_b32 v2, v4, v1
	s_waitcnt lgkmcnt(0)
	v_add_f32_e32 v1, v1, v2
	;; [unrolled: 3-line block ×3, first 2 shown]
	s_or_b64 exec, exec, s[0:1]
	v_cmp_eq_u32_e32 vcc, 0, v0
	s_and_saveexec_b64 s[0:1], vcc
	s_cbranch_execz .LBB202_13
.LBB202_16:
	s_mov_b32 s0, 0x7f800000
	s_waitcnt lgkmcnt(0)
	v_and_b32_e32 v0, 0x7f800000, v2
	v_cmp_ne_u32_e32 vcc, s0, v0
                                        ; implicit-def: $vgpr0
	s_and_saveexec_b64 s[0:1], vcc
	s_xor_b64 s[0:1], exec, s[0:1]
; %bb.17:
	v_bfe_u32 v0, v2, 16, 1
	s_movk_i32 s4, 0x7fff
	v_add3_u32 v0, v2, v0, s4
                                        ; implicit-def: $vgpr2
; %bb.18:
	s_andn2_saveexec_b64 s[0:1], s[0:1]
; %bb.19:
	v_mov_b32_e32 v0, 0
	v_or_b32_e32 v1, 0x10000, v2
	v_cmp_eq_u32_sdwa vcc, v2, v0 src0_sel:WORD_0 src1_sel:DWORD
	v_cndmask_b32_e32 v0, v1, v2, vcc
; %bb.20:
	s_or_b64 exec, exec, s[0:1]
	s_lshl_b64 s[0:1], s[6:7], 1
	s_add_u32 s0, s2, s0
	s_addc_u32 s1, s3, s1
	v_mov_b32_e32 v1, 0
	global_store_short_d16_hi v1, v0, s[0:1]
	s_endpgm
	.section	.rodata,"a",@progbits
	.p2align	6, 0x0
	.amdhsa_kernel _ZL30rocblas_reduction_kernel_part2ILi512ELi8E25rocblas_finalize_identityf16rocblas_bfloat16EviPT2_PT3_
		.amdhsa_group_segment_fixed_size 256
		.amdhsa_private_segment_fixed_size 0
		.amdhsa_kernarg_size 24
		.amdhsa_user_sgpr_count 6
		.amdhsa_user_sgpr_private_segment_buffer 1
		.amdhsa_user_sgpr_dispatch_ptr 0
		.amdhsa_user_sgpr_queue_ptr 0
		.amdhsa_user_sgpr_kernarg_segment_ptr 1
		.amdhsa_user_sgpr_dispatch_id 0
		.amdhsa_user_sgpr_flat_scratch_init 0
		.amdhsa_user_sgpr_private_segment_size 0
		.amdhsa_uses_dynamic_stack 0
		.amdhsa_system_sgpr_private_segment_wavefront_offset 0
		.amdhsa_system_sgpr_workgroup_id_x 1
		.amdhsa_system_sgpr_workgroup_id_y 0
		.amdhsa_system_sgpr_workgroup_id_z 0
		.amdhsa_system_sgpr_workgroup_info 0
		.amdhsa_system_vgpr_workitem_id 0
		.amdhsa_next_free_vgpr 13
		.amdhsa_next_free_sgpr 14
		.amdhsa_reserve_vcc 1
		.amdhsa_reserve_flat_scratch 0
		.amdhsa_float_round_mode_32 0
		.amdhsa_float_round_mode_16_64 0
		.amdhsa_float_denorm_mode_32 3
		.amdhsa_float_denorm_mode_16_64 3
		.amdhsa_dx10_clamp 1
		.amdhsa_ieee_mode 1
		.amdhsa_fp16_overflow 0
		.amdhsa_exception_fp_ieee_invalid_op 0
		.amdhsa_exception_fp_denorm_src 0
		.amdhsa_exception_fp_ieee_div_zero 0
		.amdhsa_exception_fp_ieee_overflow 0
		.amdhsa_exception_fp_ieee_underflow 0
		.amdhsa_exception_fp_ieee_inexact 0
		.amdhsa_exception_int_div_zero 0
	.end_amdhsa_kernel
	.section	.text._ZL30rocblas_reduction_kernel_part2ILi512ELi8E25rocblas_finalize_identityf16rocblas_bfloat16EviPT2_PT3_,"axG",@progbits,_ZL30rocblas_reduction_kernel_part2ILi512ELi8E25rocblas_finalize_identityf16rocblas_bfloat16EviPT2_PT3_,comdat
.Lfunc_end202:
	.size	_ZL30rocblas_reduction_kernel_part2ILi512ELi8E25rocblas_finalize_identityf16rocblas_bfloat16EviPT2_PT3_, .Lfunc_end202-_ZL30rocblas_reduction_kernel_part2ILi512ELi8E25rocblas_finalize_identityf16rocblas_bfloat16EviPT2_PT3_
                                        ; -- End function
	.set _ZL30rocblas_reduction_kernel_part2ILi512ELi8E25rocblas_finalize_identityf16rocblas_bfloat16EviPT2_PT3_.num_vgpr, 13
	.set _ZL30rocblas_reduction_kernel_part2ILi512ELi8E25rocblas_finalize_identityf16rocblas_bfloat16EviPT2_PT3_.num_agpr, 0
	.set _ZL30rocblas_reduction_kernel_part2ILi512ELi8E25rocblas_finalize_identityf16rocblas_bfloat16EviPT2_PT3_.numbered_sgpr, 14
	.set _ZL30rocblas_reduction_kernel_part2ILi512ELi8E25rocblas_finalize_identityf16rocblas_bfloat16EviPT2_PT3_.num_named_barrier, 0
	.set _ZL30rocblas_reduction_kernel_part2ILi512ELi8E25rocblas_finalize_identityf16rocblas_bfloat16EviPT2_PT3_.private_seg_size, 0
	.set _ZL30rocblas_reduction_kernel_part2ILi512ELi8E25rocblas_finalize_identityf16rocblas_bfloat16EviPT2_PT3_.uses_vcc, 1
	.set _ZL30rocblas_reduction_kernel_part2ILi512ELi8E25rocblas_finalize_identityf16rocblas_bfloat16EviPT2_PT3_.uses_flat_scratch, 0
	.set _ZL30rocblas_reduction_kernel_part2ILi512ELi8E25rocblas_finalize_identityf16rocblas_bfloat16EviPT2_PT3_.has_dyn_sized_stack, 0
	.set _ZL30rocblas_reduction_kernel_part2ILi512ELi8E25rocblas_finalize_identityf16rocblas_bfloat16EviPT2_PT3_.has_recursion, 0
	.set _ZL30rocblas_reduction_kernel_part2ILi512ELi8E25rocblas_finalize_identityf16rocblas_bfloat16EviPT2_PT3_.has_indirect_call, 0
	.section	.AMDGPU.csdata,"",@progbits
; Kernel info:
; codeLenInByte = 880
; TotalNumSgprs: 18
; NumVgprs: 13
; ScratchSize: 0
; MemoryBound: 0
; FloatMode: 240
; IeeeMode: 1
; LDSByteSize: 256 bytes/workgroup (compile time only)
; SGPRBlocks: 2
; VGPRBlocks: 3
; NumSGPRsForWavesPerEU: 18
; NumVGPRsForWavesPerEU: 13
; Occupancy: 10
; WaveLimiterHint : 0
; COMPUTE_PGM_RSRC2:SCRATCH_EN: 0
; COMPUTE_PGM_RSRC2:USER_SGPR: 6
; COMPUTE_PGM_RSRC2:TRAP_HANDLER: 0
; COMPUTE_PGM_RSRC2:TGID_X_EN: 1
; COMPUTE_PGM_RSRC2:TGID_Y_EN: 0
; COMPUTE_PGM_RSRC2:TGID_Z_EN: 0
; COMPUTE_PGM_RSRC2:TIDIG_COMP_CNT: 0
	.section	.text._ZL28rocblas_dot_batched_4_kernelIiLi32ELi4ELb1Ef16rocblas_bfloat16PKPKS0_EviT5_lT_lS5_lS6_liPT4_,"axG",@progbits,_ZL28rocblas_dot_batched_4_kernelIiLi32ELi4ELb1Ef16rocblas_bfloat16PKPKS0_EviT5_lT_lS5_lS6_liPT4_,comdat
	.globl	_ZL28rocblas_dot_batched_4_kernelIiLi32ELi4ELb1Ef16rocblas_bfloat16PKPKS0_EviT5_lT_lS5_lS6_liPT4_ ; -- Begin function _ZL28rocblas_dot_batched_4_kernelIiLi32ELi4ELb1Ef16rocblas_bfloat16PKPKS0_EviT5_lT_lS5_lS6_liPT4_
	.p2align	8
	.type	_ZL28rocblas_dot_batched_4_kernelIiLi32ELi4ELb1Ef16rocblas_bfloat16PKPKS0_EviT5_lT_lS5_lS6_liPT4_,@function
_ZL28rocblas_dot_batched_4_kernelIiLi32ELi4ELb1Ef16rocblas_bfloat16PKPKS0_EviT5_lT_lS5_lS6_liPT4_: ; @_ZL28rocblas_dot_batched_4_kernelIiLi32ELi4ELb1Ef16rocblas_bfloat16PKPKS0_EviT5_lT_lS5_lS6_liPT4_
; %bb.0:
	s_load_dword s0, s[4:5], 0x48
	v_lshl_add_u32 v1, s6, 2, v1
	s_waitcnt lgkmcnt(0)
	v_cmp_gt_u32_e32 vcc, s0, v1
	s_and_saveexec_b64 s[0:1], vcc
	s_cbranch_execz .LBB203_11
; %bb.1:
	s_load_dword s14, s[4:5], 0x0
	s_load_dwordx2 s[6:7], s[4:5], 0x50
	v_mov_b32_e32 v2, 0
	v_mov_b32_e32 v7, v2
	s_waitcnt lgkmcnt(0)
	v_cmp_gt_i32_e32 vcc, s14, v0
	s_and_saveexec_b64 s[12:13], vcc
	s_cbranch_execz .LBB203_5
; %bb.2:
	s_load_dwordx4 s[0:3], s[4:5], 0x8
	s_load_dwordx4 s[8:11], s[4:5], 0x28
	v_lshlrev_b64 v[3:4], 3, v[1:2]
	s_load_dword s16, s[4:5], 0x18
	s_waitcnt lgkmcnt(0)
	v_mov_b32_e32 v6, s1
	v_add_co_u32_e32 v5, vcc, s0, v3
	v_addc_co_u32_e32 v6, vcc, v6, v4, vcc
	global_load_dwordx2 v[5:6], v[5:6], off
	v_mov_b32_e32 v7, s9
	v_add_co_u32_e32 v3, vcc, s8, v3
	v_addc_co_u32_e32 v4, vcc, v7, v4, vcc
	global_load_dwordx2 v[10:11], v[3:4], off
	s_load_dword s4, s[4:5], 0x38
	v_mad_i64_i32 v[3:4], s[8:9], s16, v0, 0
	s_lshl_b64 s[8:9], s[2:3], 1
	v_mov_b32_e32 v14, s9
	s_waitcnt lgkmcnt(0)
	v_mad_i64_i32 v[12:13], s[2:3], s4, v0, 0
	v_lshlrev_b64 v[3:4], 1, v[3:4]
	s_lshl_b64 s[10:11], s[10:11], 1
	v_lshlrev_b64 v[12:13], 1, v[12:13]
	v_add_co_u32_e32 v3, vcc, s8, v3
	v_addc_co_u32_e32 v4, vcc, v4, v14, vcc
	v_mov_b32_e32 v15, s11
	v_add_co_u32_e32 v12, vcc, s10, v12
	v_addc_co_u32_e32 v13, vcc, v13, v15, vcc
	s_ashr_i32 s17, s16, 31
	s_ashr_i32 s5, s4, 31
	s_lshl_b64 s[2:3], s[16:17], 6
	s_lshl_b64 s[4:5], s[4:5], 6
	v_mov_b32_e32 v7, 0
	s_mov_b64 s[0:1], 0
	v_mov_b32_e32 v8, s3
	v_mov_b32_e32 v9, s5
	s_waitcnt vmcnt(1)
	v_add_co_u32_e32 v3, vcc, v5, v3
	v_addc_co_u32_e32 v4, vcc, v6, v4, vcc
	s_waitcnt vmcnt(0)
	v_add_co_u32_e32 v5, vcc, v10, v12
	v_addc_co_u32_e32 v6, vcc, v11, v13, vcc
	v_mov_b32_e32 v10, v0
.LBB203_3:                              ; =>This Inner Loop Header: Depth=1
	flat_load_ushort v11, v[5:6]
	flat_load_ushort v12, v[3:4]
	v_add_co_u32_e32 v3, vcc, s2, v3
	v_addc_co_u32_e32 v4, vcc, v4, v8, vcc
	v_add_co_u32_e32 v5, vcc, s4, v5
	v_add_u32_e32 v10, 32, v10
	v_addc_co_u32_e32 v6, vcc, v6, v9, vcc
	v_cmp_le_i32_e32 vcc, s14, v10
	s_or_b64 s[0:1], vcc, s[0:1]
	s_waitcnt vmcnt(0) lgkmcnt(0)
	v_lshlrev_b32_e32 v11, 16, v11
	v_lshlrev_b32_e32 v12, 16, v12
	v_fmac_f32_e32 v7, v12, v11
	s_andn2_b64 exec, exec, s[0:1]
	s_cbranch_execnz .LBB203_3
; %bb.4:
	s_or_b64 exec, exec, s[0:1]
.LBB203_5:
	s_or_b64 exec, exec, s[12:13]
	v_mbcnt_lo_u32_b32 v3, -1, 0
	v_mbcnt_hi_u32_b32 v3, -1, v3
	v_and_b32_e32 v4, 63, v3
	v_cmp_gt_u32_e32 vcc, 48, v4
	v_cndmask_b32_e64 v5, 0, 16, vcc
	v_add_lshl_u32 v5, v5, v3, 2
	ds_bpermute_b32 v5, v5, v7
	v_cmp_gt_u32_e32 vcc, 56, v4
	v_cndmask_b32_e64 v6, 0, 8, vcc
	v_add_lshl_u32 v6, v6, v3, 2
	v_cmp_gt_u32_e32 vcc, 60, v4
	s_waitcnt lgkmcnt(0)
	v_add_f32_e32 v5, v7, v5
	ds_bpermute_b32 v6, v6, v5
	v_cndmask_b32_e64 v7, 0, 4, vcc
	v_add_lshl_u32 v7, v7, v3, 2
	v_cmp_gt_u32_e32 vcc, 62, v4
	s_waitcnt lgkmcnt(0)
	v_add_f32_e32 v5, v5, v6
	ds_bpermute_b32 v6, v7, v5
	v_cndmask_b32_e64 v7, 0, 2, vcc
	v_add_lshl_u32 v7, v7, v3, 2
	v_cmp_ne_u32_e32 vcc, 63, v4
	v_addc_co_u32_e32 v4, vcc, 0, v3, vcc
	s_waitcnt lgkmcnt(0)
	v_add_f32_e32 v5, v5, v6
	ds_bpermute_b32 v6, v7, v5
	v_lshlrev_b32_e32 v4, 2, v4
	v_cmp_eq_u32_e32 vcc, 0, v0
	s_waitcnt lgkmcnt(0)
	s_barrier
	v_add_f32_e32 v3, v5, v6
	ds_bpermute_b32 v4, v4, v3
	s_and_b64 exec, exec, vcc
	s_cbranch_execz .LBB203_11
; %bb.6:
	s_waitcnt lgkmcnt(0)
	v_add_f32_e32 v3, v3, v4
	s_mov_b32 s0, 0x7f800000
	v_and_b32_e32 v0, 0x7f800000, v3
	v_cmp_ne_u32_e32 vcc, s0, v0
                                        ; implicit-def: $vgpr0
	s_and_saveexec_b64 s[0:1], vcc
	s_xor_b64 s[0:1], exec, s[0:1]
; %bb.7:
	v_bfe_u32 v0, v3, 16, 1
	s_movk_i32 s2, 0x7fff
	v_add3_u32 v0, v3, v0, s2
                                        ; implicit-def: $vgpr3
; %bb.8:
	s_andn2_saveexec_b64 s[0:1], s[0:1]
; %bb.9:
	v_mov_b32_e32 v0, 0
	v_or_b32_e32 v4, 0x10000, v3
	v_cmp_eq_u32_sdwa vcc, v3, v0 src0_sel:WORD_0 src1_sel:DWORD
	v_cndmask_b32_e32 v0, v4, v3, vcc
; %bb.10:
	s_or_b64 exec, exec, s[0:1]
	v_lshlrev_b64 v[1:2], 1, v[1:2]
	v_mov_b32_e32 v3, s7
	v_add_co_u32_e32 v1, vcc, s6, v1
	v_addc_co_u32_e32 v2, vcc, v3, v2, vcc
	global_store_short_d16_hi v[1:2], v0, off
.LBB203_11:
	s_endpgm
	.section	.rodata,"a",@progbits
	.p2align	6, 0x0
	.amdhsa_kernel _ZL28rocblas_dot_batched_4_kernelIiLi32ELi4ELb1Ef16rocblas_bfloat16PKPKS0_EviT5_lT_lS5_lS6_liPT4_
		.amdhsa_group_segment_fixed_size 0
		.amdhsa_private_segment_fixed_size 0
		.amdhsa_kernarg_size 88
		.amdhsa_user_sgpr_count 6
		.amdhsa_user_sgpr_private_segment_buffer 1
		.amdhsa_user_sgpr_dispatch_ptr 0
		.amdhsa_user_sgpr_queue_ptr 0
		.amdhsa_user_sgpr_kernarg_segment_ptr 1
		.amdhsa_user_sgpr_dispatch_id 0
		.amdhsa_user_sgpr_flat_scratch_init 0
		.amdhsa_user_sgpr_private_segment_size 0
		.amdhsa_uses_dynamic_stack 0
		.amdhsa_system_sgpr_private_segment_wavefront_offset 0
		.amdhsa_system_sgpr_workgroup_id_x 1
		.amdhsa_system_sgpr_workgroup_id_y 0
		.amdhsa_system_sgpr_workgroup_id_z 0
		.amdhsa_system_sgpr_workgroup_info 0
		.amdhsa_system_vgpr_workitem_id 1
		.amdhsa_next_free_vgpr 16
		.amdhsa_next_free_sgpr 18
		.amdhsa_reserve_vcc 1
		.amdhsa_reserve_flat_scratch 0
		.amdhsa_float_round_mode_32 0
		.amdhsa_float_round_mode_16_64 0
		.amdhsa_float_denorm_mode_32 3
		.amdhsa_float_denorm_mode_16_64 3
		.amdhsa_dx10_clamp 1
		.amdhsa_ieee_mode 1
		.amdhsa_fp16_overflow 0
		.amdhsa_exception_fp_ieee_invalid_op 0
		.amdhsa_exception_fp_denorm_src 0
		.amdhsa_exception_fp_ieee_div_zero 0
		.amdhsa_exception_fp_ieee_overflow 0
		.amdhsa_exception_fp_ieee_underflow 0
		.amdhsa_exception_fp_ieee_inexact 0
		.amdhsa_exception_int_div_zero 0
	.end_amdhsa_kernel
	.section	.text._ZL28rocblas_dot_batched_4_kernelIiLi32ELi4ELb1Ef16rocblas_bfloat16PKPKS0_EviT5_lT_lS5_lS6_liPT4_,"axG",@progbits,_ZL28rocblas_dot_batched_4_kernelIiLi32ELi4ELb1Ef16rocblas_bfloat16PKPKS0_EviT5_lT_lS5_lS6_liPT4_,comdat
.Lfunc_end203:
	.size	_ZL28rocblas_dot_batched_4_kernelIiLi32ELi4ELb1Ef16rocblas_bfloat16PKPKS0_EviT5_lT_lS5_lS6_liPT4_, .Lfunc_end203-_ZL28rocblas_dot_batched_4_kernelIiLi32ELi4ELb1Ef16rocblas_bfloat16PKPKS0_EviT5_lT_lS5_lS6_liPT4_
                                        ; -- End function
	.set _ZL28rocblas_dot_batched_4_kernelIiLi32ELi4ELb1Ef16rocblas_bfloat16PKPKS0_EviT5_lT_lS5_lS6_liPT4_.num_vgpr, 16
	.set _ZL28rocblas_dot_batched_4_kernelIiLi32ELi4ELb1Ef16rocblas_bfloat16PKPKS0_EviT5_lT_lS5_lS6_liPT4_.num_agpr, 0
	.set _ZL28rocblas_dot_batched_4_kernelIiLi32ELi4ELb1Ef16rocblas_bfloat16PKPKS0_EviT5_lT_lS5_lS6_liPT4_.numbered_sgpr, 18
	.set _ZL28rocblas_dot_batched_4_kernelIiLi32ELi4ELb1Ef16rocblas_bfloat16PKPKS0_EviT5_lT_lS5_lS6_liPT4_.num_named_barrier, 0
	.set _ZL28rocblas_dot_batched_4_kernelIiLi32ELi4ELb1Ef16rocblas_bfloat16PKPKS0_EviT5_lT_lS5_lS6_liPT4_.private_seg_size, 0
	.set _ZL28rocblas_dot_batched_4_kernelIiLi32ELi4ELb1Ef16rocblas_bfloat16PKPKS0_EviT5_lT_lS5_lS6_liPT4_.uses_vcc, 1
	.set _ZL28rocblas_dot_batched_4_kernelIiLi32ELi4ELb1Ef16rocblas_bfloat16PKPKS0_EviT5_lT_lS5_lS6_liPT4_.uses_flat_scratch, 0
	.set _ZL28rocblas_dot_batched_4_kernelIiLi32ELi4ELb1Ef16rocblas_bfloat16PKPKS0_EviT5_lT_lS5_lS6_liPT4_.has_dyn_sized_stack, 0
	.set _ZL28rocblas_dot_batched_4_kernelIiLi32ELi4ELb1Ef16rocblas_bfloat16PKPKS0_EviT5_lT_lS5_lS6_liPT4_.has_recursion, 0
	.set _ZL28rocblas_dot_batched_4_kernelIiLi32ELi4ELb1Ef16rocblas_bfloat16PKPKS0_EviT5_lT_lS5_lS6_liPT4_.has_indirect_call, 0
	.section	.AMDGPU.csdata,"",@progbits
; Kernel info:
; codeLenInByte = 680
; TotalNumSgprs: 22
; NumVgprs: 16
; ScratchSize: 0
; MemoryBound: 0
; FloatMode: 240
; IeeeMode: 1
; LDSByteSize: 0 bytes/workgroup (compile time only)
; SGPRBlocks: 2
; VGPRBlocks: 3
; NumSGPRsForWavesPerEU: 22
; NumVGPRsForWavesPerEU: 16
; Occupancy: 10
; WaveLimiterHint : 0
; COMPUTE_PGM_RSRC2:SCRATCH_EN: 0
; COMPUTE_PGM_RSRC2:USER_SGPR: 6
; COMPUTE_PGM_RSRC2:TRAP_HANDLER: 0
; COMPUTE_PGM_RSRC2:TGID_X_EN: 1
; COMPUTE_PGM_RSRC2:TGID_Y_EN: 0
; COMPUTE_PGM_RSRC2:TGID_Z_EN: 0
; COMPUTE_PGM_RSRC2:TIDIG_COMP_CNT: 1
	.section	.text._ZL28rocblas_dot_batched_4_kernelIiLi64ELi4ELb1Ef16rocblas_bfloat16PKPKS0_EviT5_lT_lS5_lS6_liPT4_,"axG",@progbits,_ZL28rocblas_dot_batched_4_kernelIiLi64ELi4ELb1Ef16rocblas_bfloat16PKPKS0_EviT5_lT_lS5_lS6_liPT4_,comdat
	.globl	_ZL28rocblas_dot_batched_4_kernelIiLi64ELi4ELb1Ef16rocblas_bfloat16PKPKS0_EviT5_lT_lS5_lS6_liPT4_ ; -- Begin function _ZL28rocblas_dot_batched_4_kernelIiLi64ELi4ELb1Ef16rocblas_bfloat16PKPKS0_EviT5_lT_lS5_lS6_liPT4_
	.p2align	8
	.type	_ZL28rocblas_dot_batched_4_kernelIiLi64ELi4ELb1Ef16rocblas_bfloat16PKPKS0_EviT5_lT_lS5_lS6_liPT4_,@function
_ZL28rocblas_dot_batched_4_kernelIiLi64ELi4ELb1Ef16rocblas_bfloat16PKPKS0_EviT5_lT_lS5_lS6_liPT4_: ; @_ZL28rocblas_dot_batched_4_kernelIiLi64ELi4ELb1Ef16rocblas_bfloat16PKPKS0_EviT5_lT_lS5_lS6_liPT4_
; %bb.0:
	s_load_dword s0, s[4:5], 0x48
	v_lshl_add_u32 v1, s6, 2, v1
	s_waitcnt lgkmcnt(0)
	v_cmp_gt_u32_e32 vcc, s0, v1
	s_and_saveexec_b64 s[0:1], vcc
	s_cbranch_execz .LBB204_11
; %bb.1:
	s_load_dword s14, s[4:5], 0x0
	s_load_dwordx2 s[6:7], s[4:5], 0x50
	v_mov_b32_e32 v2, 0
	v_mov_b32_e32 v7, v2
	s_waitcnt lgkmcnt(0)
	v_cmp_gt_i32_e32 vcc, s14, v0
	s_and_saveexec_b64 s[12:13], vcc
	s_cbranch_execz .LBB204_5
; %bb.2:
	s_load_dwordx4 s[0:3], s[4:5], 0x8
	s_load_dwordx4 s[8:11], s[4:5], 0x28
	v_lshlrev_b64 v[3:4], 3, v[1:2]
	s_load_dword s16, s[4:5], 0x18
	s_waitcnt lgkmcnt(0)
	v_mov_b32_e32 v6, s1
	v_add_co_u32_e32 v5, vcc, s0, v3
	v_addc_co_u32_e32 v6, vcc, v6, v4, vcc
	global_load_dwordx2 v[5:6], v[5:6], off
	v_mov_b32_e32 v7, s9
	v_add_co_u32_e32 v3, vcc, s8, v3
	v_addc_co_u32_e32 v4, vcc, v7, v4, vcc
	global_load_dwordx2 v[8:9], v[3:4], off
	s_load_dword s0, s[4:5], 0x38
	v_mad_i64_i32 v[3:4], s[8:9], s16, v0, 0
	s_lshl_b64 s[18:19], s[2:3], 1
	v_mov_b32_e32 v12, s19
	s_waitcnt lgkmcnt(0)
	v_mad_i64_i32 v[10:11], s[2:3], s0, v0, 0
	v_lshlrev_b64 v[3:4], 1, v[3:4]
	s_lshl_b64 s[10:11], s[10:11], 1
	v_lshlrev_b64 v[10:11], 1, v[10:11]
	v_add_co_u32_e32 v3, vcc, s18, v3
	v_addc_co_u32_e32 v4, vcc, v4, v12, vcc
	v_mov_b32_e32 v13, s11
	v_add_co_u32_e32 v10, vcc, s10, v10
	v_addc_co_u32_e32 v11, vcc, v11, v13, vcc
	s_ashr_i32 s17, s16, 31
	s_ashr_i32 s1, s0, 31
	v_mov_b32_e32 v7, 0
	s_mov_b64 s[4:5], 0
	s_lshl_b64 s[2:3], s[16:17], 7
	s_lshl_b64 s[8:9], s[0:1], 7
	s_waitcnt vmcnt(1)
	v_add_co_u32_e32 v3, vcc, v5, v3
	v_addc_co_u32_e32 v4, vcc, v6, v4, vcc
	s_waitcnt vmcnt(0)
	v_add_co_u32_e32 v5, vcc, v8, v10
	v_addc_co_u32_e32 v6, vcc, v9, v11, vcc
	v_mov_b32_e32 v8, v0
.LBB204_3:                              ; =>This Inner Loop Header: Depth=1
	flat_load_ushort v9, v[5:6]
	flat_load_ushort v10, v[3:4]
	v_mov_b32_e32 v12, s9
	v_add_co_u32_e32 v5, vcc, s8, v5
	v_add_u32_e32 v8, 64, v8
	v_addc_co_u32_e32 v6, vcc, v6, v12, vcc
	v_mov_b32_e32 v11, s3
	v_add_co_u32_e64 v3, s[0:1], s2, v3
	v_cmp_le_i32_e32 vcc, s14, v8
	v_addc_co_u32_e64 v4, s[0:1], v4, v11, s[0:1]
	s_or_b64 s[4:5], vcc, s[4:5]
	s_waitcnt vmcnt(0) lgkmcnt(0)
	v_lshlrev_b32_e32 v9, 16, v9
	v_lshlrev_b32_e32 v10, 16, v10
	v_fmac_f32_e32 v7, v10, v9
	s_andn2_b64 exec, exec, s[4:5]
	s_cbranch_execnz .LBB204_3
; %bb.4:
	s_or_b64 exec, exec, s[4:5]
.LBB204_5:
	s_or_b64 exec, exec, s[12:13]
	v_mbcnt_lo_u32_b32 v3, -1, 0
	v_mbcnt_hi_u32_b32 v3, -1, v3
	v_mov_b32_e32 v4, 0x80
	v_lshl_or_b32 v4, v3, 2, v4
	ds_bpermute_b32 v4, v4, v7
	v_and_b32_e32 v5, 63, v3
	v_cmp_gt_u32_e32 vcc, 48, v5
	v_cndmask_b32_e64 v6, 0, 16, vcc
	v_add_lshl_u32 v6, v6, v3, 2
	s_waitcnt lgkmcnt(0)
	v_add_f32_e32 v4, v7, v4
	ds_bpermute_b32 v6, v6, v4
	v_cmp_gt_u32_e32 vcc, 56, v5
	v_cndmask_b32_e64 v7, 0, 8, vcc
	v_add_lshl_u32 v7, v7, v3, 2
	v_cmp_gt_u32_e32 vcc, 60, v5
	s_waitcnt lgkmcnt(0)
	v_add_f32_e32 v4, v4, v6
	ds_bpermute_b32 v6, v7, v4
	v_cndmask_b32_e64 v7, 0, 4, vcc
	v_add_lshl_u32 v7, v7, v3, 2
	v_cmp_gt_u32_e32 vcc, 62, v5
	s_waitcnt lgkmcnt(0)
	v_add_f32_e32 v4, v4, v6
	ds_bpermute_b32 v6, v7, v4
	v_cndmask_b32_e64 v7, 0, 2, vcc
	v_add_lshl_u32 v7, v7, v3, 2
	v_cmp_ne_u32_e32 vcc, 63, v5
	v_addc_co_u32_e32 v5, vcc, 0, v3, vcc
	s_waitcnt lgkmcnt(0)
	v_add_f32_e32 v4, v4, v6
	ds_bpermute_b32 v6, v7, v4
	v_cmp_eq_u32_e32 vcc, 0, v0
	s_waitcnt lgkmcnt(0)
	s_barrier
	v_add_f32_e32 v3, v4, v6
	v_lshlrev_b32_e32 v4, 2, v5
	ds_bpermute_b32 v4, v4, v3
	s_and_b64 exec, exec, vcc
	s_cbranch_execz .LBB204_11
; %bb.6:
	s_waitcnt lgkmcnt(0)
	v_add_f32_e32 v3, v3, v4
	s_mov_b32 s0, 0x7f800000
	v_and_b32_e32 v0, 0x7f800000, v3
	v_cmp_ne_u32_e32 vcc, s0, v0
                                        ; implicit-def: $vgpr0
	s_and_saveexec_b64 s[0:1], vcc
	s_xor_b64 s[0:1], exec, s[0:1]
; %bb.7:
	v_bfe_u32 v0, v3, 16, 1
	s_movk_i32 s2, 0x7fff
	v_add3_u32 v0, v3, v0, s2
                                        ; implicit-def: $vgpr3
; %bb.8:
	s_andn2_saveexec_b64 s[0:1], s[0:1]
; %bb.9:
	v_mov_b32_e32 v0, 0
	v_or_b32_e32 v4, 0x10000, v3
	v_cmp_eq_u32_sdwa vcc, v3, v0 src0_sel:WORD_0 src1_sel:DWORD
	v_cndmask_b32_e32 v0, v4, v3, vcc
; %bb.10:
	s_or_b64 exec, exec, s[0:1]
	v_lshlrev_b64 v[1:2], 1, v[1:2]
	v_mov_b32_e32 v3, s7
	v_add_co_u32_e32 v1, vcc, s6, v1
	v_addc_co_u32_e32 v2, vcc, v3, v2, vcc
	global_store_short_d16_hi v[1:2], v0, off
.LBB204_11:
	s_endpgm
	.section	.rodata,"a",@progbits
	.p2align	6, 0x0
	.amdhsa_kernel _ZL28rocblas_dot_batched_4_kernelIiLi64ELi4ELb1Ef16rocblas_bfloat16PKPKS0_EviT5_lT_lS5_lS6_liPT4_
		.amdhsa_group_segment_fixed_size 0
		.amdhsa_private_segment_fixed_size 0
		.amdhsa_kernarg_size 88
		.amdhsa_user_sgpr_count 6
		.amdhsa_user_sgpr_private_segment_buffer 1
		.amdhsa_user_sgpr_dispatch_ptr 0
		.amdhsa_user_sgpr_queue_ptr 0
		.amdhsa_user_sgpr_kernarg_segment_ptr 1
		.amdhsa_user_sgpr_dispatch_id 0
		.amdhsa_user_sgpr_flat_scratch_init 0
		.amdhsa_user_sgpr_private_segment_size 0
		.amdhsa_uses_dynamic_stack 0
		.amdhsa_system_sgpr_private_segment_wavefront_offset 0
		.amdhsa_system_sgpr_workgroup_id_x 1
		.amdhsa_system_sgpr_workgroup_id_y 0
		.amdhsa_system_sgpr_workgroup_id_z 0
		.amdhsa_system_sgpr_workgroup_info 0
		.amdhsa_system_vgpr_workitem_id 1
		.amdhsa_next_free_vgpr 14
		.amdhsa_next_free_sgpr 20
		.amdhsa_reserve_vcc 1
		.amdhsa_reserve_flat_scratch 0
		.amdhsa_float_round_mode_32 0
		.amdhsa_float_round_mode_16_64 0
		.amdhsa_float_denorm_mode_32 3
		.amdhsa_float_denorm_mode_16_64 3
		.amdhsa_dx10_clamp 1
		.amdhsa_ieee_mode 1
		.amdhsa_fp16_overflow 0
		.amdhsa_exception_fp_ieee_invalid_op 0
		.amdhsa_exception_fp_denorm_src 0
		.amdhsa_exception_fp_ieee_div_zero 0
		.amdhsa_exception_fp_ieee_overflow 0
		.amdhsa_exception_fp_ieee_underflow 0
		.amdhsa_exception_fp_ieee_inexact 0
		.amdhsa_exception_int_div_zero 0
	.end_amdhsa_kernel
	.section	.text._ZL28rocblas_dot_batched_4_kernelIiLi64ELi4ELb1Ef16rocblas_bfloat16PKPKS0_EviT5_lT_lS5_lS6_liPT4_,"axG",@progbits,_ZL28rocblas_dot_batched_4_kernelIiLi64ELi4ELb1Ef16rocblas_bfloat16PKPKS0_EviT5_lT_lS5_lS6_liPT4_,comdat
.Lfunc_end204:
	.size	_ZL28rocblas_dot_batched_4_kernelIiLi64ELi4ELb1Ef16rocblas_bfloat16PKPKS0_EviT5_lT_lS5_lS6_liPT4_, .Lfunc_end204-_ZL28rocblas_dot_batched_4_kernelIiLi64ELi4ELb1Ef16rocblas_bfloat16PKPKS0_EviT5_lT_lS5_lS6_liPT4_
                                        ; -- End function
	.set _ZL28rocblas_dot_batched_4_kernelIiLi64ELi4ELb1Ef16rocblas_bfloat16PKPKS0_EviT5_lT_lS5_lS6_liPT4_.num_vgpr, 14
	.set _ZL28rocblas_dot_batched_4_kernelIiLi64ELi4ELb1Ef16rocblas_bfloat16PKPKS0_EviT5_lT_lS5_lS6_liPT4_.num_agpr, 0
	.set _ZL28rocblas_dot_batched_4_kernelIiLi64ELi4ELb1Ef16rocblas_bfloat16PKPKS0_EviT5_lT_lS5_lS6_liPT4_.numbered_sgpr, 20
	.set _ZL28rocblas_dot_batched_4_kernelIiLi64ELi4ELb1Ef16rocblas_bfloat16PKPKS0_EviT5_lT_lS5_lS6_liPT4_.num_named_barrier, 0
	.set _ZL28rocblas_dot_batched_4_kernelIiLi64ELi4ELb1Ef16rocblas_bfloat16PKPKS0_EviT5_lT_lS5_lS6_liPT4_.private_seg_size, 0
	.set _ZL28rocblas_dot_batched_4_kernelIiLi64ELi4ELb1Ef16rocblas_bfloat16PKPKS0_EviT5_lT_lS5_lS6_liPT4_.uses_vcc, 1
	.set _ZL28rocblas_dot_batched_4_kernelIiLi64ELi4ELb1Ef16rocblas_bfloat16PKPKS0_EviT5_lT_lS5_lS6_liPT4_.uses_flat_scratch, 0
	.set _ZL28rocblas_dot_batched_4_kernelIiLi64ELi4ELb1Ef16rocblas_bfloat16PKPKS0_EviT5_lT_lS5_lS6_liPT4_.has_dyn_sized_stack, 0
	.set _ZL28rocblas_dot_batched_4_kernelIiLi64ELi4ELb1Ef16rocblas_bfloat16PKPKS0_EviT5_lT_lS5_lS6_liPT4_.has_recursion, 0
	.set _ZL28rocblas_dot_batched_4_kernelIiLi64ELi4ELb1Ef16rocblas_bfloat16PKPKS0_EviT5_lT_lS5_lS6_liPT4_.has_indirect_call, 0
	.section	.AMDGPU.csdata,"",@progbits
; Kernel info:
; codeLenInByte = 720
; TotalNumSgprs: 24
; NumVgprs: 14
; ScratchSize: 0
; MemoryBound: 0
; FloatMode: 240
; IeeeMode: 1
; LDSByteSize: 0 bytes/workgroup (compile time only)
; SGPRBlocks: 2
; VGPRBlocks: 3
; NumSGPRsForWavesPerEU: 24
; NumVGPRsForWavesPerEU: 14
; Occupancy: 10
; WaveLimiterHint : 0
; COMPUTE_PGM_RSRC2:SCRATCH_EN: 0
; COMPUTE_PGM_RSRC2:USER_SGPR: 6
; COMPUTE_PGM_RSRC2:TRAP_HANDLER: 0
; COMPUTE_PGM_RSRC2:TGID_X_EN: 1
; COMPUTE_PGM_RSRC2:TGID_Y_EN: 0
; COMPUTE_PGM_RSRC2:TGID_Z_EN: 0
; COMPUTE_PGM_RSRC2:TIDIG_COMP_CNT: 1
	.section	.text._ZL26rocblas_dot_kernel_inc1by2ILb1ELi1024ELi32ELb1E16rocblas_bfloat16PKPKS0_fEviT4_llS5_lliPT5_PT3_,"axG",@progbits,_ZL26rocblas_dot_kernel_inc1by2ILb1ELi1024ELi32ELb1E16rocblas_bfloat16PKPKS0_fEviT4_llS5_lliPT5_PT3_,comdat
	.globl	_ZL26rocblas_dot_kernel_inc1by2ILb1ELi1024ELi32ELb1E16rocblas_bfloat16PKPKS0_fEviT4_llS5_lliPT5_PT3_ ; -- Begin function _ZL26rocblas_dot_kernel_inc1by2ILb1ELi1024ELi32ELb1E16rocblas_bfloat16PKPKS0_fEviT4_llS5_lliPT5_PT3_
	.p2align	8
	.type	_ZL26rocblas_dot_kernel_inc1by2ILb1ELi1024ELi32ELb1E16rocblas_bfloat16PKPKS0_fEviT4_llS5_lliPT5_PT3_,@function
_ZL26rocblas_dot_kernel_inc1by2ILb1ELi1024ELi32ELb1E16rocblas_bfloat16PKPKS0_fEviT4_llS5_lliPT5_PT3_: ; @_ZL26rocblas_dot_kernel_inc1by2ILb1ELi1024ELi32ELb1E16rocblas_bfloat16PKPKS0_fEviT4_llS5_lliPT5_PT3_
; %bb.0:
	s_load_dword s20, s[4:5], 0x0
	s_load_dwordx4 s[0:3], s[4:5], 0x8
	s_load_dwordx2 s[12:13], s[4:5], 0x48
	s_load_dwordx4 s[8:11], s[4:5], 0x20
	s_mov_b32 s6, s7
	s_mov_b32 s7, 0
	s_lshl_b64 s[14:15], s[6:7], 3
	s_waitcnt lgkmcnt(0)
	s_add_u32 s0, s0, s14
	s_addc_u32 s1, s1, s15
	s_load_dwordx2 s[4:5], s[0:1], 0x0
	s_add_u32 s0, s8, s14
	s_addc_u32 s1, s9, s15
	s_load_dwordx2 s[14:15], s[0:1], 0x0
	v_lshlrev_b32_e32 v6, 1, v0
	s_add_i32 s8, s20, -1
	v_cmp_gt_i32_e32 vcc, s8, v6
	v_mov_b32_e32 v5, 0
	s_and_saveexec_b64 s[16:17], vcc
	s_cbranch_execz .LBB205_4
; %bb.1:
	s_lshl_b64 s[0:1], s[10:11], 1
	s_waitcnt lgkmcnt(0)
	s_add_u32 s0, s14, s0
	v_lshlrev_b32_e32 v3, 2, v0
	s_addc_u32 s1, s15, s1
	v_mov_b32_e32 v2, s1
	v_add_co_u32_e32 v1, vcc, s0, v3
	s_lshl_b64 s[0:1], s[2:3], 1
	s_add_u32 s0, s4, s0
	v_addc_co_u32_e32 v2, vcc, 0, v2, vcc
	s_addc_u32 s1, s5, s1
	v_mov_b32_e32 v4, s1
	v_add_co_u32_e32 v3, vcc, s0, v3
	v_mov_b32_e32 v5, 0
	v_addc_co_u32_e32 v4, vcc, 0, v4, vcc
	s_mov_b64 s[18:19], 0
	s_mov_b32 s9, s7
.LBB205_2:                              ; =>This Inner Loop Header: Depth=1
	flat_load_dword v7, v[1:2]
	flat_load_dword v8, v[3:4]
	s_add_i32 s21, s9, 1
	v_add_u32_e32 v6, 0x800, v6
	s_cmp_gt_u32 s9, 30
	v_add_co_u32_e32 v1, vcc, 0x1000, v1
	v_cmp_le_i32_e64 s[0:1], s8, v6
	s_cselect_b64 s[22:23], -1, 0
	v_addc_co_u32_e32 v2, vcc, 0, v2, vcc
	s_or_b64 s[0:1], s[22:23], s[0:1]
	v_add_co_u32_e32 v3, vcc, 0x1000, v3
	s_and_b64 s[0:1], exec, s[0:1]
	s_mov_b32 s9, s21
	v_addc_co_u32_e32 v4, vcc, 0, v4, vcc
	s_or_b64 s[18:19], s[0:1], s[18:19]
	s_waitcnt vmcnt(0) lgkmcnt(0)
	v_and_b32_e32 v9, 0xffff0000, v7
	v_lshlrev_b32_e32 v7, 16, v7
	v_and_b32_e32 v10, 0xffff0000, v8
	v_lshlrev_b32_e32 v8, 16, v8
	v_fmac_f32_e32 v5, v7, v8
	v_fmac_f32_e32 v5, v9, v10
	s_andn2_b64 exec, exec, s[18:19]
	s_cbranch_execnz .LBB205_2
; %bb.3:
	s_or_b64 exec, exec, s[18:19]
.LBB205_4:
	s_or_b64 exec, exec, s[16:17]
	s_bitcmp1_b32 s20, 0
	s_cselect_b64 s[0:1], -1, 0
	v_cmp_eq_u32_e32 vcc, s8, v6
	s_and_b64 s[16:17], s[0:1], vcc
	s_and_saveexec_b64 s[0:1], s[16:17]
	s_cbranch_execz .LBB205_6
; %bb.5:
	s_lshl_b64 s[2:3], s[2:3], 1
	s_waitcnt lgkmcnt(0)
	s_add_u32 s16, s4, s2
	s_addc_u32 s17, s5, s3
	s_lshl_b64 s[2:3], s[10:11], 1
	s_add_u32 s4, s14, s2
	s_mov_b32 s9, 0
	s_addc_u32 s5, s15, s3
	s_lshl_b64 s[2:3], s[8:9], 1
	s_add_u32 s4, s4, s2
	s_addc_u32 s5, s5, s3
	s_add_u32 s2, s16, s2
	s_addc_u32 s3, s17, s3
	v_mov_b32_e32 v4, s3
	v_mov_b32_e32 v1, s4
	;; [unrolled: 1-line block ×4, first 2 shown]
	flat_load_ushort v6, v[3:4]
	flat_load_ushort v7, v[1:2]
	s_waitcnt vmcnt(0) lgkmcnt(0)
	v_lshlrev_b32_e32 v1, 16, v6
	v_lshlrev_b32_e32 v2, 16, v7
	v_fmac_f32_e32 v5, v2, v1
.LBB205_6:
	s_or_b64 exec, exec, s[0:1]
	v_and_b32_e32 v3, 63, v0
	v_cmp_gt_u32_e32 vcc, 64, v0
	v_lshlrev_b32_e32 v1, 2, v3
	s_and_saveexec_b64 s[0:1], vcc
; %bb.7:
	v_mov_b32_e32 v2, 0
	ds_write_b32 v1, v2
; %bb.8:
	s_or_b64 exec, exec, s[0:1]
	v_mbcnt_lo_u32_b32 v2, -1, 0
	v_mbcnt_hi_u32_b32 v6, -1, v2
	v_mov_b32_e32 v2, 0x80
	v_lshl_or_b32 v2, v6, 2, v2
	ds_bpermute_b32 v2, v2, v5
	v_and_b32_e32 v7, 63, v6
	v_cmp_gt_u32_e64 s[0:1], 48, v7
	v_cndmask_b32_e64 v4, 0, 16, s[0:1]
	v_cmp_gt_u32_e64 s[0:1], 56, v7
	s_waitcnt lgkmcnt(0)
	v_add_f32_e32 v5, v5, v2
	v_add_lshl_u32 v2, v4, v6, 2
	ds_bpermute_b32 v4, v2, v5
	v_cndmask_b32_e64 v2, 0, 8, s[0:1]
	v_add_lshl_u32 v2, v2, v6, 2
	v_cmp_gt_u32_e64 s[0:1], 60, v7
	s_waitcnt lgkmcnt(0)
	v_add_f32_e32 v5, v5, v4
	ds_bpermute_b32 v8, v2, v5
	v_cndmask_b32_e64 v4, 0, 4, s[0:1]
	v_add_lshl_u32 v4, v4, v6, 2
	v_cmp_gt_u32_e64 s[0:1], 62, v7
	s_waitcnt lgkmcnt(0)
	s_barrier
	v_add_f32_e32 v8, v5, v8
	ds_bpermute_b32 v9, v4, v8
	v_cndmask_b32_e64 v5, 0, 2, s[0:1]
	v_add_lshl_u32 v5, v5, v6, 2
	v_cmp_ne_u32_e64 s[0:1], 63, v7
	v_addc_co_u32_e64 v6, s[0:1], 0, v6, s[0:1]
	s_waitcnt lgkmcnt(0)
	v_add_f32_e32 v8, v8, v9
	ds_bpermute_b32 v9, v5, v8
	v_lshlrev_b32_e32 v6, 2, v6
	v_cmp_eq_u32_e64 s[0:1], 0, v3
	s_waitcnt lgkmcnt(0)
	v_add_f32_e32 v7, v8, v9
	ds_bpermute_b32 v8, v6, v7
	s_and_saveexec_b64 s[2:3], s[0:1]
	s_cbranch_execz .LBB205_10
; %bb.9:
	s_waitcnt lgkmcnt(0)
	v_add_f32_e32 v3, v7, v8
	v_lshrrev_b32_e32 v7, 4, v0
	v_and_b32_e32 v7, 60, v7
	ds_write_b32 v7, v3
.LBB205_10:
	s_or_b64 exec, exec, s[2:3]
	v_cmp_gt_u32_e64 s[0:1], 16, v0
	v_mov_b32_e32 v3, 0
	s_waitcnt lgkmcnt(0)
	s_barrier
	s_and_saveexec_b64 s[2:3], s[0:1]
	s_cbranch_execnz .LBB205_14
; %bb.11:
	s_or_b64 exec, exec, s[2:3]
	s_and_saveexec_b64 s[0:1], vcc
	s_cbranch_execnz .LBB205_15
.LBB205_12:
	s_or_b64 exec, exec, s[0:1]
	v_cmp_eq_u32_e32 vcc, 0, v0
	s_and_saveexec_b64 s[0:1], vcc
	s_cbranch_execnz .LBB205_16
.LBB205_13:
	s_endpgm
.LBB205_14:
	ds_read_b32 v3, v1
	s_or_b64 exec, exec, s[2:3]
	s_and_saveexec_b64 s[0:1], vcc
	s_cbranch_execz .LBB205_12
.LBB205_15:
	s_waitcnt lgkmcnt(0)
	ds_bpermute_b32 v1, v2, v3
	s_waitcnt lgkmcnt(0)
	v_add_f32_e32 v1, v3, v1
	ds_bpermute_b32 v2, v4, v1
	s_waitcnt lgkmcnt(0)
	v_add_f32_e32 v1, v1, v2
	;; [unrolled: 3-line block ×4, first 2 shown]
	s_or_b64 exec, exec, s[0:1]
	v_cmp_eq_u32_e32 vcc, 0, v0
	s_and_saveexec_b64 s[0:1], vcc
	s_cbranch_execz .LBB205_13
.LBB205_16:
	s_mov_b32 s0, 0x7f800000
	s_waitcnt lgkmcnt(0)
	v_and_b32_e32 v0, 0x7f800000, v3
	v_cmp_ne_u32_e32 vcc, s0, v0
                                        ; implicit-def: $vgpr0
	s_and_saveexec_b64 s[0:1], vcc
	s_xor_b64 s[0:1], exec, s[0:1]
; %bb.17:
	v_bfe_u32 v0, v3, 16, 1
	s_movk_i32 s2, 0x7fff
	v_add3_u32 v0, v3, v0, s2
                                        ; implicit-def: $vgpr3
; %bb.18:
	s_andn2_saveexec_b64 s[0:1], s[0:1]
; %bb.19:
	v_mov_b32_e32 v0, 0
	v_or_b32_e32 v1, 0x10000, v3
	v_cmp_eq_u32_sdwa vcc, v3, v0 src0_sel:WORD_0 src1_sel:DWORD
	v_cndmask_b32_e32 v0, v1, v3, vcc
; %bb.20:
	s_or_b64 exec, exec, s[0:1]
	s_lshl_b64 s[0:1], s[6:7], 1
	s_add_u32 s0, s12, s0
	s_addc_u32 s1, s13, s1
	v_mov_b32_e32 v1, 0
	global_store_short_d16_hi v1, v0, s[0:1]
	s_endpgm
	.section	.rodata,"a",@progbits
	.p2align	6, 0x0
	.amdhsa_kernel _ZL26rocblas_dot_kernel_inc1by2ILb1ELi1024ELi32ELb1E16rocblas_bfloat16PKPKS0_fEviT4_llS5_lliPT5_PT3_
		.amdhsa_group_segment_fixed_size 256
		.amdhsa_private_segment_fixed_size 0
		.amdhsa_kernarg_size 80
		.amdhsa_user_sgpr_count 6
		.amdhsa_user_sgpr_private_segment_buffer 1
		.amdhsa_user_sgpr_dispatch_ptr 0
		.amdhsa_user_sgpr_queue_ptr 0
		.amdhsa_user_sgpr_kernarg_segment_ptr 1
		.amdhsa_user_sgpr_dispatch_id 0
		.amdhsa_user_sgpr_flat_scratch_init 0
		.amdhsa_user_sgpr_private_segment_size 0
		.amdhsa_uses_dynamic_stack 0
		.amdhsa_system_sgpr_private_segment_wavefront_offset 0
		.amdhsa_system_sgpr_workgroup_id_x 1
		.amdhsa_system_sgpr_workgroup_id_y 0
		.amdhsa_system_sgpr_workgroup_id_z 1
		.amdhsa_system_sgpr_workgroup_info 0
		.amdhsa_system_vgpr_workitem_id 0
		.amdhsa_next_free_vgpr 11
		.amdhsa_next_free_sgpr 24
		.amdhsa_reserve_vcc 1
		.amdhsa_reserve_flat_scratch 0
		.amdhsa_float_round_mode_32 0
		.amdhsa_float_round_mode_16_64 0
		.amdhsa_float_denorm_mode_32 3
		.amdhsa_float_denorm_mode_16_64 3
		.amdhsa_dx10_clamp 1
		.amdhsa_ieee_mode 1
		.amdhsa_fp16_overflow 0
		.amdhsa_exception_fp_ieee_invalid_op 0
		.amdhsa_exception_fp_denorm_src 0
		.amdhsa_exception_fp_ieee_div_zero 0
		.amdhsa_exception_fp_ieee_overflow 0
		.amdhsa_exception_fp_ieee_underflow 0
		.amdhsa_exception_fp_ieee_inexact 0
		.amdhsa_exception_int_div_zero 0
	.end_amdhsa_kernel
	.section	.text._ZL26rocblas_dot_kernel_inc1by2ILb1ELi1024ELi32ELb1E16rocblas_bfloat16PKPKS0_fEviT4_llS5_lliPT5_PT3_,"axG",@progbits,_ZL26rocblas_dot_kernel_inc1by2ILb1ELi1024ELi32ELb1E16rocblas_bfloat16PKPKS0_fEviT4_llS5_lliPT5_PT3_,comdat
.Lfunc_end205:
	.size	_ZL26rocblas_dot_kernel_inc1by2ILb1ELi1024ELi32ELb1E16rocblas_bfloat16PKPKS0_fEviT4_llS5_lliPT5_PT3_, .Lfunc_end205-_ZL26rocblas_dot_kernel_inc1by2ILb1ELi1024ELi32ELb1E16rocblas_bfloat16PKPKS0_fEviT4_llS5_lliPT5_PT3_
                                        ; -- End function
	.set _ZL26rocblas_dot_kernel_inc1by2ILb1ELi1024ELi32ELb1E16rocblas_bfloat16PKPKS0_fEviT4_llS5_lliPT5_PT3_.num_vgpr, 11
	.set _ZL26rocblas_dot_kernel_inc1by2ILb1ELi1024ELi32ELb1E16rocblas_bfloat16PKPKS0_fEviT4_llS5_lliPT5_PT3_.num_agpr, 0
	.set _ZL26rocblas_dot_kernel_inc1by2ILb1ELi1024ELi32ELb1E16rocblas_bfloat16PKPKS0_fEviT4_llS5_lliPT5_PT3_.numbered_sgpr, 24
	.set _ZL26rocblas_dot_kernel_inc1by2ILb1ELi1024ELi32ELb1E16rocblas_bfloat16PKPKS0_fEviT4_llS5_lliPT5_PT3_.num_named_barrier, 0
	.set _ZL26rocblas_dot_kernel_inc1by2ILb1ELi1024ELi32ELb1E16rocblas_bfloat16PKPKS0_fEviT4_llS5_lliPT5_PT3_.private_seg_size, 0
	.set _ZL26rocblas_dot_kernel_inc1by2ILb1ELi1024ELi32ELb1E16rocblas_bfloat16PKPKS0_fEviT4_llS5_lliPT5_PT3_.uses_vcc, 1
	.set _ZL26rocblas_dot_kernel_inc1by2ILb1ELi1024ELi32ELb1E16rocblas_bfloat16PKPKS0_fEviT4_llS5_lliPT5_PT3_.uses_flat_scratch, 0
	.set _ZL26rocblas_dot_kernel_inc1by2ILb1ELi1024ELi32ELb1E16rocblas_bfloat16PKPKS0_fEviT4_llS5_lliPT5_PT3_.has_dyn_sized_stack, 0
	.set _ZL26rocblas_dot_kernel_inc1by2ILb1ELi1024ELi32ELb1E16rocblas_bfloat16PKPKS0_fEviT4_llS5_lliPT5_PT3_.has_recursion, 0
	.set _ZL26rocblas_dot_kernel_inc1by2ILb1ELi1024ELi32ELb1E16rocblas_bfloat16PKPKS0_fEviT4_llS5_lliPT5_PT3_.has_indirect_call, 0
	.section	.AMDGPU.csdata,"",@progbits
; Kernel info:
; codeLenInByte = 1032
; TotalNumSgprs: 28
; NumVgprs: 11
; ScratchSize: 0
; MemoryBound: 0
; FloatMode: 240
; IeeeMode: 1
; LDSByteSize: 256 bytes/workgroup (compile time only)
; SGPRBlocks: 3
; VGPRBlocks: 2
; NumSGPRsForWavesPerEU: 28
; NumVGPRsForWavesPerEU: 11
; Occupancy: 10
; WaveLimiterHint : 1
; COMPUTE_PGM_RSRC2:SCRATCH_EN: 0
; COMPUTE_PGM_RSRC2:USER_SGPR: 6
; COMPUTE_PGM_RSRC2:TRAP_HANDLER: 0
; COMPUTE_PGM_RSRC2:TGID_X_EN: 1
; COMPUTE_PGM_RSRC2:TGID_Y_EN: 0
; COMPUTE_PGM_RSRC2:TGID_Z_EN: 1
; COMPUTE_PGM_RSRC2:TIDIG_COMP_CNT: 0
	.section	.text._ZL18rocblas_dot_kernelIiLb1ELi1024ELi32ELb1E16rocblas_bfloat16PKPKS0_fEviT5_lT_lS5_lS6_liPT6_PT4_,"axG",@progbits,_ZL18rocblas_dot_kernelIiLb1ELi1024ELi32ELb1E16rocblas_bfloat16PKPKS0_fEviT5_lT_lS5_lS6_liPT6_PT4_,comdat
	.globl	_ZL18rocblas_dot_kernelIiLb1ELi1024ELi32ELb1E16rocblas_bfloat16PKPKS0_fEviT5_lT_lS5_lS6_liPT6_PT4_ ; -- Begin function _ZL18rocblas_dot_kernelIiLb1ELi1024ELi32ELb1E16rocblas_bfloat16PKPKS0_fEviT5_lT_lS5_lS6_liPT6_PT4_
	.p2align	8
	.type	_ZL18rocblas_dot_kernelIiLb1ELi1024ELi32ELb1E16rocblas_bfloat16PKPKS0_fEviT5_lT_lS5_lS6_liPT6_PT4_,@function
_ZL18rocblas_dot_kernelIiLb1ELi1024ELi32ELb1E16rocblas_bfloat16PKPKS0_fEviT5_lT_lS5_lS6_liPT6_PT4_: ; @_ZL18rocblas_dot_kernelIiLb1ELi1024ELi32ELb1E16rocblas_bfloat16PKPKS0_fEviT5_lT_lS5_lS6_liPT6_PT4_
; %bb.0:
	s_load_dword s14, s[4:5], 0x0
	s_load_dwordx2 s[8:9], s[4:5], 0x58
	s_mov_b32 s6, s7
	s_mov_b32 s7, 0
	v_mov_b32_e32 v5, 0
	s_waitcnt lgkmcnt(0)
	v_cmp_gt_i32_e32 vcc, s14, v0
	s_and_saveexec_b64 s[10:11], vcc
	s_cbranch_execz .LBB206_4
; %bb.1:
	s_load_dwordx4 s[16:19], s[4:5], 0x8
	s_load_dwordx4 s[0:3], s[4:5], 0x28
	s_load_dword s22, s[4:5], 0x18
	s_lshl_b64 s[12:13], s[6:7], 3
	s_waitcnt lgkmcnt(0)
	s_add_u32 s16, s16, s12
	s_addc_u32 s17, s17, s13
	s_load_dwordx2 s[20:21], s[16:17], 0x0
	s_load_dword s23, s[4:5], 0x38
	s_load_dword s15, s[4:5], 0x60
	v_mad_i64_i32 v[1:2], s[4:5], s22, v0, 0
	s_add_u32 s0, s0, s12
	s_addc_u32 s1, s1, s13
	s_waitcnt lgkmcnt(0)
	s_lshl_b32 s15, s15, 10
	s_lshl_b64 s[4:5], s[18:19], 1
	v_lshlrev_b64 v[1:2], 1, v[1:2]
	s_add_u32 s4, s20, s4
	s_addc_u32 s5, s21, s5
	s_load_dwordx2 s[0:1], s[0:1], 0x0
	v_mov_b32_e32 v3, s5
	v_add_co_u32_e32 v1, vcc, s4, v1
	v_addc_co_u32_e32 v2, vcc, v3, v2, vcc
	v_mad_i64_i32 v[3:4], s[4:5], s23, v0, 0
	s_mul_hi_i32 s5, s22, s15
	s_mul_i32 s4, s22, s15
	s_lshl_b64 s[4:5], s[4:5], 1
	s_lshl_b64 s[2:3], s[2:3], 1
	v_lshlrev_b64 v[3:4], 1, v[3:4]
	s_waitcnt lgkmcnt(0)
	s_add_u32 s0, s0, s2
	s_addc_u32 s1, s1, s3
	v_mov_b32_e32 v5, s1
	v_add_co_u32_e32 v3, vcc, s0, v3
	s_mul_hi_i32 s1, s23, s15
	s_mul_i32 s0, s23, s15
	s_lshl_b64 s[2:3], s[0:1], 1
	v_or_b32_e32 v6, s15, v0
	v_addc_co_u32_e32 v4, vcc, v5, v4, vcc
	v_mov_b32_e32 v5, 0
	s_mov_b64 s[12:13], 0
	v_mov_b32_e32 v7, s5
	v_mov_b32_e32 v8, s3
	s_mov_b32 s3, s7
.LBB206_2:                              ; =>This Inner Loop Header: Depth=1
	flat_load_ushort v9, v[1:2]
	flat_load_ushort v10, v[3:4]
	v_add_co_u32_e64 v1, s[0:1], s4, v1
	v_addc_co_u32_e64 v2, s[0:1], v2, v7, s[0:1]
	s_add_i32 s5, s3, 1
	v_add_co_u32_e64 v3, s[0:1], s2, v3
	v_addc_co_u32_e64 v4, s[0:1], v4, v8, s[0:1]
	s_cmp_gt_u32 s3, 30
	v_cmp_le_i32_e32 vcc, s14, v6
	s_cselect_b64 s[0:1], -1, 0
	s_or_b64 s[0:1], s[0:1], vcc
	s_and_b64 s[0:1], exec, s[0:1]
	v_add_u32_e32 v6, s15, v6
	s_mov_b32 s3, s5
	s_or_b64 s[12:13], s[0:1], s[12:13]
	s_waitcnt vmcnt(0) lgkmcnt(0)
	v_lshlrev_b32_e32 v9, 16, v9
	v_lshlrev_b32_e32 v10, 16, v10
	v_fmac_f32_e32 v5, v10, v9
	s_andn2_b64 exec, exec, s[12:13]
	s_cbranch_execnz .LBB206_2
; %bb.3:
	s_or_b64 exec, exec, s[12:13]
.LBB206_4:
	s_or_b64 exec, exec, s[10:11]
	v_and_b32_e32 v3, 63, v0
	v_cmp_gt_u32_e32 vcc, 64, v0
	v_lshlrev_b32_e32 v1, 2, v3
	s_and_saveexec_b64 s[0:1], vcc
; %bb.5:
	v_mov_b32_e32 v2, 0
	ds_write_b32 v1, v2
; %bb.6:
	s_or_b64 exec, exec, s[0:1]
	v_mbcnt_lo_u32_b32 v2, -1, 0
	v_mbcnt_hi_u32_b32 v6, -1, v2
	v_mov_b32_e32 v2, 0x80
	v_lshl_or_b32 v2, v6, 2, v2
	ds_bpermute_b32 v2, v2, v5
	v_and_b32_e32 v7, 63, v6
	v_cmp_gt_u32_e64 s[0:1], 48, v7
	v_cndmask_b32_e64 v4, 0, 16, s[0:1]
	v_cmp_gt_u32_e64 s[0:1], 56, v7
	s_waitcnt lgkmcnt(0)
	v_add_f32_e32 v5, v5, v2
	v_add_lshl_u32 v2, v4, v6, 2
	ds_bpermute_b32 v4, v2, v5
	v_cndmask_b32_e64 v2, 0, 8, s[0:1]
	v_add_lshl_u32 v2, v2, v6, 2
	v_cmp_gt_u32_e64 s[0:1], 60, v7
	s_waitcnt lgkmcnt(0)
	v_add_f32_e32 v5, v5, v4
	ds_bpermute_b32 v8, v2, v5
	v_cndmask_b32_e64 v4, 0, 4, s[0:1]
	v_add_lshl_u32 v4, v4, v6, 2
	v_cmp_gt_u32_e64 s[0:1], 62, v7
	s_waitcnt lgkmcnt(0)
	s_barrier
	v_add_f32_e32 v8, v5, v8
	ds_bpermute_b32 v9, v4, v8
	v_cndmask_b32_e64 v5, 0, 2, s[0:1]
	v_add_lshl_u32 v5, v5, v6, 2
	v_cmp_ne_u32_e64 s[0:1], 63, v7
	v_addc_co_u32_e64 v6, s[0:1], 0, v6, s[0:1]
	s_waitcnt lgkmcnt(0)
	v_add_f32_e32 v8, v8, v9
	ds_bpermute_b32 v9, v5, v8
	v_lshlrev_b32_e32 v6, 2, v6
	v_cmp_eq_u32_e64 s[0:1], 0, v3
	s_waitcnt lgkmcnt(0)
	v_add_f32_e32 v7, v8, v9
	ds_bpermute_b32 v8, v6, v7
	s_and_saveexec_b64 s[2:3], s[0:1]
	s_cbranch_execz .LBB206_8
; %bb.7:
	s_waitcnt lgkmcnt(0)
	v_add_f32_e32 v3, v7, v8
	v_lshrrev_b32_e32 v7, 4, v0
	v_and_b32_e32 v7, 60, v7
	ds_write_b32 v7, v3
.LBB206_8:
	s_or_b64 exec, exec, s[2:3]
	v_cmp_gt_u32_e64 s[0:1], 16, v0
	v_mov_b32_e32 v3, 0
	s_waitcnt lgkmcnt(0)
	s_barrier
	s_and_saveexec_b64 s[2:3], s[0:1]
	s_cbranch_execnz .LBB206_12
; %bb.9:
	s_or_b64 exec, exec, s[2:3]
	s_and_saveexec_b64 s[0:1], vcc
	s_cbranch_execnz .LBB206_13
.LBB206_10:
	s_or_b64 exec, exec, s[0:1]
	v_cmp_eq_u32_e32 vcc, 0, v0
	s_and_saveexec_b64 s[0:1], vcc
	s_cbranch_execnz .LBB206_14
.LBB206_11:
	s_endpgm
.LBB206_12:
	ds_read_b32 v3, v1
	s_or_b64 exec, exec, s[2:3]
	s_and_saveexec_b64 s[0:1], vcc
	s_cbranch_execz .LBB206_10
.LBB206_13:
	s_waitcnt lgkmcnt(0)
	ds_bpermute_b32 v1, v2, v3
	s_waitcnt lgkmcnt(0)
	v_add_f32_e32 v1, v3, v1
	ds_bpermute_b32 v2, v4, v1
	s_waitcnt lgkmcnt(0)
	v_add_f32_e32 v1, v1, v2
	;; [unrolled: 3-line block ×4, first 2 shown]
	s_or_b64 exec, exec, s[0:1]
	v_cmp_eq_u32_e32 vcc, 0, v0
	s_and_saveexec_b64 s[0:1], vcc
	s_cbranch_execz .LBB206_11
.LBB206_14:
	s_mov_b32 s0, 0x7f800000
	s_waitcnt lgkmcnt(0)
	v_and_b32_e32 v0, 0x7f800000, v3
	v_cmp_ne_u32_e32 vcc, s0, v0
                                        ; implicit-def: $vgpr0
	s_and_saveexec_b64 s[0:1], vcc
	s_xor_b64 s[0:1], exec, s[0:1]
; %bb.15:
	v_bfe_u32 v0, v3, 16, 1
	s_movk_i32 s2, 0x7fff
	v_add3_u32 v0, v3, v0, s2
                                        ; implicit-def: $vgpr3
; %bb.16:
	s_andn2_saveexec_b64 s[0:1], s[0:1]
; %bb.17:
	v_mov_b32_e32 v0, 0
	v_or_b32_e32 v1, 0x10000, v3
	v_cmp_eq_u32_sdwa vcc, v3, v0 src0_sel:WORD_0 src1_sel:DWORD
	v_cndmask_b32_e32 v0, v1, v3, vcc
; %bb.18:
	s_or_b64 exec, exec, s[0:1]
	s_lshl_b64 s[0:1], s[6:7], 1
	s_add_u32 s0, s8, s0
	s_addc_u32 s1, s9, s1
	v_mov_b32_e32 v1, 0
	global_store_short_d16_hi v1, v0, s[0:1]
	s_endpgm
	.section	.rodata,"a",@progbits
	.p2align	6, 0x0
	.amdhsa_kernel _ZL18rocblas_dot_kernelIiLb1ELi1024ELi32ELb1E16rocblas_bfloat16PKPKS0_fEviT5_lT_lS5_lS6_liPT6_PT4_
		.amdhsa_group_segment_fixed_size 256
		.amdhsa_private_segment_fixed_size 0
		.amdhsa_kernarg_size 352
		.amdhsa_user_sgpr_count 6
		.amdhsa_user_sgpr_private_segment_buffer 1
		.amdhsa_user_sgpr_dispatch_ptr 0
		.amdhsa_user_sgpr_queue_ptr 0
		.amdhsa_user_sgpr_kernarg_segment_ptr 1
		.amdhsa_user_sgpr_dispatch_id 0
		.amdhsa_user_sgpr_flat_scratch_init 0
		.amdhsa_user_sgpr_private_segment_size 0
		.amdhsa_uses_dynamic_stack 0
		.amdhsa_system_sgpr_private_segment_wavefront_offset 0
		.amdhsa_system_sgpr_workgroup_id_x 1
		.amdhsa_system_sgpr_workgroup_id_y 0
		.amdhsa_system_sgpr_workgroup_id_z 1
		.amdhsa_system_sgpr_workgroup_info 0
		.amdhsa_system_vgpr_workitem_id 0
		.amdhsa_next_free_vgpr 11
		.amdhsa_next_free_sgpr 24
		.amdhsa_reserve_vcc 1
		.amdhsa_reserve_flat_scratch 0
		.amdhsa_float_round_mode_32 0
		.amdhsa_float_round_mode_16_64 0
		.amdhsa_float_denorm_mode_32 3
		.amdhsa_float_denorm_mode_16_64 3
		.amdhsa_dx10_clamp 1
		.amdhsa_ieee_mode 1
		.amdhsa_fp16_overflow 0
		.amdhsa_exception_fp_ieee_invalid_op 0
		.amdhsa_exception_fp_denorm_src 0
		.amdhsa_exception_fp_ieee_div_zero 0
		.amdhsa_exception_fp_ieee_overflow 0
		.amdhsa_exception_fp_ieee_underflow 0
		.amdhsa_exception_fp_ieee_inexact 0
		.amdhsa_exception_int_div_zero 0
	.end_amdhsa_kernel
	.section	.text._ZL18rocblas_dot_kernelIiLb1ELi1024ELi32ELb1E16rocblas_bfloat16PKPKS0_fEviT5_lT_lS5_lS6_liPT6_PT4_,"axG",@progbits,_ZL18rocblas_dot_kernelIiLb1ELi1024ELi32ELb1E16rocblas_bfloat16PKPKS0_fEviT5_lT_lS5_lS6_liPT6_PT4_,comdat
.Lfunc_end206:
	.size	_ZL18rocblas_dot_kernelIiLb1ELi1024ELi32ELb1E16rocblas_bfloat16PKPKS0_fEviT5_lT_lS5_lS6_liPT6_PT4_, .Lfunc_end206-_ZL18rocblas_dot_kernelIiLb1ELi1024ELi32ELb1E16rocblas_bfloat16PKPKS0_fEviT5_lT_lS5_lS6_liPT6_PT4_
                                        ; -- End function
	.set _ZL18rocblas_dot_kernelIiLb1ELi1024ELi32ELb1E16rocblas_bfloat16PKPKS0_fEviT5_lT_lS5_lS6_liPT6_PT4_.num_vgpr, 11
	.set _ZL18rocblas_dot_kernelIiLb1ELi1024ELi32ELb1E16rocblas_bfloat16PKPKS0_fEviT5_lT_lS5_lS6_liPT6_PT4_.num_agpr, 0
	.set _ZL18rocblas_dot_kernelIiLb1ELi1024ELi32ELb1E16rocblas_bfloat16PKPKS0_fEviT5_lT_lS5_lS6_liPT6_PT4_.numbered_sgpr, 24
	.set _ZL18rocblas_dot_kernelIiLb1ELi1024ELi32ELb1E16rocblas_bfloat16PKPKS0_fEviT5_lT_lS5_lS6_liPT6_PT4_.num_named_barrier, 0
	.set _ZL18rocblas_dot_kernelIiLb1ELi1024ELi32ELb1E16rocblas_bfloat16PKPKS0_fEviT5_lT_lS5_lS6_liPT6_PT4_.private_seg_size, 0
	.set _ZL18rocblas_dot_kernelIiLb1ELi1024ELi32ELb1E16rocblas_bfloat16PKPKS0_fEviT5_lT_lS5_lS6_liPT6_PT4_.uses_vcc, 1
	.set _ZL18rocblas_dot_kernelIiLb1ELi1024ELi32ELb1E16rocblas_bfloat16PKPKS0_fEviT5_lT_lS5_lS6_liPT6_PT4_.uses_flat_scratch, 0
	.set _ZL18rocblas_dot_kernelIiLb1ELi1024ELi32ELb1E16rocblas_bfloat16PKPKS0_fEviT5_lT_lS5_lS6_liPT6_PT4_.has_dyn_sized_stack, 0
	.set _ZL18rocblas_dot_kernelIiLb1ELi1024ELi32ELb1E16rocblas_bfloat16PKPKS0_fEviT5_lT_lS5_lS6_liPT6_PT4_.has_recursion, 0
	.set _ZL18rocblas_dot_kernelIiLb1ELi1024ELi32ELb1E16rocblas_bfloat16PKPKS0_fEviT5_lT_lS5_lS6_liPT6_PT4_.has_indirect_call, 0
	.section	.AMDGPU.csdata,"",@progbits
; Kernel info:
; codeLenInByte = 976
; TotalNumSgprs: 28
; NumVgprs: 11
; ScratchSize: 0
; MemoryBound: 0
; FloatMode: 240
; IeeeMode: 1
; LDSByteSize: 256 bytes/workgroup (compile time only)
; SGPRBlocks: 3
; VGPRBlocks: 2
; NumSGPRsForWavesPerEU: 28
; NumVGPRsForWavesPerEU: 11
; Occupancy: 10
; WaveLimiterHint : 0
; COMPUTE_PGM_RSRC2:SCRATCH_EN: 0
; COMPUTE_PGM_RSRC2:USER_SGPR: 6
; COMPUTE_PGM_RSRC2:TRAP_HANDLER: 0
; COMPUTE_PGM_RSRC2:TGID_X_EN: 1
; COMPUTE_PGM_RSRC2:TGID_Y_EN: 0
; COMPUTE_PGM_RSRC2:TGID_Z_EN: 1
; COMPUTE_PGM_RSRC2:TIDIG_COMP_CNT: 0
	.section	.text._ZL24rocblas_dot_kernel_magsqIiLb1ELi1024ELi32ELb1E16rocblas_bfloat16PKPKS0_fEviT5_lT_liPT6_PT4_,"axG",@progbits,_ZL24rocblas_dot_kernel_magsqIiLb1ELi1024ELi32ELb1E16rocblas_bfloat16PKPKS0_fEviT5_lT_liPT6_PT4_,comdat
	.globl	_ZL24rocblas_dot_kernel_magsqIiLb1ELi1024ELi32ELb1E16rocblas_bfloat16PKPKS0_fEviT5_lT_liPT6_PT4_ ; -- Begin function _ZL24rocblas_dot_kernel_magsqIiLb1ELi1024ELi32ELb1E16rocblas_bfloat16PKPKS0_fEviT5_lT_liPT6_PT4_
	.p2align	8
	.type	_ZL24rocblas_dot_kernel_magsqIiLb1ELi1024ELi32ELb1E16rocblas_bfloat16PKPKS0_fEviT5_lT_liPT6_PT4_,@function
_ZL24rocblas_dot_kernel_magsqIiLb1ELi1024ELi32ELb1E16rocblas_bfloat16PKPKS0_fEviT5_lT_liPT6_PT4_: ; @_ZL24rocblas_dot_kernel_magsqIiLb1ELi1024ELi32ELb1E16rocblas_bfloat16PKPKS0_fEviT5_lT_liPT6_PT4_
; %bb.0:
	s_mov_b32 s2, s7
	s_load_dword s12, s[4:5], 0x0
	s_load_dwordx2 s[6:7], s[4:5], 0x38
	s_mov_b32 s3, 0
	v_mov_b32_e32 v3, 0
	s_waitcnt lgkmcnt(0)
	v_cmp_gt_i32_e32 vcc, s12, v0
	s_and_saveexec_b64 s[8:9], vcc
	s_cbranch_execz .LBB207_4
; %bb.1:
	s_load_dwordx4 s[16:19], s[4:5], 0x8
	s_lshl_b64 s[0:1], s[2:3], 3
	s_load_dword s10, s[4:5], 0x18
	s_load_dword s11, s[4:5], 0x40
	s_waitcnt lgkmcnt(0)
	s_add_u32 s0, s16, s0
	s_addc_u32 s1, s17, s1
	s_load_dwordx2 s[0:1], s[0:1], 0x0
	v_mad_i64_i32 v[1:2], s[4:5], s10, v0, 0
	s_lshl_b32 s13, s11, 10
	s_lshl_b64 s[4:5], s[18:19], 1
	v_lshlrev_b64 v[1:2], 1, v[1:2]
	s_waitcnt lgkmcnt(0)
	s_add_u32 s0, s0, s4
	s_addc_u32 s1, s1, s5
	v_mov_b32_e32 v3, s1
	v_add_co_u32_e32 v1, vcc, s0, v1
	s_mul_hi_i32 s1, s10, s13
	s_mul_i32 s0, s10, s13
	s_lshl_b64 s[4:5], s[0:1], 1
	v_or_b32_e32 v4, s13, v0
	v_addc_co_u32_e32 v2, vcc, v3, v2, vcc
	v_mov_b32_e32 v3, 0
	s_mov_b64 s[10:11], 0
	v_mov_b32_e32 v5, s5
	s_mov_b32 s5, s3
.LBB207_2:                              ; =>This Inner Loop Header: Depth=1
	flat_load_ushort v6, v[1:2]
	s_add_i32 s14, s5, 1
	v_add_co_u32_e64 v1, s[0:1], s4, v1
	v_addc_co_u32_e64 v2, s[0:1], v2, v5, s[0:1]
	s_cmp_gt_u32 s5, 30
	v_cmp_le_i32_e32 vcc, s12, v4
	s_cselect_b64 s[0:1], -1, 0
	s_or_b64 s[0:1], s[0:1], vcc
	s_and_b64 s[0:1], exec, s[0:1]
	v_add_u32_e32 v4, s13, v4
	s_mov_b32 s5, s14
	s_or_b64 s[10:11], s[0:1], s[10:11]
	s_waitcnt vmcnt(0) lgkmcnt(0)
	v_lshlrev_b32_e32 v6, 16, v6
	v_fmac_f32_e32 v3, v6, v6
	s_andn2_b64 exec, exec, s[10:11]
	s_cbranch_execnz .LBB207_2
; %bb.3:
	s_or_b64 exec, exec, s[10:11]
.LBB207_4:
	s_or_b64 exec, exec, s[8:9]
	v_and_b32_e32 v5, 63, v0
	v_cmp_gt_u32_e32 vcc, 64, v0
	v_lshlrev_b32_e32 v1, 2, v5
	s_and_saveexec_b64 s[0:1], vcc
; %bb.5:
	v_mov_b32_e32 v2, 0
	ds_write_b32 v1, v2
; %bb.6:
	s_or_b64 exec, exec, s[0:1]
	v_mbcnt_lo_u32_b32 v2, -1, 0
	v_mbcnt_hi_u32_b32 v7, -1, v2
	v_mov_b32_e32 v2, 0x80
	v_lshl_or_b32 v2, v7, 2, v2
	ds_bpermute_b32 v2, v2, v3
	v_and_b32_e32 v8, 63, v7
	v_cmp_gt_u32_e64 s[0:1], 48, v8
	v_cndmask_b32_e64 v4, 0, 16, s[0:1]
	v_cmp_gt_u32_e64 s[0:1], 56, v8
	s_waitcnt lgkmcnt(0)
	v_add_f32_e32 v3, v3, v2
	v_add_lshl_u32 v2, v4, v7, 2
	ds_bpermute_b32 v4, v2, v3
	v_cndmask_b32_e64 v2, 0, 8, s[0:1]
	v_add_lshl_u32 v2, v2, v7, 2
	v_cmp_gt_u32_e64 s[0:1], 60, v8
	s_waitcnt lgkmcnt(0)
	v_add_f32_e32 v3, v3, v4
	ds_bpermute_b32 v6, v2, v3
	v_cndmask_b32_e64 v4, 0, 4, s[0:1]
	v_add_lshl_u32 v4, v4, v7, 2
	v_cmp_gt_u32_e64 s[0:1], 62, v8
	s_waitcnt lgkmcnt(0)
	s_barrier
	v_add_f32_e32 v3, v3, v6
	ds_bpermute_b32 v9, v4, v3
	v_cndmask_b32_e64 v6, 0, 2, s[0:1]
	v_add_lshl_u32 v6, v6, v7, 2
	v_cmp_ne_u32_e64 s[0:1], 63, v8
	v_addc_co_u32_e64 v7, s[0:1], 0, v7, s[0:1]
	s_waitcnt lgkmcnt(0)
	v_add_f32_e32 v3, v3, v9
	ds_bpermute_b32 v9, v6, v3
	v_lshlrev_b32_e32 v7, 2, v7
	v_cmp_eq_u32_e64 s[0:1], 0, v5
	s_waitcnt lgkmcnt(0)
	v_add_f32_e32 v3, v3, v9
	ds_bpermute_b32 v8, v7, v3
	s_and_saveexec_b64 s[4:5], s[0:1]
	s_cbranch_execz .LBB207_8
; %bb.7:
	v_lshrrev_b32_e32 v5, 4, v0
	s_waitcnt lgkmcnt(0)
	v_add_f32_e32 v3, v3, v8
	v_and_b32_e32 v5, 60, v5
	ds_write_b32 v5, v3
.LBB207_8:
	s_or_b64 exec, exec, s[4:5]
	v_cmp_gt_u32_e64 s[0:1], 16, v0
	v_mov_b32_e32 v3, 0
	s_waitcnt lgkmcnt(0)
	s_barrier
	s_and_saveexec_b64 s[4:5], s[0:1]
	s_cbranch_execnz .LBB207_12
; %bb.9:
	s_or_b64 exec, exec, s[4:5]
	s_and_saveexec_b64 s[0:1], vcc
	s_cbranch_execnz .LBB207_13
.LBB207_10:
	s_or_b64 exec, exec, s[0:1]
	v_cmp_eq_u32_e32 vcc, 0, v0
	s_and_saveexec_b64 s[0:1], vcc
	s_cbranch_execnz .LBB207_14
.LBB207_11:
	s_endpgm
.LBB207_12:
	ds_read_b32 v3, v1
	s_or_b64 exec, exec, s[4:5]
	s_and_saveexec_b64 s[0:1], vcc
	s_cbranch_execz .LBB207_10
.LBB207_13:
	s_waitcnt lgkmcnt(0)
	ds_bpermute_b32 v1, v2, v3
	s_waitcnt lgkmcnt(0)
	v_add_f32_e32 v1, v3, v1
	ds_bpermute_b32 v2, v4, v1
	s_waitcnt lgkmcnt(0)
	v_add_f32_e32 v1, v1, v2
	ds_bpermute_b32 v2, v6, v1
	s_waitcnt lgkmcnt(0)
	v_add_f32_e32 v1, v1, v2
	ds_bpermute_b32 v2, v7, v1
	s_waitcnt lgkmcnt(0)
	v_add_f32_e32 v3, v1, v2
	s_or_b64 exec, exec, s[0:1]
	v_cmp_eq_u32_e32 vcc, 0, v0
	s_and_saveexec_b64 s[0:1], vcc
	s_cbranch_execz .LBB207_11
.LBB207_14:
	s_mov_b32 s0, 0x7f800000
	s_waitcnt lgkmcnt(0)
	v_and_b32_e32 v0, 0x7f800000, v3
	v_cmp_ne_u32_e32 vcc, s0, v0
                                        ; implicit-def: $vgpr0
	s_and_saveexec_b64 s[0:1], vcc
	s_xor_b64 s[0:1], exec, s[0:1]
; %bb.15:
	v_bfe_u32 v0, v3, 16, 1
	s_movk_i32 s4, 0x7fff
	v_add3_u32 v0, v3, v0, s4
                                        ; implicit-def: $vgpr3
; %bb.16:
	s_andn2_saveexec_b64 s[0:1], s[0:1]
; %bb.17:
	v_mov_b32_e32 v0, 0
	v_or_b32_e32 v1, 0x10000, v3
	v_cmp_eq_u32_sdwa vcc, v3, v0 src0_sel:WORD_0 src1_sel:DWORD
	v_cndmask_b32_e32 v0, v1, v3, vcc
; %bb.18:
	s_or_b64 exec, exec, s[0:1]
	s_lshl_b64 s[0:1], s[2:3], 1
	s_add_u32 s0, s6, s0
	s_addc_u32 s1, s7, s1
	v_mov_b32_e32 v1, 0
	global_store_short_d16_hi v1, v0, s[0:1]
	s_endpgm
	.section	.rodata,"a",@progbits
	.p2align	6, 0x0
	.amdhsa_kernel _ZL24rocblas_dot_kernel_magsqIiLb1ELi1024ELi32ELb1E16rocblas_bfloat16PKPKS0_fEviT5_lT_liPT6_PT4_
		.amdhsa_group_segment_fixed_size 256
		.amdhsa_private_segment_fixed_size 0
		.amdhsa_kernarg_size 320
		.amdhsa_user_sgpr_count 6
		.amdhsa_user_sgpr_private_segment_buffer 1
		.amdhsa_user_sgpr_dispatch_ptr 0
		.amdhsa_user_sgpr_queue_ptr 0
		.amdhsa_user_sgpr_kernarg_segment_ptr 1
		.amdhsa_user_sgpr_dispatch_id 0
		.amdhsa_user_sgpr_flat_scratch_init 0
		.amdhsa_user_sgpr_private_segment_size 0
		.amdhsa_uses_dynamic_stack 0
		.amdhsa_system_sgpr_private_segment_wavefront_offset 0
		.amdhsa_system_sgpr_workgroup_id_x 1
		.amdhsa_system_sgpr_workgroup_id_y 0
		.amdhsa_system_sgpr_workgroup_id_z 1
		.amdhsa_system_sgpr_workgroup_info 0
		.amdhsa_system_vgpr_workitem_id 0
		.amdhsa_next_free_vgpr 10
		.amdhsa_next_free_sgpr 20
		.amdhsa_reserve_vcc 1
		.amdhsa_reserve_flat_scratch 0
		.amdhsa_float_round_mode_32 0
		.amdhsa_float_round_mode_16_64 0
		.amdhsa_float_denorm_mode_32 3
		.amdhsa_float_denorm_mode_16_64 3
		.amdhsa_dx10_clamp 1
		.amdhsa_ieee_mode 1
		.amdhsa_fp16_overflow 0
		.amdhsa_exception_fp_ieee_invalid_op 0
		.amdhsa_exception_fp_denorm_src 0
		.amdhsa_exception_fp_ieee_div_zero 0
		.amdhsa_exception_fp_ieee_overflow 0
		.amdhsa_exception_fp_ieee_underflow 0
		.amdhsa_exception_fp_ieee_inexact 0
		.amdhsa_exception_int_div_zero 0
	.end_amdhsa_kernel
	.section	.text._ZL24rocblas_dot_kernel_magsqIiLb1ELi1024ELi32ELb1E16rocblas_bfloat16PKPKS0_fEviT5_lT_liPT6_PT4_,"axG",@progbits,_ZL24rocblas_dot_kernel_magsqIiLb1ELi1024ELi32ELb1E16rocblas_bfloat16PKPKS0_fEviT5_lT_liPT6_PT4_,comdat
.Lfunc_end207:
	.size	_ZL24rocblas_dot_kernel_magsqIiLb1ELi1024ELi32ELb1E16rocblas_bfloat16PKPKS0_fEviT5_lT_liPT6_PT4_, .Lfunc_end207-_ZL24rocblas_dot_kernel_magsqIiLb1ELi1024ELi32ELb1E16rocblas_bfloat16PKPKS0_fEviT5_lT_liPT6_PT4_
                                        ; -- End function
	.set _ZL24rocblas_dot_kernel_magsqIiLb1ELi1024ELi32ELb1E16rocblas_bfloat16PKPKS0_fEviT5_lT_liPT6_PT4_.num_vgpr, 10
	.set _ZL24rocblas_dot_kernel_magsqIiLb1ELi1024ELi32ELb1E16rocblas_bfloat16PKPKS0_fEviT5_lT_liPT6_PT4_.num_agpr, 0
	.set _ZL24rocblas_dot_kernel_magsqIiLb1ELi1024ELi32ELb1E16rocblas_bfloat16PKPKS0_fEviT5_lT_liPT6_PT4_.numbered_sgpr, 20
	.set _ZL24rocblas_dot_kernel_magsqIiLb1ELi1024ELi32ELb1E16rocblas_bfloat16PKPKS0_fEviT5_lT_liPT6_PT4_.num_named_barrier, 0
	.set _ZL24rocblas_dot_kernel_magsqIiLb1ELi1024ELi32ELb1E16rocblas_bfloat16PKPKS0_fEviT5_lT_liPT6_PT4_.private_seg_size, 0
	.set _ZL24rocblas_dot_kernel_magsqIiLb1ELi1024ELi32ELb1E16rocblas_bfloat16PKPKS0_fEviT5_lT_liPT6_PT4_.uses_vcc, 1
	.set _ZL24rocblas_dot_kernel_magsqIiLb1ELi1024ELi32ELb1E16rocblas_bfloat16PKPKS0_fEviT5_lT_liPT6_PT4_.uses_flat_scratch, 0
	.set _ZL24rocblas_dot_kernel_magsqIiLb1ELi1024ELi32ELb1E16rocblas_bfloat16PKPKS0_fEviT5_lT_liPT6_PT4_.has_dyn_sized_stack, 0
	.set _ZL24rocblas_dot_kernel_magsqIiLb1ELi1024ELi32ELb1E16rocblas_bfloat16PKPKS0_fEviT5_lT_liPT6_PT4_.has_recursion, 0
	.set _ZL24rocblas_dot_kernel_magsqIiLb1ELi1024ELi32ELb1E16rocblas_bfloat16PKPKS0_fEviT5_lT_liPT6_PT4_.has_indirect_call, 0
	.section	.AMDGPU.csdata,"",@progbits
; Kernel info:
; codeLenInByte = 856
; TotalNumSgprs: 24
; NumVgprs: 10
; ScratchSize: 0
; MemoryBound: 0
; FloatMode: 240
; IeeeMode: 1
; LDSByteSize: 256 bytes/workgroup (compile time only)
; SGPRBlocks: 2
; VGPRBlocks: 2
; NumSGPRsForWavesPerEU: 24
; NumVGPRsForWavesPerEU: 10
; Occupancy: 10
; WaveLimiterHint : 0
; COMPUTE_PGM_RSRC2:SCRATCH_EN: 0
; COMPUTE_PGM_RSRC2:USER_SGPR: 6
; COMPUTE_PGM_RSRC2:TRAP_HANDLER: 0
; COMPUTE_PGM_RSRC2:TGID_X_EN: 1
; COMPUTE_PGM_RSRC2:TGID_Y_EN: 0
; COMPUTE_PGM_RSRC2:TGID_Z_EN: 1
; COMPUTE_PGM_RSRC2:TIDIG_COMP_CNT: 0
	.section	.text._ZL38rocblas_dot_kernel_gfx942_float_doubleIiLi1024E16rocblas_bfloat16PKPKS0_fEviT2_lT_lS5_lS6_lPT3_PT1_,"axG",@progbits,_ZL38rocblas_dot_kernel_gfx942_float_doubleIiLi1024E16rocblas_bfloat16PKPKS0_fEviT2_lT_lS5_lS6_lPT3_PT1_,comdat
	.globl	_ZL38rocblas_dot_kernel_gfx942_float_doubleIiLi1024E16rocblas_bfloat16PKPKS0_fEviT2_lT_lS5_lS6_lPT3_PT1_ ; -- Begin function _ZL38rocblas_dot_kernel_gfx942_float_doubleIiLi1024E16rocblas_bfloat16PKPKS0_fEviT2_lT_lS5_lS6_lPT3_PT1_
	.p2align	8
	.type	_ZL38rocblas_dot_kernel_gfx942_float_doubleIiLi1024E16rocblas_bfloat16PKPKS0_fEviT2_lT_lS5_lS6_lPT3_PT1_,@function
_ZL38rocblas_dot_kernel_gfx942_float_doubleIiLi1024E16rocblas_bfloat16PKPKS0_fEviT2_lT_lS5_lS6_lPT3_PT1_: ; @_ZL38rocblas_dot_kernel_gfx942_float_doubleIiLi1024E16rocblas_bfloat16PKPKS0_fEviT2_lT_lS5_lS6_lPT3_PT1_
; %bb.0:
	s_endpgm
	.section	.rodata,"a",@progbits
	.p2align	6, 0x0
	.amdhsa_kernel _ZL38rocblas_dot_kernel_gfx942_float_doubleIiLi1024E16rocblas_bfloat16PKPKS0_fEviT2_lT_lS5_lS6_lPT3_PT1_
		.amdhsa_group_segment_fixed_size 0
		.amdhsa_private_segment_fixed_size 0
		.amdhsa_kernarg_size 88
		.amdhsa_user_sgpr_count 6
		.amdhsa_user_sgpr_private_segment_buffer 1
		.amdhsa_user_sgpr_dispatch_ptr 0
		.amdhsa_user_sgpr_queue_ptr 0
		.amdhsa_user_sgpr_kernarg_segment_ptr 1
		.amdhsa_user_sgpr_dispatch_id 0
		.amdhsa_user_sgpr_flat_scratch_init 0
		.amdhsa_user_sgpr_private_segment_size 0
		.amdhsa_uses_dynamic_stack 0
		.amdhsa_system_sgpr_private_segment_wavefront_offset 0
		.amdhsa_system_sgpr_workgroup_id_x 1
		.amdhsa_system_sgpr_workgroup_id_y 0
		.amdhsa_system_sgpr_workgroup_id_z 0
		.amdhsa_system_sgpr_workgroup_info 0
		.amdhsa_system_vgpr_workitem_id 0
		.amdhsa_next_free_vgpr 1
		.amdhsa_next_free_sgpr 0
		.amdhsa_reserve_vcc 0
		.amdhsa_reserve_flat_scratch 0
		.amdhsa_float_round_mode_32 0
		.amdhsa_float_round_mode_16_64 0
		.amdhsa_float_denorm_mode_32 3
		.amdhsa_float_denorm_mode_16_64 3
		.amdhsa_dx10_clamp 1
		.amdhsa_ieee_mode 1
		.amdhsa_fp16_overflow 0
		.amdhsa_exception_fp_ieee_invalid_op 0
		.amdhsa_exception_fp_denorm_src 0
		.amdhsa_exception_fp_ieee_div_zero 0
		.amdhsa_exception_fp_ieee_overflow 0
		.amdhsa_exception_fp_ieee_underflow 0
		.amdhsa_exception_fp_ieee_inexact 0
		.amdhsa_exception_int_div_zero 0
	.end_amdhsa_kernel
	.section	.text._ZL38rocblas_dot_kernel_gfx942_float_doubleIiLi1024E16rocblas_bfloat16PKPKS0_fEviT2_lT_lS5_lS6_lPT3_PT1_,"axG",@progbits,_ZL38rocblas_dot_kernel_gfx942_float_doubleIiLi1024E16rocblas_bfloat16PKPKS0_fEviT2_lT_lS5_lS6_lPT3_PT1_,comdat
.Lfunc_end208:
	.size	_ZL38rocblas_dot_kernel_gfx942_float_doubleIiLi1024E16rocblas_bfloat16PKPKS0_fEviT2_lT_lS5_lS6_lPT3_PT1_, .Lfunc_end208-_ZL38rocblas_dot_kernel_gfx942_float_doubleIiLi1024E16rocblas_bfloat16PKPKS0_fEviT2_lT_lS5_lS6_lPT3_PT1_
                                        ; -- End function
	.set _ZL38rocblas_dot_kernel_gfx942_float_doubleIiLi1024E16rocblas_bfloat16PKPKS0_fEviT2_lT_lS5_lS6_lPT3_PT1_.num_vgpr, 0
	.set _ZL38rocblas_dot_kernel_gfx942_float_doubleIiLi1024E16rocblas_bfloat16PKPKS0_fEviT2_lT_lS5_lS6_lPT3_PT1_.num_agpr, 0
	.set _ZL38rocblas_dot_kernel_gfx942_float_doubleIiLi1024E16rocblas_bfloat16PKPKS0_fEviT2_lT_lS5_lS6_lPT3_PT1_.numbered_sgpr, 0
	.set _ZL38rocblas_dot_kernel_gfx942_float_doubleIiLi1024E16rocblas_bfloat16PKPKS0_fEviT2_lT_lS5_lS6_lPT3_PT1_.num_named_barrier, 0
	.set _ZL38rocblas_dot_kernel_gfx942_float_doubleIiLi1024E16rocblas_bfloat16PKPKS0_fEviT2_lT_lS5_lS6_lPT3_PT1_.private_seg_size, 0
	.set _ZL38rocblas_dot_kernel_gfx942_float_doubleIiLi1024E16rocblas_bfloat16PKPKS0_fEviT2_lT_lS5_lS6_lPT3_PT1_.uses_vcc, 0
	.set _ZL38rocblas_dot_kernel_gfx942_float_doubleIiLi1024E16rocblas_bfloat16PKPKS0_fEviT2_lT_lS5_lS6_lPT3_PT1_.uses_flat_scratch, 0
	.set _ZL38rocblas_dot_kernel_gfx942_float_doubleIiLi1024E16rocblas_bfloat16PKPKS0_fEviT2_lT_lS5_lS6_lPT3_PT1_.has_dyn_sized_stack, 0
	.set _ZL38rocblas_dot_kernel_gfx942_float_doubleIiLi1024E16rocblas_bfloat16PKPKS0_fEviT2_lT_lS5_lS6_lPT3_PT1_.has_recursion, 0
	.set _ZL38rocblas_dot_kernel_gfx942_float_doubleIiLi1024E16rocblas_bfloat16PKPKS0_fEviT2_lT_lS5_lS6_lPT3_PT1_.has_indirect_call, 0
	.section	.AMDGPU.csdata,"",@progbits
; Kernel info:
; codeLenInByte = 4
; TotalNumSgprs: 4
; NumVgprs: 0
; ScratchSize: 0
; MemoryBound: 0
; FloatMode: 240
; IeeeMode: 1
; LDSByteSize: 0 bytes/workgroup (compile time only)
; SGPRBlocks: 0
; VGPRBlocks: 0
; NumSGPRsForWavesPerEU: 4
; NumVGPRsForWavesPerEU: 1
; Occupancy: 10
; WaveLimiterHint : 0
; COMPUTE_PGM_RSRC2:SCRATCH_EN: 0
; COMPUTE_PGM_RSRC2:USER_SGPR: 6
; COMPUTE_PGM_RSRC2:TRAP_HANDLER: 0
; COMPUTE_PGM_RSRC2:TGID_X_EN: 1
; COMPUTE_PGM_RSRC2:TGID_Y_EN: 0
; COMPUTE_PGM_RSRC2:TGID_Z_EN: 0
; COMPUTE_PGM_RSRC2:TIDIG_COMP_CNT: 0
	.section	.text._ZL23rocblas_dot_kernel_inc1ILb0ELi512ELi8ELb1E16rocblas_bfloat16PKPKS0_fEviT4_llS5_lliPT5_PT3_,"axG",@progbits,_ZL23rocblas_dot_kernel_inc1ILb0ELi512ELi8ELb1E16rocblas_bfloat16PKPKS0_fEviT4_llS5_lliPT5_PT3_,comdat
	.globl	_ZL23rocblas_dot_kernel_inc1ILb0ELi512ELi8ELb1E16rocblas_bfloat16PKPKS0_fEviT4_llS5_lliPT5_PT3_ ; -- Begin function _ZL23rocblas_dot_kernel_inc1ILb0ELi512ELi8ELb1E16rocblas_bfloat16PKPKS0_fEviT4_llS5_lliPT5_PT3_
	.p2align	8
	.type	_ZL23rocblas_dot_kernel_inc1ILb0ELi512ELi8ELb1E16rocblas_bfloat16PKPKS0_fEviT4_llS5_lliPT5_PT3_,@function
_ZL23rocblas_dot_kernel_inc1ILb0ELi512ELi8ELb1E16rocblas_bfloat16PKPKS0_fEviT4_llS5_lliPT5_PT3_: ; @_ZL23rocblas_dot_kernel_inc1ILb0ELi512ELi8ELb1E16rocblas_bfloat16PKPKS0_fEviT4_llS5_lliPT5_PT3_
; %bb.0:
	s_mov_b32 s2, s7
	s_load_dword s18, s[4:5], 0x50
	s_load_dword s7, s[4:5], 0x0
	s_load_dwordx4 s[8:11], s[4:5], 0x40
	v_lshl_or_b32 v3, s6, 9, v0
	s_mov_b32 s3, 0
	v_mov_b32_e32 v5, 0
	s_waitcnt lgkmcnt(0)
	v_cmp_gt_i32_e32 vcc, s7, v3
	s_and_saveexec_b64 s[12:13], vcc
	s_cbranch_execz .LBB209_4
; %bb.1:
	s_load_dwordx4 s[20:23], s[4:5], 0x8
	s_load_dwordx4 s[24:27], s[4:5], 0x20
	s_lshl_b64 s[0:1], s[2:3], 3
	v_ashrrev_i32_e32 v4, 31, v3
	v_lshlrev_b64 v[1:2], 1, v[3:4]
	s_waitcnt lgkmcnt(0)
	s_add_u32 s4, s20, s0
	s_addc_u32 s5, s21, s1
	s_load_dwordx2 s[4:5], s[4:5], 0x0
	s_lshl_b64 s[14:15], s[22:23], 1
	v_mov_b32_e32 v5, 0
	s_waitcnt lgkmcnt(0)
	s_add_u32 s19, s4, s14
	s_addc_u32 s14, s5, s15
	s_add_u32 s0, s24, s0
	s_addc_u32 s1, s25, s1
	s_load_dwordx2 s[0:1], s[0:1], 0x0
	v_mov_b32_e32 v4, s14
	s_lshl_b64 s[14:15], s[26:27], 1
	s_mov_b64 s[4:5], 0
	s_waitcnt lgkmcnt(0)
	s_add_u32 s20, s0, s14
	s_addc_u32 s0, s1, s15
	s_lshl_b32 s14, s18, 9
	s_ashr_i32 s15, s14, 31
	s_lshl_b64 s[16:17], s[14:15], 1
	v_add_u32_e32 v3, s14, v3
	v_mov_b32_e32 v6, s0
	v_mov_b32_e32 v7, s17
	s_mov_b32 s15, s3
.LBB209_2:                              ; =>This Inner Loop Header: Depth=1
	v_add_co_u32_e32 v8, vcc, s20, v1
	v_addc_co_u32_e32 v9, vcc, v6, v2, vcc
	v_add_co_u32_e32 v10, vcc, s19, v1
	v_addc_co_u32_e32 v11, vcc, v4, v2, vcc
	flat_load_ushort v12, v[10:11]
	flat_load_ushort v13, v[8:9]
	s_add_i32 s17, s15, 1
	v_add_co_u32_e64 v1, s[0:1], s16, v1
	v_addc_co_u32_e64 v2, s[0:1], v2, v7, s[0:1]
	s_cmp_gt_u32 s15, 6
	v_cmp_le_i32_e32 vcc, s7, v3
	s_cselect_b64 s[0:1], -1, 0
	s_or_b64 s[0:1], s[0:1], vcc
	s_and_b64 s[0:1], exec, s[0:1]
	v_add_u32_e32 v3, s14, v3
	s_mov_b32 s15, s17
	s_or_b64 s[4:5], s[0:1], s[4:5]
	s_waitcnt vmcnt(0) lgkmcnt(0)
	v_lshlrev_b32_e32 v8, 16, v12
	v_lshlrev_b32_e32 v9, 16, v13
	v_fmac_f32_e32 v5, v9, v8
	s_andn2_b64 exec, exec, s[4:5]
	s_cbranch_execnz .LBB209_2
; %bb.3:
	s_or_b64 exec, exec, s[4:5]
.LBB209_4:
	s_or_b64 exec, exec, s[12:13]
	v_and_b32_e32 v1, 63, v0
	v_cmp_gt_u32_e32 vcc, 64, v0
	v_lshlrev_b32_e32 v2, 2, v1
	s_and_saveexec_b64 s[0:1], vcc
; %bb.5:
	v_mov_b32_e32 v3, 0
	ds_write_b32 v2, v3
; %bb.6:
	s_or_b64 exec, exec, s[0:1]
	v_mbcnt_lo_u32_b32 v3, -1, 0
	v_mbcnt_hi_u32_b32 v6, -1, v3
	v_mov_b32_e32 v3, 0x80
	v_lshl_or_b32 v3, v6, 2, v3
	ds_bpermute_b32 v3, v3, v5
	v_and_b32_e32 v7, 63, v6
	v_cmp_gt_u32_e64 s[0:1], 48, v7
	v_cndmask_b32_e64 v4, 0, 16, s[0:1]
	v_add_lshl_u32 v4, v4, v6, 2
	s_waitcnt lgkmcnt(0)
	v_add_f32_e32 v3, v5, v3
	ds_bpermute_b32 v4, v4, v3
	v_cmp_gt_u32_e64 s[0:1], 56, v7
	v_cndmask_b32_e64 v5, 0, 8, s[0:1]
	v_add_lshl_u32 v5, v5, v6, 2
	v_cmp_gt_u32_e64 s[0:1], 60, v7
	s_waitcnt lgkmcnt(0)
	v_add_f32_e32 v4, v3, v4
	ds_bpermute_b32 v5, v5, v4
	v_cndmask_b32_e64 v3, 0, 4, s[0:1]
	v_add_lshl_u32 v3, v3, v6, 2
	v_cmp_gt_u32_e64 s[0:1], 62, v7
	s_waitcnt lgkmcnt(0)
	v_add_f32_e32 v5, v4, v5
	ds_bpermute_b32 v8, v3, v5
	v_cndmask_b32_e64 v4, 0, 2, s[0:1]
	v_add_lshl_u32 v4, v4, v6, 2
	v_cmp_ne_u32_e64 s[0:1], 63, v7
	v_addc_co_u32_e64 v7, s[0:1], 0, v6, s[0:1]
	s_waitcnt lgkmcnt(0)
	v_add_f32_e32 v5, v5, v8
	ds_bpermute_b32 v8, v4, v5
	v_cmp_eq_u32_e64 s[0:1], 0, v1
	s_waitcnt lgkmcnt(0)
	s_barrier
	v_add_f32_e32 v6, v5, v8
	v_lshlrev_b32_e32 v5, 2, v7
	ds_bpermute_b32 v7, v5, v6
	s_and_saveexec_b64 s[4:5], s[0:1]
	s_cbranch_execz .LBB209_8
; %bb.7:
	s_waitcnt lgkmcnt(0)
	v_add_f32_e32 v1, v6, v7
	v_lshrrev_b32_e32 v6, 4, v0
	v_and_b32_e32 v6, 28, v6
	ds_write_b32 v6, v1
.LBB209_8:
	s_or_b64 exec, exec, s[4:5]
	v_cmp_gt_u32_e64 s[0:1], 8, v0
	v_mov_b32_e32 v1, 0
	s_waitcnt lgkmcnt(0)
	s_barrier
	s_and_saveexec_b64 s[4:5], s[0:1]
	s_cbranch_execnz .LBB209_12
; %bb.9:
	s_or_b64 exec, exec, s[4:5]
	s_and_saveexec_b64 s[0:1], vcc
	s_cbranch_execnz .LBB209_13
.LBB209_10:
	s_or_b64 exec, exec, s[0:1]
	v_cmp_eq_u32_e32 vcc, 0, v0
	s_and_saveexec_b64 s[0:1], vcc
	s_cbranch_execnz .LBB209_14
.LBB209_11:
	s_endpgm
.LBB209_12:
	ds_read_b32 v1, v2
	s_or_b64 exec, exec, s[4:5]
	s_and_saveexec_b64 s[0:1], vcc
	s_cbranch_execz .LBB209_10
.LBB209_13:
	s_waitcnt lgkmcnt(0)
	ds_bpermute_b32 v2, v3, v1
	s_waitcnt lgkmcnt(0)
	v_add_f32_e32 v1, v1, v2
	ds_bpermute_b32 v2, v4, v1
	s_waitcnt lgkmcnt(0)
	v_add_f32_e32 v1, v1, v2
	;; [unrolled: 3-line block ×3, first 2 shown]
	s_or_b64 exec, exec, s[0:1]
	v_cmp_eq_u32_e32 vcc, 0, v0
	s_and_saveexec_b64 s[0:1], vcc
	s_cbranch_execz .LBB209_11
.LBB209_14:
	s_cmp_lg_u32 s18, 1
	s_mov_b64 s[0:1], -1
	s_cbranch_scc0 .LBB209_16
; %bb.15:
	s_mul_hi_u32 s1, s18, s2
	s_mul_i32 s0, s18, s2
	s_lshl_b64 s[0:1], s[0:1], 2
	s_mov_b32 s7, 0
	s_add_u32 s4, s8, s0
	s_addc_u32 s5, s9, s1
	s_lshl_b64 s[0:1], s[6:7], 2
	s_add_u32 s0, s4, s0
	s_addc_u32 s1, s5, s1
	v_mov_b32_e32 v0, 0
	s_waitcnt lgkmcnt(0)
	global_store_dword v0, v1, s[0:1]
	s_mov_b64 s[0:1], 0
.LBB209_16:
	s_andn2_b64 vcc, exec, s[0:1]
	s_cbranch_vccnz .LBB209_11
; %bb.17:
	s_mov_b32 s0, 0x7f800000
	s_waitcnt lgkmcnt(0)
	v_and_b32_e32 v0, 0x7f800000, v1
	v_cmp_ne_u32_e32 vcc, s0, v0
                                        ; implicit-def: $vgpr0
	s_and_saveexec_b64 s[0:1], vcc
	s_xor_b64 s[0:1], exec, s[0:1]
; %bb.18:
	v_bfe_u32 v0, v1, 16, 1
	s_movk_i32 s4, 0x7fff
	v_add3_u32 v0, v1, v0, s4
                                        ; implicit-def: $vgpr1
; %bb.19:
	s_andn2_saveexec_b64 s[0:1], s[0:1]
; %bb.20:
	v_mov_b32_e32 v0, 0
	v_or_b32_e32 v2, 0x10000, v1
	v_cmp_eq_u32_sdwa vcc, v1, v0 src0_sel:WORD_0 src1_sel:DWORD
	v_cndmask_b32_e32 v0, v2, v1, vcc
; %bb.21:
	s_or_b64 exec, exec, s[0:1]
	s_lshl_b64 s[0:1], s[2:3], 1
	s_add_u32 s0, s10, s0
	s_addc_u32 s1, s11, s1
	v_mov_b32_e32 v1, 0
	global_store_short_d16_hi v1, v0, s[0:1]
	s_endpgm
	.section	.rodata,"a",@progbits
	.p2align	6, 0x0
	.amdhsa_kernel _ZL23rocblas_dot_kernel_inc1ILb0ELi512ELi8ELb1E16rocblas_bfloat16PKPKS0_fEviT4_llS5_lliPT5_PT3_
		.amdhsa_group_segment_fixed_size 256
		.amdhsa_private_segment_fixed_size 0
		.amdhsa_kernarg_size 336
		.amdhsa_user_sgpr_count 6
		.amdhsa_user_sgpr_private_segment_buffer 1
		.amdhsa_user_sgpr_dispatch_ptr 0
		.amdhsa_user_sgpr_queue_ptr 0
		.amdhsa_user_sgpr_kernarg_segment_ptr 1
		.amdhsa_user_sgpr_dispatch_id 0
		.amdhsa_user_sgpr_flat_scratch_init 0
		.amdhsa_user_sgpr_private_segment_size 0
		.amdhsa_uses_dynamic_stack 0
		.amdhsa_system_sgpr_private_segment_wavefront_offset 0
		.amdhsa_system_sgpr_workgroup_id_x 1
		.amdhsa_system_sgpr_workgroup_id_y 0
		.amdhsa_system_sgpr_workgroup_id_z 1
		.amdhsa_system_sgpr_workgroup_info 0
		.amdhsa_system_vgpr_workitem_id 0
		.amdhsa_next_free_vgpr 14
		.amdhsa_next_free_sgpr 28
		.amdhsa_reserve_vcc 1
		.amdhsa_reserve_flat_scratch 0
		.amdhsa_float_round_mode_32 0
		.amdhsa_float_round_mode_16_64 0
		.amdhsa_float_denorm_mode_32 3
		.amdhsa_float_denorm_mode_16_64 3
		.amdhsa_dx10_clamp 1
		.amdhsa_ieee_mode 1
		.amdhsa_fp16_overflow 0
		.amdhsa_exception_fp_ieee_invalid_op 0
		.amdhsa_exception_fp_denorm_src 0
		.amdhsa_exception_fp_ieee_div_zero 0
		.amdhsa_exception_fp_ieee_overflow 0
		.amdhsa_exception_fp_ieee_underflow 0
		.amdhsa_exception_fp_ieee_inexact 0
		.amdhsa_exception_int_div_zero 0
	.end_amdhsa_kernel
	.section	.text._ZL23rocblas_dot_kernel_inc1ILb0ELi512ELi8ELb1E16rocblas_bfloat16PKPKS0_fEviT4_llS5_lliPT5_PT3_,"axG",@progbits,_ZL23rocblas_dot_kernel_inc1ILb0ELi512ELi8ELb1E16rocblas_bfloat16PKPKS0_fEviT4_llS5_lliPT5_PT3_,comdat
.Lfunc_end209:
	.size	_ZL23rocblas_dot_kernel_inc1ILb0ELi512ELi8ELb1E16rocblas_bfloat16PKPKS0_fEviT4_llS5_lliPT5_PT3_, .Lfunc_end209-_ZL23rocblas_dot_kernel_inc1ILb0ELi512ELi8ELb1E16rocblas_bfloat16PKPKS0_fEviT4_llS5_lliPT5_PT3_
                                        ; -- End function
	.set _ZL23rocblas_dot_kernel_inc1ILb0ELi512ELi8ELb1E16rocblas_bfloat16PKPKS0_fEviT4_llS5_lliPT5_PT3_.num_vgpr, 14
	.set _ZL23rocblas_dot_kernel_inc1ILb0ELi512ELi8ELb1E16rocblas_bfloat16PKPKS0_fEviT4_llS5_lliPT5_PT3_.num_agpr, 0
	.set _ZL23rocblas_dot_kernel_inc1ILb0ELi512ELi8ELb1E16rocblas_bfloat16PKPKS0_fEviT4_llS5_lliPT5_PT3_.numbered_sgpr, 28
	.set _ZL23rocblas_dot_kernel_inc1ILb0ELi512ELi8ELb1E16rocblas_bfloat16PKPKS0_fEviT4_llS5_lliPT5_PT3_.num_named_barrier, 0
	.set _ZL23rocblas_dot_kernel_inc1ILb0ELi512ELi8ELb1E16rocblas_bfloat16PKPKS0_fEviT4_llS5_lliPT5_PT3_.private_seg_size, 0
	.set _ZL23rocblas_dot_kernel_inc1ILb0ELi512ELi8ELb1E16rocblas_bfloat16PKPKS0_fEviT4_llS5_lliPT5_PT3_.uses_vcc, 1
	.set _ZL23rocblas_dot_kernel_inc1ILb0ELi512ELi8ELb1E16rocblas_bfloat16PKPKS0_fEviT4_llS5_lliPT5_PT3_.uses_flat_scratch, 0
	.set _ZL23rocblas_dot_kernel_inc1ILb0ELi512ELi8ELb1E16rocblas_bfloat16PKPKS0_fEviT4_llS5_lliPT5_PT3_.has_dyn_sized_stack, 0
	.set _ZL23rocblas_dot_kernel_inc1ILb0ELi512ELi8ELb1E16rocblas_bfloat16PKPKS0_fEviT4_llS5_lliPT5_PT3_.has_recursion, 0
	.set _ZL23rocblas_dot_kernel_inc1ILb0ELi512ELi8ELb1E16rocblas_bfloat16PKPKS0_fEviT4_llS5_lliPT5_PT3_.has_indirect_call, 0
	.section	.AMDGPU.csdata,"",@progbits
; Kernel info:
; codeLenInByte = 972
; TotalNumSgprs: 32
; NumVgprs: 14
; ScratchSize: 0
; MemoryBound: 0
; FloatMode: 240
; IeeeMode: 1
; LDSByteSize: 256 bytes/workgroup (compile time only)
; SGPRBlocks: 3
; VGPRBlocks: 3
; NumSGPRsForWavesPerEU: 32
; NumVGPRsForWavesPerEU: 14
; Occupancy: 10
; WaveLimiterHint : 1
; COMPUTE_PGM_RSRC2:SCRATCH_EN: 0
; COMPUTE_PGM_RSRC2:USER_SGPR: 6
; COMPUTE_PGM_RSRC2:TRAP_HANDLER: 0
; COMPUTE_PGM_RSRC2:TGID_X_EN: 1
; COMPUTE_PGM_RSRC2:TGID_Y_EN: 0
; COMPUTE_PGM_RSRC2:TGID_Z_EN: 1
; COMPUTE_PGM_RSRC2:TIDIG_COMP_CNT: 0
	.section	.text._ZL18rocblas_dot_kernelIiLb0ELi512ELi8ELb1E16rocblas_bfloat16PKPKS0_fEviT5_lT_lS5_lS6_liPT6_PT4_,"axG",@progbits,_ZL18rocblas_dot_kernelIiLb0ELi512ELi8ELb1E16rocblas_bfloat16PKPKS0_fEviT5_lT_lS5_lS6_liPT6_PT4_,comdat
	.globl	_ZL18rocblas_dot_kernelIiLb0ELi512ELi8ELb1E16rocblas_bfloat16PKPKS0_fEviT5_lT_lS5_lS6_liPT6_PT4_ ; -- Begin function _ZL18rocblas_dot_kernelIiLb0ELi512ELi8ELb1E16rocblas_bfloat16PKPKS0_fEviT5_lT_lS5_lS6_liPT6_PT4_
	.p2align	8
	.type	_ZL18rocblas_dot_kernelIiLb0ELi512ELi8ELb1E16rocblas_bfloat16PKPKS0_fEviT5_lT_lS5_lS6_liPT6_PT4_,@function
_ZL18rocblas_dot_kernelIiLb0ELi512ELi8ELb1E16rocblas_bfloat16PKPKS0_fEviT5_lT_lS5_lS6_liPT6_PT4_: ; @_ZL18rocblas_dot_kernelIiLb0ELi512ELi8ELb1E16rocblas_bfloat16PKPKS0_fEviT5_lT_lS5_lS6_liPT6_PT4_
; %bb.0:
	s_mov_b32 s2, s7
	s_load_dword s18, s[4:5], 0x60
	s_load_dword s7, s[4:5], 0x0
	s_load_dwordx4 s[8:11], s[4:5], 0x50
	v_lshl_or_b32 v3, s6, 9, v0
	s_mov_b32 s3, 0
	v_mov_b32_e32 v5, 0
	s_waitcnt lgkmcnt(0)
	v_cmp_gt_i32_e32 vcc, s7, v3
	s_and_saveexec_b64 s[12:13], vcc
	s_cbranch_execz .LBB210_4
; %bb.1:
	s_load_dwordx4 s[20:23], s[4:5], 0x8
	s_load_dword s16, s[4:5], 0x18
	s_load_dwordx4 s[24:27], s[4:5], 0x28
	s_load_dword s17, s[4:5], 0x38
	s_lshl_b64 s[0:1], s[2:3], 3
	s_waitcnt lgkmcnt(0)
	s_add_u32 s4, s20, s0
	s_addc_u32 s5, s21, s1
	s_load_dwordx2 s[4:5], s[4:5], 0x0
	v_mad_i64_i32 v[1:2], s[14:15], s16, v3, 0
	s_add_u32 s0, s24, s0
	s_addc_u32 s1, s25, s1
	s_lshl_b32 s19, s18, 9
	s_lshl_b64 s[14:15], s[22:23], 1
	v_lshlrev_b64 v[1:2], 1, v[1:2]
	s_waitcnt lgkmcnt(0)
	s_add_u32 s4, s4, s14
	s_addc_u32 s5, s5, s15
	s_load_dwordx2 s[0:1], s[0:1], 0x0
	v_mov_b32_e32 v4, s5
	v_add_co_u32_e32 v1, vcc, s4, v1
	v_add_u32_e32 v6, s19, v3
	v_addc_co_u32_e32 v2, vcc, v4, v2, vcc
	v_mad_i64_i32 v[3:4], s[4:5], s17, v3, 0
	s_mul_hi_i32 s5, s16, s19
	s_mul_i32 s4, s16, s19
	s_lshl_b64 s[4:5], s[4:5], 1
	s_lshl_b64 s[14:15], s[26:27], 1
	v_lshlrev_b64 v[3:4], 1, v[3:4]
	s_waitcnt lgkmcnt(0)
	s_add_u32 s0, s0, s14
	s_addc_u32 s1, s1, s15
	v_mov_b32_e32 v5, s1
	v_add_co_u32_e32 v3, vcc, s0, v3
	s_mul_hi_i32 s1, s17, s19
	s_mul_i32 s0, s17, s19
	s_lshl_b64 s[14:15], s[0:1], 1
	v_addc_co_u32_e32 v4, vcc, v5, v4, vcc
	v_mov_b32_e32 v5, 0
	s_mov_b64 s[16:17], 0
	v_mov_b32_e32 v7, s5
	v_mov_b32_e32 v8, s15
	s_mov_b32 s5, s3
.LBB210_2:                              ; =>This Inner Loop Header: Depth=1
	flat_load_ushort v9, v[1:2]
	flat_load_ushort v10, v[3:4]
	v_add_co_u32_e64 v1, s[0:1], s4, v1
	v_addc_co_u32_e64 v2, s[0:1], v2, v7, s[0:1]
	s_add_i32 s15, s5, 1
	v_add_co_u32_e64 v3, s[0:1], s14, v3
	v_addc_co_u32_e64 v4, s[0:1], v4, v8, s[0:1]
	s_cmp_gt_u32 s5, 6
	v_cmp_le_i32_e32 vcc, s7, v6
	s_cselect_b64 s[0:1], -1, 0
	s_or_b64 s[0:1], s[0:1], vcc
	s_and_b64 s[0:1], exec, s[0:1]
	v_add_u32_e32 v6, s19, v6
	s_mov_b32 s5, s15
	s_or_b64 s[16:17], s[0:1], s[16:17]
	s_waitcnt vmcnt(0) lgkmcnt(0)
	v_lshlrev_b32_e32 v9, 16, v9
	v_lshlrev_b32_e32 v10, 16, v10
	v_fmac_f32_e32 v5, v10, v9
	s_andn2_b64 exec, exec, s[16:17]
	s_cbranch_execnz .LBB210_2
; %bb.3:
	s_or_b64 exec, exec, s[16:17]
.LBB210_4:
	s_or_b64 exec, exec, s[12:13]
	v_and_b32_e32 v1, 63, v0
	v_cmp_gt_u32_e32 vcc, 64, v0
	v_lshlrev_b32_e32 v2, 2, v1
	s_and_saveexec_b64 s[0:1], vcc
; %bb.5:
	v_mov_b32_e32 v3, 0
	ds_write_b32 v2, v3
; %bb.6:
	s_or_b64 exec, exec, s[0:1]
	v_mbcnt_lo_u32_b32 v3, -1, 0
	v_mbcnt_hi_u32_b32 v6, -1, v3
	v_mov_b32_e32 v3, 0x80
	v_lshl_or_b32 v3, v6, 2, v3
	ds_bpermute_b32 v3, v3, v5
	v_and_b32_e32 v7, 63, v6
	v_cmp_gt_u32_e64 s[0:1], 48, v7
	v_cndmask_b32_e64 v4, 0, 16, s[0:1]
	v_add_lshl_u32 v4, v4, v6, 2
	s_waitcnt lgkmcnt(0)
	v_add_f32_e32 v3, v5, v3
	ds_bpermute_b32 v4, v4, v3
	v_cmp_gt_u32_e64 s[0:1], 56, v7
	v_cndmask_b32_e64 v5, 0, 8, s[0:1]
	v_add_lshl_u32 v5, v5, v6, 2
	v_cmp_gt_u32_e64 s[0:1], 60, v7
	s_waitcnt lgkmcnt(0)
	v_add_f32_e32 v4, v3, v4
	ds_bpermute_b32 v5, v5, v4
	v_cndmask_b32_e64 v3, 0, 4, s[0:1]
	v_add_lshl_u32 v3, v3, v6, 2
	v_cmp_gt_u32_e64 s[0:1], 62, v7
	s_waitcnt lgkmcnt(0)
	v_add_f32_e32 v5, v4, v5
	ds_bpermute_b32 v8, v3, v5
	v_cndmask_b32_e64 v4, 0, 2, s[0:1]
	v_add_lshl_u32 v4, v4, v6, 2
	v_cmp_ne_u32_e64 s[0:1], 63, v7
	v_addc_co_u32_e64 v7, s[0:1], 0, v6, s[0:1]
	s_waitcnt lgkmcnt(0)
	v_add_f32_e32 v5, v5, v8
	ds_bpermute_b32 v8, v4, v5
	v_cmp_eq_u32_e64 s[0:1], 0, v1
	s_waitcnt lgkmcnt(0)
	s_barrier
	v_add_f32_e32 v6, v5, v8
	v_lshlrev_b32_e32 v5, 2, v7
	ds_bpermute_b32 v7, v5, v6
	s_and_saveexec_b64 s[4:5], s[0:1]
	s_cbranch_execz .LBB210_8
; %bb.7:
	s_waitcnt lgkmcnt(0)
	v_add_f32_e32 v1, v6, v7
	v_lshrrev_b32_e32 v6, 4, v0
	v_and_b32_e32 v6, 28, v6
	ds_write_b32 v6, v1
.LBB210_8:
	s_or_b64 exec, exec, s[4:5]
	v_cmp_gt_u32_e64 s[0:1], 8, v0
	v_mov_b32_e32 v1, 0
	s_waitcnt lgkmcnt(0)
	s_barrier
	s_and_saveexec_b64 s[4:5], s[0:1]
	s_cbranch_execnz .LBB210_12
; %bb.9:
	s_or_b64 exec, exec, s[4:5]
	s_and_saveexec_b64 s[0:1], vcc
	s_cbranch_execnz .LBB210_13
.LBB210_10:
	s_or_b64 exec, exec, s[0:1]
	v_cmp_eq_u32_e32 vcc, 0, v0
	s_and_saveexec_b64 s[0:1], vcc
	s_cbranch_execnz .LBB210_14
.LBB210_11:
	s_endpgm
.LBB210_12:
	ds_read_b32 v1, v2
	s_or_b64 exec, exec, s[4:5]
	s_and_saveexec_b64 s[0:1], vcc
	s_cbranch_execz .LBB210_10
.LBB210_13:
	s_waitcnt lgkmcnt(0)
	ds_bpermute_b32 v2, v3, v1
	s_waitcnt lgkmcnt(0)
	v_add_f32_e32 v1, v1, v2
	ds_bpermute_b32 v2, v4, v1
	s_waitcnt lgkmcnt(0)
	v_add_f32_e32 v1, v1, v2
	;; [unrolled: 3-line block ×3, first 2 shown]
	s_or_b64 exec, exec, s[0:1]
	v_cmp_eq_u32_e32 vcc, 0, v0
	s_and_saveexec_b64 s[0:1], vcc
	s_cbranch_execz .LBB210_11
.LBB210_14:
	s_cmp_lg_u32 s18, 1
	s_mov_b64 s[0:1], -1
	s_cbranch_scc0 .LBB210_16
; %bb.15:
	s_mul_hi_u32 s1, s18, s2
	s_mul_i32 s0, s18, s2
	s_lshl_b64 s[0:1], s[0:1], 2
	s_mov_b32 s7, 0
	s_add_u32 s4, s8, s0
	s_addc_u32 s5, s9, s1
	s_lshl_b64 s[0:1], s[6:7], 2
	s_add_u32 s0, s4, s0
	s_addc_u32 s1, s5, s1
	v_mov_b32_e32 v0, 0
	s_waitcnt lgkmcnt(0)
	global_store_dword v0, v1, s[0:1]
	s_mov_b64 s[0:1], 0
.LBB210_16:
	s_andn2_b64 vcc, exec, s[0:1]
	s_cbranch_vccnz .LBB210_11
; %bb.17:
	s_mov_b32 s0, 0x7f800000
	s_waitcnt lgkmcnt(0)
	v_and_b32_e32 v0, 0x7f800000, v1
	v_cmp_ne_u32_e32 vcc, s0, v0
                                        ; implicit-def: $vgpr0
	s_and_saveexec_b64 s[0:1], vcc
	s_xor_b64 s[0:1], exec, s[0:1]
; %bb.18:
	v_bfe_u32 v0, v1, 16, 1
	s_movk_i32 s4, 0x7fff
	v_add3_u32 v0, v1, v0, s4
                                        ; implicit-def: $vgpr1
; %bb.19:
	s_andn2_saveexec_b64 s[0:1], s[0:1]
; %bb.20:
	v_mov_b32_e32 v0, 0
	v_or_b32_e32 v2, 0x10000, v1
	v_cmp_eq_u32_sdwa vcc, v1, v0 src0_sel:WORD_0 src1_sel:DWORD
	v_cndmask_b32_e32 v0, v2, v1, vcc
; %bb.21:
	s_or_b64 exec, exec, s[0:1]
	s_lshl_b64 s[0:1], s[2:3], 1
	s_add_u32 s0, s10, s0
	s_addc_u32 s1, s11, s1
	v_mov_b32_e32 v1, 0
	global_store_short_d16_hi v1, v0, s[0:1]
	s_endpgm
	.section	.rodata,"a",@progbits
	.p2align	6, 0x0
	.amdhsa_kernel _ZL18rocblas_dot_kernelIiLb0ELi512ELi8ELb1E16rocblas_bfloat16PKPKS0_fEviT5_lT_lS5_lS6_liPT6_PT4_
		.amdhsa_group_segment_fixed_size 256
		.amdhsa_private_segment_fixed_size 0
		.amdhsa_kernarg_size 352
		.amdhsa_user_sgpr_count 6
		.amdhsa_user_sgpr_private_segment_buffer 1
		.amdhsa_user_sgpr_dispatch_ptr 0
		.amdhsa_user_sgpr_queue_ptr 0
		.amdhsa_user_sgpr_kernarg_segment_ptr 1
		.amdhsa_user_sgpr_dispatch_id 0
		.amdhsa_user_sgpr_flat_scratch_init 0
		.amdhsa_user_sgpr_private_segment_size 0
		.amdhsa_uses_dynamic_stack 0
		.amdhsa_system_sgpr_private_segment_wavefront_offset 0
		.amdhsa_system_sgpr_workgroup_id_x 1
		.amdhsa_system_sgpr_workgroup_id_y 0
		.amdhsa_system_sgpr_workgroup_id_z 1
		.amdhsa_system_sgpr_workgroup_info 0
		.amdhsa_system_vgpr_workitem_id 0
		.amdhsa_next_free_vgpr 11
		.amdhsa_next_free_sgpr 28
		.amdhsa_reserve_vcc 1
		.amdhsa_reserve_flat_scratch 0
		.amdhsa_float_round_mode_32 0
		.amdhsa_float_round_mode_16_64 0
		.amdhsa_float_denorm_mode_32 3
		.amdhsa_float_denorm_mode_16_64 3
		.amdhsa_dx10_clamp 1
		.amdhsa_ieee_mode 1
		.amdhsa_fp16_overflow 0
		.amdhsa_exception_fp_ieee_invalid_op 0
		.amdhsa_exception_fp_denorm_src 0
		.amdhsa_exception_fp_ieee_div_zero 0
		.amdhsa_exception_fp_ieee_overflow 0
		.amdhsa_exception_fp_ieee_underflow 0
		.amdhsa_exception_fp_ieee_inexact 0
		.amdhsa_exception_int_div_zero 0
	.end_amdhsa_kernel
	.section	.text._ZL18rocblas_dot_kernelIiLb0ELi512ELi8ELb1E16rocblas_bfloat16PKPKS0_fEviT5_lT_lS5_lS6_liPT6_PT4_,"axG",@progbits,_ZL18rocblas_dot_kernelIiLb0ELi512ELi8ELb1E16rocblas_bfloat16PKPKS0_fEviT5_lT_lS5_lS6_liPT6_PT4_,comdat
.Lfunc_end210:
	.size	_ZL18rocblas_dot_kernelIiLb0ELi512ELi8ELb1E16rocblas_bfloat16PKPKS0_fEviT5_lT_lS5_lS6_liPT6_PT4_, .Lfunc_end210-_ZL18rocblas_dot_kernelIiLb0ELi512ELi8ELb1E16rocblas_bfloat16PKPKS0_fEviT5_lT_lS5_lS6_liPT6_PT4_
                                        ; -- End function
	.set _ZL18rocblas_dot_kernelIiLb0ELi512ELi8ELb1E16rocblas_bfloat16PKPKS0_fEviT5_lT_lS5_lS6_liPT6_PT4_.num_vgpr, 11
	.set _ZL18rocblas_dot_kernelIiLb0ELi512ELi8ELb1E16rocblas_bfloat16PKPKS0_fEviT5_lT_lS5_lS6_liPT6_PT4_.num_agpr, 0
	.set _ZL18rocblas_dot_kernelIiLb0ELi512ELi8ELb1E16rocblas_bfloat16PKPKS0_fEviT5_lT_lS5_lS6_liPT6_PT4_.numbered_sgpr, 28
	.set _ZL18rocblas_dot_kernelIiLb0ELi512ELi8ELb1E16rocblas_bfloat16PKPKS0_fEviT5_lT_lS5_lS6_liPT6_PT4_.num_named_barrier, 0
	.set _ZL18rocblas_dot_kernelIiLb0ELi512ELi8ELb1E16rocblas_bfloat16PKPKS0_fEviT5_lT_lS5_lS6_liPT6_PT4_.private_seg_size, 0
	.set _ZL18rocblas_dot_kernelIiLb0ELi512ELi8ELb1E16rocblas_bfloat16PKPKS0_fEviT5_lT_lS5_lS6_liPT6_PT4_.uses_vcc, 1
	.set _ZL18rocblas_dot_kernelIiLb0ELi512ELi8ELb1E16rocblas_bfloat16PKPKS0_fEviT5_lT_lS5_lS6_liPT6_PT4_.uses_flat_scratch, 0
	.set _ZL18rocblas_dot_kernelIiLb0ELi512ELi8ELb1E16rocblas_bfloat16PKPKS0_fEviT5_lT_lS5_lS6_liPT6_PT4_.has_dyn_sized_stack, 0
	.set _ZL18rocblas_dot_kernelIiLb0ELi512ELi8ELb1E16rocblas_bfloat16PKPKS0_fEviT5_lT_lS5_lS6_liPT6_PT4_.has_recursion, 0
	.set _ZL18rocblas_dot_kernelIiLb0ELi512ELi8ELb1E16rocblas_bfloat16PKPKS0_fEviT5_lT_lS5_lS6_liPT6_PT4_.has_indirect_call, 0
	.section	.AMDGPU.csdata,"",@progbits
; Kernel info:
; codeLenInByte = 1044
; TotalNumSgprs: 32
; NumVgprs: 11
; ScratchSize: 0
; MemoryBound: 0
; FloatMode: 240
; IeeeMode: 1
; LDSByteSize: 256 bytes/workgroup (compile time only)
; SGPRBlocks: 3
; VGPRBlocks: 2
; NumSGPRsForWavesPerEU: 32
; NumVGPRsForWavesPerEU: 11
; Occupancy: 10
; WaveLimiterHint : 0
; COMPUTE_PGM_RSRC2:SCRATCH_EN: 0
; COMPUTE_PGM_RSRC2:USER_SGPR: 6
; COMPUTE_PGM_RSRC2:TRAP_HANDLER: 0
; COMPUTE_PGM_RSRC2:TGID_X_EN: 1
; COMPUTE_PGM_RSRC2:TGID_Y_EN: 0
; COMPUTE_PGM_RSRC2:TGID_Z_EN: 1
; COMPUTE_PGM_RSRC2:TIDIG_COMP_CNT: 0
	.section	.text._ZL24rocblas_dot_kernel_magsqIiLb0ELi512ELi8ELb1E16rocblas_bfloat16PKPKS0_fEviT5_lT_liPT6_PT4_,"axG",@progbits,_ZL24rocblas_dot_kernel_magsqIiLb0ELi512ELi8ELb1E16rocblas_bfloat16PKPKS0_fEviT5_lT_liPT6_PT4_,comdat
	.globl	_ZL24rocblas_dot_kernel_magsqIiLb0ELi512ELi8ELb1E16rocblas_bfloat16PKPKS0_fEviT5_lT_liPT6_PT4_ ; -- Begin function _ZL24rocblas_dot_kernel_magsqIiLb0ELi512ELi8ELb1E16rocblas_bfloat16PKPKS0_fEviT5_lT_liPT6_PT4_
	.p2align	8
	.type	_ZL24rocblas_dot_kernel_magsqIiLb0ELi512ELi8ELb1E16rocblas_bfloat16PKPKS0_fEviT5_lT_liPT6_PT4_,@function
_ZL24rocblas_dot_kernel_magsqIiLb0ELi512ELi8ELb1E16rocblas_bfloat16PKPKS0_fEviT5_lT_liPT6_PT4_: ; @_ZL24rocblas_dot_kernel_magsqIiLb0ELi512ELi8ELb1E16rocblas_bfloat16PKPKS0_fEviT5_lT_liPT6_PT4_
; %bb.0:
	s_mov_b32 s2, s7
	s_load_dword s7, s[4:5], 0x0
	s_load_dwordx4 s[8:11], s[4:5], 0x30
	s_load_dword s16, s[4:5], 0x40
	v_lshl_or_b32 v1, s6, 9, v0
	s_mov_b32 s3, 0
	s_waitcnt lgkmcnt(0)
	v_cmp_gt_i32_e32 vcc, s7, v1
	v_mov_b32_e32 v3, 0
	s_and_saveexec_b64 s[12:13], vcc
	s_cbranch_execz .LBB211_4
; %bb.1:
	s_load_dwordx4 s[20:23], s[4:5], 0x8
	s_load_dword s14, s[4:5], 0x18
	s_lshl_b64 s[0:1], s[2:3], 3
	s_waitcnt lgkmcnt(0)
	s_add_u32 s0, s20, s0
	s_addc_u32 s1, s21, s1
	s_load_dwordx2 s[0:1], s[0:1], 0x0
	v_mad_i64_i32 v[2:3], s[4:5], s14, v1, 0
	s_lshl_b32 s17, s16, 9
	s_lshl_b64 s[4:5], s[22:23], 1
	v_add_u32_e32 v4, s17, v1
	v_lshlrev_b64 v[1:2], 1, v[2:3]
	s_waitcnt lgkmcnt(0)
	s_add_u32 s0, s0, s4
	s_addc_u32 s1, s1, s5
	v_mov_b32_e32 v3, s1
	v_add_co_u32_e32 v1, vcc, s0, v1
	s_mul_hi_i32 s1, s14, s17
	s_mul_i32 s0, s14, s17
	s_lshl_b64 s[4:5], s[0:1], 1
	v_addc_co_u32_e32 v2, vcc, v3, v2, vcc
	v_mov_b32_e32 v3, 0
	s_mov_b64 s[14:15], 0
	v_mov_b32_e32 v5, s5
	s_mov_b32 s5, s3
.LBB211_2:                              ; =>This Inner Loop Header: Depth=1
	flat_load_ushort v6, v[1:2]
	s_add_i32 s18, s5, 1
	v_add_co_u32_e64 v1, s[0:1], s4, v1
	v_addc_co_u32_e64 v2, s[0:1], v2, v5, s[0:1]
	s_cmp_gt_u32 s5, 6
	v_cmp_le_i32_e32 vcc, s7, v4
	s_cselect_b64 s[0:1], -1, 0
	s_or_b64 s[0:1], s[0:1], vcc
	s_and_b64 s[0:1], exec, s[0:1]
	v_add_u32_e32 v4, s17, v4
	s_mov_b32 s5, s18
	s_or_b64 s[14:15], s[0:1], s[14:15]
	s_waitcnt vmcnt(0) lgkmcnt(0)
	v_lshlrev_b32_e32 v6, 16, v6
	v_fmac_f32_e32 v3, v6, v6
	s_andn2_b64 exec, exec, s[14:15]
	s_cbranch_execnz .LBB211_2
; %bb.3:
	s_or_b64 exec, exec, s[14:15]
.LBB211_4:
	s_or_b64 exec, exec, s[12:13]
	v_and_b32_e32 v1, 63, v0
	v_cmp_gt_u32_e32 vcc, 64, v0
	v_lshlrev_b32_e32 v2, 2, v1
	s_and_saveexec_b64 s[0:1], vcc
; %bb.5:
	v_mov_b32_e32 v4, 0
	ds_write_b32 v2, v4
; %bb.6:
	s_or_b64 exec, exec, s[0:1]
	v_mbcnt_lo_u32_b32 v4, -1, 0
	v_mbcnt_hi_u32_b32 v5, -1, v4
	v_mov_b32_e32 v4, 0x80
	v_lshl_or_b32 v4, v5, 2, v4
	ds_bpermute_b32 v4, v4, v3
	v_and_b32_e32 v6, 63, v5
	v_cmp_gt_u32_e64 s[0:1], 48, v6
	v_cndmask_b32_e64 v7, 0, 16, s[0:1]
	v_cmp_gt_u32_e64 s[0:1], 56, v6
	s_waitcnt lgkmcnt(0)
	v_add_f32_e32 v3, v3, v4
	v_add_lshl_u32 v4, v7, v5, 2
	ds_bpermute_b32 v4, v4, v3
	v_cndmask_b32_e64 v7, 0, 8, s[0:1]
	v_add_lshl_u32 v7, v7, v5, 2
	v_cmp_gt_u32_e64 s[0:1], 60, v6
	s_waitcnt lgkmcnt(0)
	v_add_f32_e32 v4, v3, v4
	ds_bpermute_b32 v7, v7, v4
	v_cndmask_b32_e64 v3, 0, 4, s[0:1]
	v_add_lshl_u32 v3, v3, v5, 2
	v_cmp_gt_u32_e64 s[0:1], 62, v6
	s_waitcnt lgkmcnt(0)
	s_barrier
	v_add_f32_e32 v7, v4, v7
	ds_bpermute_b32 v8, v3, v7
	v_cndmask_b32_e64 v4, 0, 2, s[0:1]
	v_add_lshl_u32 v4, v4, v5, 2
	v_cmp_ne_u32_e64 s[0:1], 63, v6
	v_addc_co_u32_e64 v5, s[0:1], 0, v5, s[0:1]
	s_waitcnt lgkmcnt(0)
	v_add_f32_e32 v7, v7, v8
	ds_bpermute_b32 v8, v4, v7
	v_lshlrev_b32_e32 v5, 2, v5
	v_cmp_eq_u32_e64 s[0:1], 0, v1
	s_waitcnt lgkmcnt(0)
	v_add_f32_e32 v6, v7, v8
	ds_bpermute_b32 v7, v5, v6
	s_and_saveexec_b64 s[4:5], s[0:1]
	s_cbranch_execz .LBB211_8
; %bb.7:
	s_waitcnt lgkmcnt(0)
	v_add_f32_e32 v1, v6, v7
	v_lshrrev_b32_e32 v6, 4, v0
	v_and_b32_e32 v6, 28, v6
	ds_write_b32 v6, v1
.LBB211_8:
	s_or_b64 exec, exec, s[4:5]
	v_cmp_gt_u32_e64 s[0:1], 8, v0
	v_mov_b32_e32 v1, 0
	s_waitcnt lgkmcnt(0)
	s_barrier
	s_and_saveexec_b64 s[4:5], s[0:1]
	s_cbranch_execnz .LBB211_12
; %bb.9:
	s_or_b64 exec, exec, s[4:5]
	s_and_saveexec_b64 s[0:1], vcc
	s_cbranch_execnz .LBB211_13
.LBB211_10:
	s_or_b64 exec, exec, s[0:1]
	v_cmp_eq_u32_e32 vcc, 0, v0
	s_and_saveexec_b64 s[0:1], vcc
	s_cbranch_execnz .LBB211_14
.LBB211_11:
	s_endpgm
.LBB211_12:
	ds_read_b32 v1, v2
	s_or_b64 exec, exec, s[4:5]
	s_and_saveexec_b64 s[0:1], vcc
	s_cbranch_execz .LBB211_10
.LBB211_13:
	s_waitcnt lgkmcnt(0)
	ds_bpermute_b32 v2, v3, v1
	s_waitcnt lgkmcnt(0)
	v_add_f32_e32 v1, v1, v2
	ds_bpermute_b32 v2, v4, v1
	s_waitcnt lgkmcnt(0)
	v_add_f32_e32 v1, v1, v2
	;; [unrolled: 3-line block ×3, first 2 shown]
	s_or_b64 exec, exec, s[0:1]
	v_cmp_eq_u32_e32 vcc, 0, v0
	s_and_saveexec_b64 s[0:1], vcc
	s_cbranch_execz .LBB211_11
.LBB211_14:
	s_cmp_lg_u32 s16, 1
	s_mov_b64 s[0:1], -1
	s_cbranch_scc0 .LBB211_16
; %bb.15:
	s_mul_hi_u32 s1, s16, s2
	s_mul_i32 s0, s16, s2
	s_lshl_b64 s[0:1], s[0:1], 2
	s_mov_b32 s7, 0
	s_add_u32 s4, s8, s0
	s_addc_u32 s5, s9, s1
	s_lshl_b64 s[0:1], s[6:7], 2
	s_add_u32 s0, s4, s0
	s_addc_u32 s1, s5, s1
	v_mov_b32_e32 v0, 0
	s_waitcnt lgkmcnt(0)
	global_store_dword v0, v1, s[0:1]
	s_mov_b64 s[0:1], 0
.LBB211_16:
	s_andn2_b64 vcc, exec, s[0:1]
	s_cbranch_vccnz .LBB211_11
; %bb.17:
	s_mov_b32 s0, 0x7f800000
	s_waitcnt lgkmcnt(0)
	v_and_b32_e32 v0, 0x7f800000, v1
	v_cmp_ne_u32_e32 vcc, s0, v0
                                        ; implicit-def: $vgpr0
	s_and_saveexec_b64 s[0:1], vcc
	s_xor_b64 s[0:1], exec, s[0:1]
; %bb.18:
	v_bfe_u32 v0, v1, 16, 1
	s_movk_i32 s4, 0x7fff
	v_add3_u32 v0, v1, v0, s4
                                        ; implicit-def: $vgpr1
; %bb.19:
	s_andn2_saveexec_b64 s[0:1], s[0:1]
; %bb.20:
	v_mov_b32_e32 v0, 0
	v_or_b32_e32 v2, 0x10000, v1
	v_cmp_eq_u32_sdwa vcc, v1, v0 src0_sel:WORD_0 src1_sel:DWORD
	v_cndmask_b32_e32 v0, v2, v1, vcc
; %bb.21:
	s_or_b64 exec, exec, s[0:1]
	s_lshl_b64 s[0:1], s[2:3], 1
	s_add_u32 s0, s10, s0
	s_addc_u32 s1, s11, s1
	v_mov_b32_e32 v1, 0
	global_store_short_d16_hi v1, v0, s[0:1]
	s_endpgm
	.section	.rodata,"a",@progbits
	.p2align	6, 0x0
	.amdhsa_kernel _ZL24rocblas_dot_kernel_magsqIiLb0ELi512ELi8ELb1E16rocblas_bfloat16PKPKS0_fEviT5_lT_liPT6_PT4_
		.amdhsa_group_segment_fixed_size 256
		.amdhsa_private_segment_fixed_size 0
		.amdhsa_kernarg_size 320
		.amdhsa_user_sgpr_count 6
		.amdhsa_user_sgpr_private_segment_buffer 1
		.amdhsa_user_sgpr_dispatch_ptr 0
		.amdhsa_user_sgpr_queue_ptr 0
		.amdhsa_user_sgpr_kernarg_segment_ptr 1
		.amdhsa_user_sgpr_dispatch_id 0
		.amdhsa_user_sgpr_flat_scratch_init 0
		.amdhsa_user_sgpr_private_segment_size 0
		.amdhsa_uses_dynamic_stack 0
		.amdhsa_system_sgpr_private_segment_wavefront_offset 0
		.amdhsa_system_sgpr_workgroup_id_x 1
		.amdhsa_system_sgpr_workgroup_id_y 0
		.amdhsa_system_sgpr_workgroup_id_z 1
		.amdhsa_system_sgpr_workgroup_info 0
		.amdhsa_system_vgpr_workitem_id 0
		.amdhsa_next_free_vgpr 9
		.amdhsa_next_free_sgpr 24
		.amdhsa_reserve_vcc 1
		.amdhsa_reserve_flat_scratch 0
		.amdhsa_float_round_mode_32 0
		.amdhsa_float_round_mode_16_64 0
		.amdhsa_float_denorm_mode_32 3
		.amdhsa_float_denorm_mode_16_64 3
		.amdhsa_dx10_clamp 1
		.amdhsa_ieee_mode 1
		.amdhsa_fp16_overflow 0
		.amdhsa_exception_fp_ieee_invalid_op 0
		.amdhsa_exception_fp_denorm_src 0
		.amdhsa_exception_fp_ieee_div_zero 0
		.amdhsa_exception_fp_ieee_overflow 0
		.amdhsa_exception_fp_ieee_underflow 0
		.amdhsa_exception_fp_ieee_inexact 0
		.amdhsa_exception_int_div_zero 0
	.end_amdhsa_kernel
	.section	.text._ZL24rocblas_dot_kernel_magsqIiLb0ELi512ELi8ELb1E16rocblas_bfloat16PKPKS0_fEviT5_lT_liPT6_PT4_,"axG",@progbits,_ZL24rocblas_dot_kernel_magsqIiLb0ELi512ELi8ELb1E16rocblas_bfloat16PKPKS0_fEviT5_lT_liPT6_PT4_,comdat
.Lfunc_end211:
	.size	_ZL24rocblas_dot_kernel_magsqIiLb0ELi512ELi8ELb1E16rocblas_bfloat16PKPKS0_fEviT5_lT_liPT6_PT4_, .Lfunc_end211-_ZL24rocblas_dot_kernel_magsqIiLb0ELi512ELi8ELb1E16rocblas_bfloat16PKPKS0_fEviT5_lT_liPT6_PT4_
                                        ; -- End function
	.set _ZL24rocblas_dot_kernel_magsqIiLb0ELi512ELi8ELb1E16rocblas_bfloat16PKPKS0_fEviT5_lT_liPT6_PT4_.num_vgpr, 9
	.set _ZL24rocblas_dot_kernel_magsqIiLb0ELi512ELi8ELb1E16rocblas_bfloat16PKPKS0_fEviT5_lT_liPT6_PT4_.num_agpr, 0
	.set _ZL24rocblas_dot_kernel_magsqIiLb0ELi512ELi8ELb1E16rocblas_bfloat16PKPKS0_fEviT5_lT_liPT6_PT4_.numbered_sgpr, 24
	.set _ZL24rocblas_dot_kernel_magsqIiLb0ELi512ELi8ELb1E16rocblas_bfloat16PKPKS0_fEviT5_lT_liPT6_PT4_.num_named_barrier, 0
	.set _ZL24rocblas_dot_kernel_magsqIiLb0ELi512ELi8ELb1E16rocblas_bfloat16PKPKS0_fEviT5_lT_liPT6_PT4_.private_seg_size, 0
	.set _ZL24rocblas_dot_kernel_magsqIiLb0ELi512ELi8ELb1E16rocblas_bfloat16PKPKS0_fEviT5_lT_liPT6_PT4_.uses_vcc, 1
	.set _ZL24rocblas_dot_kernel_magsqIiLb0ELi512ELi8ELb1E16rocblas_bfloat16PKPKS0_fEviT5_lT_liPT6_PT4_.uses_flat_scratch, 0
	.set _ZL24rocblas_dot_kernel_magsqIiLb0ELi512ELi8ELb1E16rocblas_bfloat16PKPKS0_fEviT5_lT_liPT6_PT4_.has_dyn_sized_stack, 0
	.set _ZL24rocblas_dot_kernel_magsqIiLb0ELi512ELi8ELb1E16rocblas_bfloat16PKPKS0_fEviT5_lT_liPT6_PT4_.has_recursion, 0
	.set _ZL24rocblas_dot_kernel_magsqIiLb0ELi512ELi8ELb1E16rocblas_bfloat16PKPKS0_fEviT5_lT_liPT6_PT4_.has_indirect_call, 0
	.section	.AMDGPU.csdata,"",@progbits
; Kernel info:
; codeLenInByte = 924
; TotalNumSgprs: 28
; NumVgprs: 9
; ScratchSize: 0
; MemoryBound: 0
; FloatMode: 240
; IeeeMode: 1
; LDSByteSize: 256 bytes/workgroup (compile time only)
; SGPRBlocks: 3
; VGPRBlocks: 2
; NumSGPRsForWavesPerEU: 28
; NumVGPRsForWavesPerEU: 9
; Occupancy: 10
; WaveLimiterHint : 0
; COMPUTE_PGM_RSRC2:SCRATCH_EN: 0
; COMPUTE_PGM_RSRC2:USER_SGPR: 6
; COMPUTE_PGM_RSRC2:TRAP_HANDLER: 0
; COMPUTE_PGM_RSRC2:TGID_X_EN: 1
; COMPUTE_PGM_RSRC2:TGID_Y_EN: 0
; COMPUTE_PGM_RSRC2:TGID_Z_EN: 1
; COMPUTE_PGM_RSRC2:TIDIG_COMP_CNT: 0
	.section	.text._ZL28rocblas_dot_batched_4_kernelIiLi32ELi4ELb1EffPKfEviT5_lT_lS2_lS3_liPT4_,"axG",@progbits,_ZL28rocblas_dot_batched_4_kernelIiLi32ELi4ELb1EffPKfEviT5_lT_lS2_lS3_liPT4_,comdat
	.globl	_ZL28rocblas_dot_batched_4_kernelIiLi32ELi4ELb1EffPKfEviT5_lT_lS2_lS3_liPT4_ ; -- Begin function _ZL28rocblas_dot_batched_4_kernelIiLi32ELi4ELb1EffPKfEviT5_lT_lS2_lS3_liPT4_
	.p2align	8
	.type	_ZL28rocblas_dot_batched_4_kernelIiLi32ELi4ELb1EffPKfEviT5_lT_lS2_lS3_liPT4_,@function
_ZL28rocblas_dot_batched_4_kernelIiLi32ELi4ELb1EffPKfEviT5_lT_lS2_lS3_liPT4_: ; @_ZL28rocblas_dot_batched_4_kernelIiLi32ELi4ELb1EffPKfEviT5_lT_lS2_lS3_liPT4_
; %bb.0:
	s_load_dword s0, s[4:5], 0x48
	v_lshl_add_u32 v1, s6, 2, v1
	s_waitcnt lgkmcnt(0)
	v_cmp_gt_u32_e32 vcc, s0, v1
	s_and_saveexec_b64 s[0:1], vcc
	s_cbranch_execz .LBB212_7
; %bb.1:
	s_load_dword s12, s[4:5], 0x0
	s_load_dwordx2 s[6:7], s[4:5], 0x50
	v_mov_b32_e32 v2, 0
	v_mov_b32_e32 v7, v2
	s_waitcnt lgkmcnt(0)
	v_cmp_gt_i32_e32 vcc, s12, v0
	s_and_saveexec_b64 s[8:9], vcc
	s_cbranch_execz .LBB212_5
; %bb.2:
	s_load_dwordx4 s[0:3], s[4:5], 0x20
	s_load_dwordx4 s[16:19], s[4:5], 0x8
	s_load_dword s10, s[4:5], 0x18
	s_load_dwordx2 s[14:15], s[4:5], 0x30
	s_waitcnt lgkmcnt(0)
	v_mad_u64_u32 v[3:4], s[20:21], s0, v1, 0
	s_load_dword s0, s[4:5], 0x38
	s_load_dwordx2 s[20:21], s[4:5], 0x40
	v_mad_i64_i32 v[5:6], s[4:5], s10, v0, 0
	s_ashr_i32 s11, s10, 31
	v_mad_u64_u32 v[7:8], s[4:5], s1, v1, v[4:5]
	v_lshlrev_b64 v[5:6], 2, v[5:6]
	s_waitcnt lgkmcnt(0)
	s_ashr_i32 s1, s0, 31
	v_mov_b32_e32 v4, v7
	v_lshlrev_b64 v[3:4], 2, v[3:4]
	s_lshl_b64 s[4:5], s[18:19], 2
	v_add_co_u32_e32 v11, vcc, v5, v3
	s_add_u32 s13, s16, s4
	v_addc_co_u32_e32 v4, vcc, v6, v4, vcc
	s_addc_u32 s16, s17, s5
	v_mad_u64_u32 v[5:6], s[4:5], s20, v1, 0
	v_mad_i64_i32 v[7:8], s[4:5], s0, v0, 0
	v_mov_b32_e32 v3, v6
	v_mad_u64_u32 v[9:10], s[4:5], s21, v1, v[3:4]
	v_mov_b32_e32 v12, s16
	v_add_co_u32_e32 v3, vcc, s13, v11
	v_mov_b32_e32 v6, v9
	v_lshlrev_b64 v[7:8], 2, v[7:8]
	v_lshlrev_b64 v[5:6], 2, v[5:6]
	v_addc_co_u32_e32 v4, vcc, v12, v4, vcc
	s_lshl_b64 s[4:5], s[10:11], 7
	s_lshl_b64 s[10:11], s[14:15], 2
	v_add_co_u32_e32 v5, vcc, v7, v5
	s_add_u32 s2, s2, s10
	v_addc_co_u32_e32 v6, vcc, v8, v6, vcc
	s_addc_u32 s3, s3, s11
	v_mov_b32_e32 v7, s3
	v_add_co_u32_e32 v5, vcc, s2, v5
	v_addc_co_u32_e32 v6, vcc, v7, v6, vcc
	s_lshl_b64 s[2:3], s[0:1], 7
	v_mov_b32_e32 v7, 0
	s_mov_b64 s[10:11], 0
	v_mov_b32_e32 v8, v0
.LBB212_3:                              ; =>This Inner Loop Header: Depth=1
	global_load_dword v9, v[3:4], off
	global_load_dword v10, v[5:6], off
	v_mov_b32_e32 v12, s3
	v_add_co_u32_e32 v5, vcc, s2, v5
	v_add_u32_e32 v8, 32, v8
	v_addc_co_u32_e32 v6, vcc, v6, v12, vcc
	v_mov_b32_e32 v11, s5
	v_add_co_u32_e64 v3, s[0:1], s4, v3
	v_cmp_le_i32_e32 vcc, s12, v8
	v_addc_co_u32_e64 v4, s[0:1], v4, v11, s[0:1]
	s_or_b64 s[10:11], vcc, s[10:11]
	s_waitcnt vmcnt(0)
	v_fmac_f32_e32 v7, v9, v10
	s_andn2_b64 exec, exec, s[10:11]
	s_cbranch_execnz .LBB212_3
; %bb.4:
	s_or_b64 exec, exec, s[10:11]
.LBB212_5:
	s_or_b64 exec, exec, s[8:9]
	v_mbcnt_lo_u32_b32 v3, -1, 0
	v_mbcnt_hi_u32_b32 v3, -1, v3
	v_and_b32_e32 v4, 63, v3
	v_cmp_gt_u32_e32 vcc, 48, v4
	v_cndmask_b32_e64 v5, 0, 16, vcc
	v_add_lshl_u32 v5, v5, v3, 2
	ds_bpermute_b32 v5, v5, v7
	v_cmp_gt_u32_e32 vcc, 56, v4
	v_cndmask_b32_e64 v6, 0, 8, vcc
	v_add_lshl_u32 v6, v6, v3, 2
	v_cmp_gt_u32_e32 vcc, 60, v4
	s_waitcnt lgkmcnt(0)
	v_add_f32_e32 v5, v7, v5
	ds_bpermute_b32 v6, v6, v5
	v_cndmask_b32_e64 v7, 0, 4, vcc
	v_add_lshl_u32 v7, v7, v3, 2
	v_cmp_gt_u32_e32 vcc, 62, v4
	s_waitcnt lgkmcnt(0)
	v_add_f32_e32 v5, v5, v6
	ds_bpermute_b32 v6, v7, v5
	v_cndmask_b32_e64 v7, 0, 2, vcc
	v_add_lshl_u32 v7, v7, v3, 2
	v_cmp_ne_u32_e32 vcc, 63, v4
	v_addc_co_u32_e32 v4, vcc, 0, v3, vcc
	s_waitcnt lgkmcnt(0)
	v_add_f32_e32 v5, v5, v6
	ds_bpermute_b32 v6, v7, v5
	v_lshlrev_b32_e32 v4, 2, v4
	v_cmp_eq_u32_e32 vcc, 0, v0
	s_waitcnt lgkmcnt(0)
	s_barrier
	v_add_f32_e32 v3, v5, v6
	ds_bpermute_b32 v4, v4, v3
	s_and_b64 exec, exec, vcc
	s_cbranch_execz .LBB212_7
; %bb.6:
	v_lshlrev_b64 v[0:1], 2, v[1:2]
	v_mov_b32_e32 v2, s7
	v_add_co_u32_e32 v0, vcc, s6, v0
	v_addc_co_u32_e32 v1, vcc, v2, v1, vcc
	s_waitcnt lgkmcnt(0)
	v_add_f32_e32 v2, v3, v4
	global_store_dword v[0:1], v2, off
.LBB212_7:
	s_endpgm
	.section	.rodata,"a",@progbits
	.p2align	6, 0x0
	.amdhsa_kernel _ZL28rocblas_dot_batched_4_kernelIiLi32ELi4ELb1EffPKfEviT5_lT_lS2_lS3_liPT4_
		.amdhsa_group_segment_fixed_size 0
		.amdhsa_private_segment_fixed_size 0
		.amdhsa_kernarg_size 88
		.amdhsa_user_sgpr_count 6
		.amdhsa_user_sgpr_private_segment_buffer 1
		.amdhsa_user_sgpr_dispatch_ptr 0
		.amdhsa_user_sgpr_queue_ptr 0
		.amdhsa_user_sgpr_kernarg_segment_ptr 1
		.amdhsa_user_sgpr_dispatch_id 0
		.amdhsa_user_sgpr_flat_scratch_init 0
		.amdhsa_user_sgpr_private_segment_size 0
		.amdhsa_uses_dynamic_stack 0
		.amdhsa_system_sgpr_private_segment_wavefront_offset 0
		.amdhsa_system_sgpr_workgroup_id_x 1
		.amdhsa_system_sgpr_workgroup_id_y 0
		.amdhsa_system_sgpr_workgroup_id_z 0
		.amdhsa_system_sgpr_workgroup_info 0
		.amdhsa_system_vgpr_workitem_id 1
		.amdhsa_next_free_vgpr 13
		.amdhsa_next_free_sgpr 22
		.amdhsa_reserve_vcc 1
		.amdhsa_reserve_flat_scratch 0
		.amdhsa_float_round_mode_32 0
		.amdhsa_float_round_mode_16_64 0
		.amdhsa_float_denorm_mode_32 3
		.amdhsa_float_denorm_mode_16_64 3
		.amdhsa_dx10_clamp 1
		.amdhsa_ieee_mode 1
		.amdhsa_fp16_overflow 0
		.amdhsa_exception_fp_ieee_invalid_op 0
		.amdhsa_exception_fp_denorm_src 0
		.amdhsa_exception_fp_ieee_div_zero 0
		.amdhsa_exception_fp_ieee_overflow 0
		.amdhsa_exception_fp_ieee_underflow 0
		.amdhsa_exception_fp_ieee_inexact 0
		.amdhsa_exception_int_div_zero 0
	.end_amdhsa_kernel
	.section	.text._ZL28rocblas_dot_batched_4_kernelIiLi32ELi4ELb1EffPKfEviT5_lT_lS2_lS3_liPT4_,"axG",@progbits,_ZL28rocblas_dot_batched_4_kernelIiLi32ELi4ELb1EffPKfEviT5_lT_lS2_lS3_liPT4_,comdat
.Lfunc_end212:
	.size	_ZL28rocblas_dot_batched_4_kernelIiLi32ELi4ELb1EffPKfEviT5_lT_lS2_lS3_liPT4_, .Lfunc_end212-_ZL28rocblas_dot_batched_4_kernelIiLi32ELi4ELb1EffPKfEviT5_lT_lS2_lS3_liPT4_
                                        ; -- End function
	.set _ZL28rocblas_dot_batched_4_kernelIiLi32ELi4ELb1EffPKfEviT5_lT_lS2_lS3_liPT4_.num_vgpr, 13
	.set _ZL28rocblas_dot_batched_4_kernelIiLi32ELi4ELb1EffPKfEviT5_lT_lS2_lS3_liPT4_.num_agpr, 0
	.set _ZL28rocblas_dot_batched_4_kernelIiLi32ELi4ELb1EffPKfEviT5_lT_lS2_lS3_liPT4_.numbered_sgpr, 22
	.set _ZL28rocblas_dot_batched_4_kernelIiLi32ELi4ELb1EffPKfEviT5_lT_lS2_lS3_liPT4_.num_named_barrier, 0
	.set _ZL28rocblas_dot_batched_4_kernelIiLi32ELi4ELb1EffPKfEviT5_lT_lS2_lS3_liPT4_.private_seg_size, 0
	.set _ZL28rocblas_dot_batched_4_kernelIiLi32ELi4ELb1EffPKfEviT5_lT_lS2_lS3_liPT4_.uses_vcc, 1
	.set _ZL28rocblas_dot_batched_4_kernelIiLi32ELi4ELb1EffPKfEviT5_lT_lS2_lS3_liPT4_.uses_flat_scratch, 0
	.set _ZL28rocblas_dot_batched_4_kernelIiLi32ELi4ELb1EffPKfEviT5_lT_lS2_lS3_liPT4_.has_dyn_sized_stack, 0
	.set _ZL28rocblas_dot_batched_4_kernelIiLi32ELi4ELb1EffPKfEviT5_lT_lS2_lS3_liPT4_.has_recursion, 0
	.set _ZL28rocblas_dot_batched_4_kernelIiLi32ELi4ELb1EffPKfEviT5_lT_lS2_lS3_liPT4_.has_indirect_call, 0
	.section	.AMDGPU.csdata,"",@progbits
; Kernel info:
; codeLenInByte = 636
; TotalNumSgprs: 26
; NumVgprs: 13
; ScratchSize: 0
; MemoryBound: 0
; FloatMode: 240
; IeeeMode: 1
; LDSByteSize: 0 bytes/workgroup (compile time only)
; SGPRBlocks: 3
; VGPRBlocks: 3
; NumSGPRsForWavesPerEU: 26
; NumVGPRsForWavesPerEU: 13
; Occupancy: 10
; WaveLimiterHint : 0
; COMPUTE_PGM_RSRC2:SCRATCH_EN: 0
; COMPUTE_PGM_RSRC2:USER_SGPR: 6
; COMPUTE_PGM_RSRC2:TRAP_HANDLER: 0
; COMPUTE_PGM_RSRC2:TGID_X_EN: 1
; COMPUTE_PGM_RSRC2:TGID_Y_EN: 0
; COMPUTE_PGM_RSRC2:TGID_Z_EN: 0
; COMPUTE_PGM_RSRC2:TIDIG_COMP_CNT: 1
	.section	.text._ZL28rocblas_dot_batched_4_kernelIiLi64ELi4ELb1EffPKfEviT5_lT_lS2_lS3_liPT4_,"axG",@progbits,_ZL28rocblas_dot_batched_4_kernelIiLi64ELi4ELb1EffPKfEviT5_lT_lS2_lS3_liPT4_,comdat
	.globl	_ZL28rocblas_dot_batched_4_kernelIiLi64ELi4ELb1EffPKfEviT5_lT_lS2_lS3_liPT4_ ; -- Begin function _ZL28rocblas_dot_batched_4_kernelIiLi64ELi4ELb1EffPKfEviT5_lT_lS2_lS3_liPT4_
	.p2align	8
	.type	_ZL28rocblas_dot_batched_4_kernelIiLi64ELi4ELb1EffPKfEviT5_lT_lS2_lS3_liPT4_,@function
_ZL28rocblas_dot_batched_4_kernelIiLi64ELi4ELb1EffPKfEviT5_lT_lS2_lS3_liPT4_: ; @_ZL28rocblas_dot_batched_4_kernelIiLi64ELi4ELb1EffPKfEviT5_lT_lS2_lS3_liPT4_
; %bb.0:
	s_load_dword s0, s[4:5], 0x48
	v_lshl_add_u32 v1, s6, 2, v1
	s_waitcnt lgkmcnt(0)
	v_cmp_gt_u32_e32 vcc, s0, v1
	s_and_saveexec_b64 s[0:1], vcc
	s_cbranch_execz .LBB213_7
; %bb.1:
	s_load_dword s12, s[4:5], 0x0
	s_load_dwordx2 s[6:7], s[4:5], 0x50
	v_mov_b32_e32 v2, 0
	v_mov_b32_e32 v7, v2
	s_waitcnt lgkmcnt(0)
	v_cmp_gt_i32_e32 vcc, s12, v0
	s_and_saveexec_b64 s[8:9], vcc
	s_cbranch_execz .LBB213_5
; %bb.2:
	s_load_dwordx4 s[0:3], s[4:5], 0x20
	s_load_dwordx4 s[16:19], s[4:5], 0x8
	s_load_dword s10, s[4:5], 0x18
	s_load_dwordx2 s[14:15], s[4:5], 0x30
	s_waitcnt lgkmcnt(0)
	v_mad_u64_u32 v[3:4], s[20:21], s0, v1, 0
	s_load_dword s0, s[4:5], 0x38
	s_load_dwordx2 s[20:21], s[4:5], 0x40
	v_mad_i64_i32 v[5:6], s[4:5], s10, v0, 0
	s_ashr_i32 s11, s10, 31
	v_mad_u64_u32 v[7:8], s[4:5], s1, v1, v[4:5]
	v_lshlrev_b64 v[5:6], 2, v[5:6]
	s_waitcnt lgkmcnt(0)
	s_ashr_i32 s1, s0, 31
	v_mov_b32_e32 v4, v7
	v_lshlrev_b64 v[3:4], 2, v[3:4]
	s_lshl_b64 s[4:5], s[18:19], 2
	v_add_co_u32_e32 v11, vcc, v5, v3
	s_add_u32 s13, s16, s4
	v_addc_co_u32_e32 v4, vcc, v6, v4, vcc
	s_addc_u32 s16, s17, s5
	v_mad_u64_u32 v[5:6], s[4:5], s20, v1, 0
	v_mad_i64_i32 v[7:8], s[4:5], s0, v0, 0
	v_mov_b32_e32 v3, v6
	v_mad_u64_u32 v[9:10], s[4:5], s21, v1, v[3:4]
	v_mov_b32_e32 v12, s16
	v_add_co_u32_e32 v3, vcc, s13, v11
	v_mov_b32_e32 v6, v9
	v_lshlrev_b64 v[7:8], 2, v[7:8]
	v_lshlrev_b64 v[5:6], 2, v[5:6]
	v_addc_co_u32_e32 v4, vcc, v12, v4, vcc
	s_lshl_b64 s[4:5], s[10:11], 8
	s_lshl_b64 s[10:11], s[14:15], 2
	v_add_co_u32_e32 v5, vcc, v7, v5
	s_add_u32 s2, s2, s10
	v_addc_co_u32_e32 v6, vcc, v8, v6, vcc
	s_addc_u32 s3, s3, s11
	v_mov_b32_e32 v7, s3
	v_add_co_u32_e32 v5, vcc, s2, v5
	v_addc_co_u32_e32 v6, vcc, v7, v6, vcc
	s_lshl_b64 s[2:3], s[0:1], 8
	v_mov_b32_e32 v7, 0
	s_mov_b64 s[10:11], 0
	v_mov_b32_e32 v8, v0
.LBB213_3:                              ; =>This Inner Loop Header: Depth=1
	global_load_dword v9, v[3:4], off
	global_load_dword v10, v[5:6], off
	v_mov_b32_e32 v12, s3
	v_add_co_u32_e32 v5, vcc, s2, v5
	v_add_u32_e32 v8, 64, v8
	v_addc_co_u32_e32 v6, vcc, v6, v12, vcc
	v_mov_b32_e32 v11, s5
	v_add_co_u32_e64 v3, s[0:1], s4, v3
	v_cmp_le_i32_e32 vcc, s12, v8
	v_addc_co_u32_e64 v4, s[0:1], v4, v11, s[0:1]
	s_or_b64 s[10:11], vcc, s[10:11]
	s_waitcnt vmcnt(0)
	v_fmac_f32_e32 v7, v9, v10
	s_andn2_b64 exec, exec, s[10:11]
	s_cbranch_execnz .LBB213_3
; %bb.4:
	s_or_b64 exec, exec, s[10:11]
.LBB213_5:
	s_or_b64 exec, exec, s[8:9]
	v_mbcnt_lo_u32_b32 v3, -1, 0
	v_mbcnt_hi_u32_b32 v3, -1, v3
	v_mov_b32_e32 v4, 0x80
	v_lshl_or_b32 v4, v3, 2, v4
	ds_bpermute_b32 v4, v4, v7
	v_and_b32_e32 v5, 63, v3
	v_cmp_gt_u32_e32 vcc, 48, v5
	v_cndmask_b32_e64 v6, 0, 16, vcc
	v_add_lshl_u32 v6, v6, v3, 2
	s_waitcnt lgkmcnt(0)
	v_add_f32_e32 v4, v7, v4
	ds_bpermute_b32 v6, v6, v4
	v_cmp_gt_u32_e32 vcc, 56, v5
	v_cndmask_b32_e64 v7, 0, 8, vcc
	v_add_lshl_u32 v7, v7, v3, 2
	v_cmp_gt_u32_e32 vcc, 60, v5
	s_waitcnt lgkmcnt(0)
	v_add_f32_e32 v4, v4, v6
	ds_bpermute_b32 v6, v7, v4
	v_cndmask_b32_e64 v7, 0, 4, vcc
	v_add_lshl_u32 v7, v7, v3, 2
	v_cmp_gt_u32_e32 vcc, 62, v5
	s_waitcnt lgkmcnt(0)
	v_add_f32_e32 v4, v4, v6
	ds_bpermute_b32 v6, v7, v4
	v_cndmask_b32_e64 v7, 0, 2, vcc
	v_add_lshl_u32 v7, v7, v3, 2
	v_cmp_ne_u32_e32 vcc, 63, v5
	v_addc_co_u32_e32 v5, vcc, 0, v3, vcc
	s_waitcnt lgkmcnt(0)
	v_add_f32_e32 v4, v4, v6
	ds_bpermute_b32 v6, v7, v4
	v_cmp_eq_u32_e32 vcc, 0, v0
	s_waitcnt lgkmcnt(0)
	s_barrier
	v_add_f32_e32 v3, v4, v6
	v_lshlrev_b32_e32 v4, 2, v5
	ds_bpermute_b32 v4, v4, v3
	s_and_b64 exec, exec, vcc
	s_cbranch_execz .LBB213_7
; %bb.6:
	v_lshlrev_b64 v[0:1], 2, v[1:2]
	v_mov_b32_e32 v2, s7
	v_add_co_u32_e32 v0, vcc, s6, v0
	v_addc_co_u32_e32 v1, vcc, v2, v1, vcc
	s_waitcnt lgkmcnt(0)
	v_add_f32_e32 v2, v3, v4
	global_store_dword v[0:1], v2, off
.LBB213_7:
	s_endpgm
	.section	.rodata,"a",@progbits
	.p2align	6, 0x0
	.amdhsa_kernel _ZL28rocblas_dot_batched_4_kernelIiLi64ELi4ELb1EffPKfEviT5_lT_lS2_lS3_liPT4_
		.amdhsa_group_segment_fixed_size 0
		.amdhsa_private_segment_fixed_size 0
		.amdhsa_kernarg_size 88
		.amdhsa_user_sgpr_count 6
		.amdhsa_user_sgpr_private_segment_buffer 1
		.amdhsa_user_sgpr_dispatch_ptr 0
		.amdhsa_user_sgpr_queue_ptr 0
		.amdhsa_user_sgpr_kernarg_segment_ptr 1
		.amdhsa_user_sgpr_dispatch_id 0
		.amdhsa_user_sgpr_flat_scratch_init 0
		.amdhsa_user_sgpr_private_segment_size 0
		.amdhsa_uses_dynamic_stack 0
		.amdhsa_system_sgpr_private_segment_wavefront_offset 0
		.amdhsa_system_sgpr_workgroup_id_x 1
		.amdhsa_system_sgpr_workgroup_id_y 0
		.amdhsa_system_sgpr_workgroup_id_z 0
		.amdhsa_system_sgpr_workgroup_info 0
		.amdhsa_system_vgpr_workitem_id 1
		.amdhsa_next_free_vgpr 13
		.amdhsa_next_free_sgpr 22
		.amdhsa_reserve_vcc 1
		.amdhsa_reserve_flat_scratch 0
		.amdhsa_float_round_mode_32 0
		.amdhsa_float_round_mode_16_64 0
		.amdhsa_float_denorm_mode_32 3
		.amdhsa_float_denorm_mode_16_64 3
		.amdhsa_dx10_clamp 1
		.amdhsa_ieee_mode 1
		.amdhsa_fp16_overflow 0
		.amdhsa_exception_fp_ieee_invalid_op 0
		.amdhsa_exception_fp_denorm_src 0
		.amdhsa_exception_fp_ieee_div_zero 0
		.amdhsa_exception_fp_ieee_overflow 0
		.amdhsa_exception_fp_ieee_underflow 0
		.amdhsa_exception_fp_ieee_inexact 0
		.amdhsa_exception_int_div_zero 0
	.end_amdhsa_kernel
	.section	.text._ZL28rocblas_dot_batched_4_kernelIiLi64ELi4ELb1EffPKfEviT5_lT_lS2_lS3_liPT4_,"axG",@progbits,_ZL28rocblas_dot_batched_4_kernelIiLi64ELi4ELb1EffPKfEviT5_lT_lS2_lS3_liPT4_,comdat
.Lfunc_end213:
	.size	_ZL28rocblas_dot_batched_4_kernelIiLi64ELi4ELb1EffPKfEviT5_lT_lS2_lS3_liPT4_, .Lfunc_end213-_ZL28rocblas_dot_batched_4_kernelIiLi64ELi4ELb1EffPKfEviT5_lT_lS2_lS3_liPT4_
                                        ; -- End function
	.set _ZL28rocblas_dot_batched_4_kernelIiLi64ELi4ELb1EffPKfEviT5_lT_lS2_lS3_liPT4_.num_vgpr, 13
	.set _ZL28rocblas_dot_batched_4_kernelIiLi64ELi4ELb1EffPKfEviT5_lT_lS2_lS3_liPT4_.num_agpr, 0
	.set _ZL28rocblas_dot_batched_4_kernelIiLi64ELi4ELb1EffPKfEviT5_lT_lS2_lS3_liPT4_.numbered_sgpr, 22
	.set _ZL28rocblas_dot_batched_4_kernelIiLi64ELi4ELb1EffPKfEviT5_lT_lS2_lS3_liPT4_.num_named_barrier, 0
	.set _ZL28rocblas_dot_batched_4_kernelIiLi64ELi4ELb1EffPKfEviT5_lT_lS2_lS3_liPT4_.private_seg_size, 0
	.set _ZL28rocblas_dot_batched_4_kernelIiLi64ELi4ELb1EffPKfEviT5_lT_lS2_lS3_liPT4_.uses_vcc, 1
	.set _ZL28rocblas_dot_batched_4_kernelIiLi64ELi4ELb1EffPKfEviT5_lT_lS2_lS3_liPT4_.uses_flat_scratch, 0
	.set _ZL28rocblas_dot_batched_4_kernelIiLi64ELi4ELb1EffPKfEviT5_lT_lS2_lS3_liPT4_.has_dyn_sized_stack, 0
	.set _ZL28rocblas_dot_batched_4_kernelIiLi64ELi4ELb1EffPKfEviT5_lT_lS2_lS3_liPT4_.has_recursion, 0
	.set _ZL28rocblas_dot_batched_4_kernelIiLi64ELi4ELb1EffPKfEviT5_lT_lS2_lS3_liPT4_.has_indirect_call, 0
	.section	.AMDGPU.csdata,"",@progbits
; Kernel info:
; codeLenInByte = 668
; TotalNumSgprs: 26
; NumVgprs: 13
; ScratchSize: 0
; MemoryBound: 0
; FloatMode: 240
; IeeeMode: 1
; LDSByteSize: 0 bytes/workgroup (compile time only)
; SGPRBlocks: 3
; VGPRBlocks: 3
; NumSGPRsForWavesPerEU: 26
; NumVGPRsForWavesPerEU: 13
; Occupancy: 10
; WaveLimiterHint : 0
; COMPUTE_PGM_RSRC2:SCRATCH_EN: 0
; COMPUTE_PGM_RSRC2:USER_SGPR: 6
; COMPUTE_PGM_RSRC2:TRAP_HANDLER: 0
; COMPUTE_PGM_RSRC2:TGID_X_EN: 1
; COMPUTE_PGM_RSRC2:TGID_Y_EN: 0
; COMPUTE_PGM_RSRC2:TGID_Z_EN: 0
; COMPUTE_PGM_RSRC2:TIDIG_COMP_CNT: 1
	.section	.text._ZL26rocblas_dot_kernel_inc1by2ILb1ELi1024ELi32ELb1EfPKffEviT4_llS2_lliPT5_PT3_,"axG",@progbits,_ZL26rocblas_dot_kernel_inc1by2ILb1ELi1024ELi32ELb1EfPKffEviT4_llS2_lliPT5_PT3_,comdat
	.globl	_ZL26rocblas_dot_kernel_inc1by2ILb1ELi1024ELi32ELb1EfPKffEviT4_llS2_lliPT5_PT3_ ; -- Begin function _ZL26rocblas_dot_kernel_inc1by2ILb1ELi1024ELi32ELb1EfPKffEviT4_llS2_lliPT5_PT3_
	.p2align	8
	.type	_ZL26rocblas_dot_kernel_inc1by2ILb1ELi1024ELi32ELb1EfPKffEviT4_llS2_lliPT5_PT3_,@function
_ZL26rocblas_dot_kernel_inc1by2ILb1ELi1024ELi32ELb1EfPKffEviT4_llS2_lliPT5_PT3_: ; @_ZL26rocblas_dot_kernel_inc1by2ILb1ELi1024ELi32ELb1EfPKffEviT4_llS2_lliPT5_PT3_
; %bb.0:
	s_mov_b32 s2, s7
	s_load_dword s24, s[4:5], 0x0
	s_load_dwordx2 s[18:19], s[4:5], 0x8
	s_load_dwordx4 s[12:15], s[4:5], 0x10
	s_load_dwordx2 s[16:17], s[4:5], 0x20
	s_load_dwordx2 s[6:7], s[4:5], 0x48
	s_load_dwordx4 s[8:11], s[4:5], 0x28
	v_lshlrev_b32_e32 v6, 1, v0
	s_waitcnt lgkmcnt(0)
	s_mul_i32 s0, s15, s2
	s_mul_hi_u32 s1, s14, s2
	s_add_i32 s15, s1, s0
	s_mul_i32 s0, s11, s2
	s_mul_hi_u32 s1, s10, s2
	s_add_i32 s4, s24, -1
	s_mov_b32 s3, 0
	s_mul_i32 s14, s14, s2
	s_add_i32 s11, s1, s0
	s_mul_i32 s10, s10, s2
	v_cmp_gt_i32_e32 vcc, s4, v6
	v_mov_b32_e32 v5, 0
	s_and_saveexec_b64 s[20:21], vcc
	s_cbranch_execz .LBB214_4
; %bb.1:
	s_lshl_b64 s[0:1], s[10:11], 2
	s_lshl_b64 s[22:23], s[8:9], 2
	s_add_u32 s5, s16, s22
	s_addc_u32 s22, s17, s23
	s_add_u32 s0, s5, s0
	v_lshlrev_b32_e32 v3, 3, v0
	s_addc_u32 s1, s22, s1
	v_mov_b32_e32 v1, s1
	v_add_co_u32_e32 v2, vcc, s0, v3
	s_lshl_b64 s[0:1], s[14:15], 2
	s_lshl_b64 s[22:23], s[12:13], 2
	s_add_u32 s5, s18, s22
	v_addc_co_u32_e32 v4, vcc, 0, v1, vcc
	s_addc_u32 s22, s19, s23
	v_add_co_u32_e32 v1, vcc, 4, v2
	s_add_u32 s0, s5, s0
	v_addc_co_u32_e32 v2, vcc, 0, v4, vcc
	s_addc_u32 s1, s22, s1
	v_mov_b32_e32 v4, s1
	v_add_co_u32_e32 v3, vcc, s0, v3
	v_addc_co_u32_e32 v4, vcc, 0, v4, vcc
	v_add_co_u32_e32 v3, vcc, 4, v3
	v_mov_b32_e32 v5, 0
	v_addc_co_u32_e32 v4, vcc, 0, v4, vcc
	s_mov_b64 s[22:23], 0
	s_mov_b32 s5, s3
.LBB214_2:                              ; =>This Inner Loop Header: Depth=1
	global_load_dwordx2 v[7:8], v[1:2], off offset:-4
	global_load_dwordx2 v[9:10], v[3:4], off offset:-4
	s_add_i32 s25, s5, 1
	v_add_u32_e32 v6, 0x800, v6
	s_cmp_gt_u32 s5, 30
	v_add_co_u32_e32 v1, vcc, 0x2000, v1
	v_cmp_le_i32_e64 s[0:1], s4, v6
	s_cselect_b64 s[26:27], -1, 0
	v_addc_co_u32_e32 v2, vcc, 0, v2, vcc
	s_or_b64 s[0:1], s[26:27], s[0:1]
	v_add_co_u32_e32 v3, vcc, 0x2000, v3
	s_and_b64 s[0:1], exec, s[0:1]
	s_mov_b32 s5, s25
	v_addc_co_u32_e32 v4, vcc, 0, v4, vcc
	s_or_b64 s[22:23], s[0:1], s[22:23]
	s_waitcnt vmcnt(0)
	v_fmac_f32_e32 v5, v7, v9
	v_fmac_f32_e32 v5, v8, v10
	s_andn2_b64 exec, exec, s[22:23]
	s_cbranch_execnz .LBB214_2
; %bb.3:
	s_or_b64 exec, exec, s[22:23]
.LBB214_4:
	s_or_b64 exec, exec, s[20:21]
	s_bitcmp1_b32 s24, 0
	s_cselect_b64 s[0:1], -1, 0
	v_cmp_eq_u32_e32 vcc, s4, v6
	s_and_b64 s[20:21], s[0:1], vcc
	s_and_saveexec_b64 s[0:1], s[20:21]
	s_cbranch_execz .LBB214_6
; %bb.5:
	s_lshl_b64 s[14:15], s[14:15], 2
	s_add_u32 s5, s18, s14
	s_addc_u32 s14, s19, s15
	s_lshl_b64 s[12:13], s[12:13], 2
	s_add_u32 s12, s5, s12
	s_addc_u32 s13, s14, s13
	;; [unrolled: 3-line block ×3, first 2 shown]
	s_lshl_b64 s[8:9], s[8:9], 2
	s_add_u32 s11, s5, s8
	s_mov_b32 s5, 0
	s_addc_u32 s10, s10, s9
	s_lshl_b64 s[4:5], s[4:5], 2
	s_add_u32 s8, s12, s4
	s_addc_u32 s9, s13, s5
	s_add_u32 s4, s11, s4
	s_addc_u32 s5, s10, s5
	s_load_dword s10, s[8:9], 0x0
	s_load_dword s11, s[4:5], 0x0
	s_waitcnt lgkmcnt(0)
	v_mov_b32_e32 v1, s10
	v_fmac_f32_e32 v5, s11, v1
.LBB214_6:
	s_or_b64 exec, exec, s[0:1]
	v_and_b32_e32 v4, 63, v0
	v_cmp_gt_u32_e32 vcc, 64, v0
	v_lshlrev_b32_e32 v1, 2, v4
	s_and_saveexec_b64 s[0:1], vcc
; %bb.7:
	v_mov_b32_e32 v2, 0
	ds_write_b32 v1, v2
; %bb.8:
	s_or_b64 exec, exec, s[0:1]
	v_mbcnt_lo_u32_b32 v2, -1, 0
	v_mbcnt_hi_u32_b32 v6, -1, v2
	v_mov_b32_e32 v2, 0x80
	v_lshl_or_b32 v2, v6, 2, v2
	ds_bpermute_b32 v2, v2, v5
	v_and_b32_e32 v7, 63, v6
	v_cmp_gt_u32_e64 s[0:1], 48, v7
	v_cndmask_b32_e64 v3, 0, 16, s[0:1]
	v_cmp_gt_u32_e64 s[0:1], 56, v7
	s_waitcnt lgkmcnt(0)
	v_add_f32_e32 v5, v5, v2
	v_add_lshl_u32 v2, v3, v6, 2
	ds_bpermute_b32 v3, v2, v5
	v_cndmask_b32_e64 v2, 0, 8, s[0:1]
	v_add_lshl_u32 v2, v2, v6, 2
	v_cmp_gt_u32_e64 s[0:1], 60, v7
	s_waitcnt lgkmcnt(0)
	v_add_f32_e32 v5, v5, v3
	ds_bpermute_b32 v8, v2, v5
	v_cndmask_b32_e64 v3, 0, 4, s[0:1]
	v_add_lshl_u32 v3, v3, v6, 2
	v_cmp_gt_u32_e64 s[0:1], 62, v7
	s_waitcnt lgkmcnt(0)
	s_barrier
	v_add_f32_e32 v8, v5, v8
	ds_bpermute_b32 v9, v3, v8
	v_cndmask_b32_e64 v5, 0, 2, s[0:1]
	v_add_lshl_u32 v5, v5, v6, 2
	v_cmp_ne_u32_e64 s[0:1], 63, v7
	v_addc_co_u32_e64 v6, s[0:1], 0, v6, s[0:1]
	s_waitcnt lgkmcnt(0)
	v_add_f32_e32 v8, v8, v9
	ds_bpermute_b32 v9, v5, v8
	v_lshlrev_b32_e32 v6, 2, v6
	v_cmp_eq_u32_e64 s[0:1], 0, v4
	s_waitcnt lgkmcnt(0)
	v_add_f32_e32 v7, v8, v9
	ds_bpermute_b32 v8, v6, v7
	s_and_saveexec_b64 s[4:5], s[0:1]
	s_cbranch_execz .LBB214_10
; %bb.9:
	s_waitcnt lgkmcnt(0)
	v_add_f32_e32 v4, v7, v8
	v_lshrrev_b32_e32 v7, 4, v0
	v_and_b32_e32 v7, 60, v7
	ds_write_b32 v7, v4
.LBB214_10:
	s_or_b64 exec, exec, s[4:5]
	v_cmp_gt_u32_e64 s[0:1], 16, v0
	v_mov_b32_e32 v4, 0
	s_waitcnt lgkmcnt(0)
	s_barrier
	s_and_saveexec_b64 s[4:5], s[0:1]
	s_cbranch_execnz .LBB214_14
; %bb.11:
	s_or_b64 exec, exec, s[4:5]
	s_and_saveexec_b64 s[0:1], vcc
	s_cbranch_execnz .LBB214_15
.LBB214_12:
	s_or_b64 exec, exec, s[0:1]
	v_cmp_eq_u32_e32 vcc, 0, v0
	s_and_saveexec_b64 s[0:1], vcc
	s_cbranch_execnz .LBB214_16
.LBB214_13:
	s_endpgm
.LBB214_14:
	ds_read_b32 v4, v1
	s_or_b64 exec, exec, s[4:5]
	s_and_saveexec_b64 s[0:1], vcc
	s_cbranch_execz .LBB214_12
.LBB214_15:
	s_waitcnt lgkmcnt(0)
	ds_bpermute_b32 v1, v2, v4
	s_waitcnt lgkmcnt(0)
	v_add_f32_e32 v1, v4, v1
	ds_bpermute_b32 v2, v3, v1
	s_waitcnt lgkmcnt(0)
	v_add_f32_e32 v1, v1, v2
	;; [unrolled: 3-line block ×4, first 2 shown]
	s_or_b64 exec, exec, s[0:1]
	v_cmp_eq_u32_e32 vcc, 0, v0
	s_and_saveexec_b64 s[0:1], vcc
	s_cbranch_execz .LBB214_13
.LBB214_16:
	s_lshl_b64 s[0:1], s[2:3], 2
	s_add_u32 s0, s6, s0
	s_addc_u32 s1, s7, s1
	v_mov_b32_e32 v0, 0
	s_waitcnt lgkmcnt(0)
	global_store_dword v0, v4, s[0:1]
	s_endpgm
	.section	.rodata,"a",@progbits
	.p2align	6, 0x0
	.amdhsa_kernel _ZL26rocblas_dot_kernel_inc1by2ILb1ELi1024ELi32ELb1EfPKffEviT4_llS2_lliPT5_PT3_
		.amdhsa_group_segment_fixed_size 256
		.amdhsa_private_segment_fixed_size 0
		.amdhsa_kernarg_size 80
		.amdhsa_user_sgpr_count 6
		.amdhsa_user_sgpr_private_segment_buffer 1
		.amdhsa_user_sgpr_dispatch_ptr 0
		.amdhsa_user_sgpr_queue_ptr 0
		.amdhsa_user_sgpr_kernarg_segment_ptr 1
		.amdhsa_user_sgpr_dispatch_id 0
		.amdhsa_user_sgpr_flat_scratch_init 0
		.amdhsa_user_sgpr_private_segment_size 0
		.amdhsa_uses_dynamic_stack 0
		.amdhsa_system_sgpr_private_segment_wavefront_offset 0
		.amdhsa_system_sgpr_workgroup_id_x 1
		.amdhsa_system_sgpr_workgroup_id_y 0
		.amdhsa_system_sgpr_workgroup_id_z 1
		.amdhsa_system_sgpr_workgroup_info 0
		.amdhsa_system_vgpr_workitem_id 0
		.amdhsa_next_free_vgpr 11
		.amdhsa_next_free_sgpr 28
		.amdhsa_reserve_vcc 1
		.amdhsa_reserve_flat_scratch 0
		.amdhsa_float_round_mode_32 0
		.amdhsa_float_round_mode_16_64 0
		.amdhsa_float_denorm_mode_32 3
		.amdhsa_float_denorm_mode_16_64 3
		.amdhsa_dx10_clamp 1
		.amdhsa_ieee_mode 1
		.amdhsa_fp16_overflow 0
		.amdhsa_exception_fp_ieee_invalid_op 0
		.amdhsa_exception_fp_denorm_src 0
		.amdhsa_exception_fp_ieee_div_zero 0
		.amdhsa_exception_fp_ieee_overflow 0
		.amdhsa_exception_fp_ieee_underflow 0
		.amdhsa_exception_fp_ieee_inexact 0
		.amdhsa_exception_int_div_zero 0
	.end_amdhsa_kernel
	.section	.text._ZL26rocblas_dot_kernel_inc1by2ILb1ELi1024ELi32ELb1EfPKffEviT4_llS2_lliPT5_PT3_,"axG",@progbits,_ZL26rocblas_dot_kernel_inc1by2ILb1ELi1024ELi32ELb1EfPKffEviT4_llS2_lliPT5_PT3_,comdat
.Lfunc_end214:
	.size	_ZL26rocblas_dot_kernel_inc1by2ILb1ELi1024ELi32ELb1EfPKffEviT4_llS2_lliPT5_PT3_, .Lfunc_end214-_ZL26rocblas_dot_kernel_inc1by2ILb1ELi1024ELi32ELb1EfPKffEviT4_llS2_lliPT5_PT3_
                                        ; -- End function
	.set _ZL26rocblas_dot_kernel_inc1by2ILb1ELi1024ELi32ELb1EfPKffEviT4_llS2_lliPT5_PT3_.num_vgpr, 11
	.set _ZL26rocblas_dot_kernel_inc1by2ILb1ELi1024ELi32ELb1EfPKffEviT4_llS2_lliPT5_PT3_.num_agpr, 0
	.set _ZL26rocblas_dot_kernel_inc1by2ILb1ELi1024ELi32ELb1EfPKffEviT4_llS2_lliPT5_PT3_.numbered_sgpr, 28
	.set _ZL26rocblas_dot_kernel_inc1by2ILb1ELi1024ELi32ELb1EfPKffEviT4_llS2_lliPT5_PT3_.num_named_barrier, 0
	.set _ZL26rocblas_dot_kernel_inc1by2ILb1ELi1024ELi32ELb1EfPKffEviT4_llS2_lliPT5_PT3_.private_seg_size, 0
	.set _ZL26rocblas_dot_kernel_inc1by2ILb1ELi1024ELi32ELb1EfPKffEviT4_llS2_lliPT5_PT3_.uses_vcc, 1
	.set _ZL26rocblas_dot_kernel_inc1by2ILb1ELi1024ELi32ELb1EfPKffEviT4_llS2_lliPT5_PT3_.uses_flat_scratch, 0
	.set _ZL26rocblas_dot_kernel_inc1by2ILb1ELi1024ELi32ELb1EfPKffEviT4_llS2_lliPT5_PT3_.has_dyn_sized_stack, 0
	.set _ZL26rocblas_dot_kernel_inc1by2ILb1ELi1024ELi32ELb1EfPKffEviT4_llS2_lliPT5_PT3_.has_recursion, 0
	.set _ZL26rocblas_dot_kernel_inc1by2ILb1ELi1024ELi32ELb1EfPKffEviT4_llS2_lliPT5_PT3_.has_indirect_call, 0
	.section	.AMDGPU.csdata,"",@progbits
; Kernel info:
; codeLenInByte = 976
; TotalNumSgprs: 32
; NumVgprs: 11
; ScratchSize: 0
; MemoryBound: 0
; FloatMode: 240
; IeeeMode: 1
; LDSByteSize: 256 bytes/workgroup (compile time only)
; SGPRBlocks: 3
; VGPRBlocks: 2
; NumSGPRsForWavesPerEU: 32
; NumVGPRsForWavesPerEU: 11
; Occupancy: 10
; WaveLimiterHint : 0
; COMPUTE_PGM_RSRC2:SCRATCH_EN: 0
; COMPUTE_PGM_RSRC2:USER_SGPR: 6
; COMPUTE_PGM_RSRC2:TRAP_HANDLER: 0
; COMPUTE_PGM_RSRC2:TGID_X_EN: 1
; COMPUTE_PGM_RSRC2:TGID_Y_EN: 0
; COMPUTE_PGM_RSRC2:TGID_Z_EN: 1
; COMPUTE_PGM_RSRC2:TIDIG_COMP_CNT: 0
	.section	.text._ZL18rocblas_dot_kernelIiLb1ELi1024ELi32ELb1EfPKffEviT5_lT_lS2_lS3_liPT6_PT4_,"axG",@progbits,_ZL18rocblas_dot_kernelIiLb1ELi1024ELi32ELb1EfPKffEviT5_lT_lS2_lS3_liPT6_PT4_,comdat
	.globl	_ZL18rocblas_dot_kernelIiLb1ELi1024ELi32ELb1EfPKffEviT5_lT_lS2_lS3_liPT6_PT4_ ; -- Begin function _ZL18rocblas_dot_kernelIiLb1ELi1024ELi32ELb1EfPKffEviT5_lT_lS2_lS3_liPT6_PT4_
	.p2align	8
	.type	_ZL18rocblas_dot_kernelIiLb1ELi1024ELi32ELb1EfPKffEviT5_lT_lS2_lS3_liPT6_PT4_,@function
_ZL18rocblas_dot_kernelIiLb1ELi1024ELi32ELb1EfPKffEviT5_lT_lS2_lS3_liPT6_PT4_: ; @_ZL18rocblas_dot_kernelIiLb1ELi1024ELi32ELb1EfPKffEviT5_lT_lS2_lS3_liPT6_PT4_
; %bb.0:
	s_load_dword s14, s[4:5], 0x0
	s_load_dwordx2 s[8:9], s[4:5], 0x58
	s_mov_b32 s6, s7
	s_mov_b32 s7, 0
	v_mov_b32_e32 v6, 0
	s_waitcnt lgkmcnt(0)
	v_cmp_gt_i32_e32 vcc, s14, v0
	s_and_saveexec_b64 s[10:11], vcc
	s_cbranch_execz .LBB215_4
; %bb.1:
	s_load_dword s22, s[4:5], 0x38
	s_load_dwordx2 s[12:13], s[4:5], 0x40
	s_load_dword s15, s[4:5], 0x60
	s_load_dwordx4 s[0:3], s[4:5], 0x20
	s_load_dwordx4 s[16:19], s[4:5], 0x8
	s_load_dword s23, s[4:5], 0x18
	s_load_dwordx2 s[20:21], s[4:5], 0x30
	s_waitcnt lgkmcnt(0)
	s_lshl_b32 s15, s15, 10
	s_mul_i32 s1, s1, s6
	s_mul_hi_u32 s24, s0, s6
	v_mad_i64_i32 v[1:2], s[4:5], s23, v0, 0
	s_add_i32 s1, s24, s1
	s_mul_i32 s0, s0, s6
	s_lshl_b64 s[0:1], s[0:1], 2
	s_lshl_b64 s[4:5], s[18:19], 2
	s_add_u32 s4, s16, s4
	s_addc_u32 s5, s17, s5
	v_lshlrev_b64 v[1:2], 2, v[1:2]
	s_add_u32 s0, s4, s0
	s_addc_u32 s1, s5, s1
	v_mov_b32_e32 v3, s1
	v_add_co_u32_e32 v1, vcc, s0, v1
	s_mul_hi_i32 s1, s23, s15
	s_mul_i32 s0, s23, s15
	v_addc_co_u32_e32 v2, vcc, v3, v2, vcc
	s_lshl_b64 s[4:5], s[0:1], 2
	s_mul_i32 s13, s13, s6
	s_mul_hi_u32 s16, s12, s6
	v_mad_i64_i32 v[3:4], s[0:1], s22, v0, 0
	s_add_i32 s1, s16, s13
	s_mul_i32 s0, s12, s6
	s_lshl_b64 s[0:1], s[0:1], 2
	s_lshl_b64 s[12:13], s[20:21], 2
	s_add_u32 s2, s2, s12
	s_addc_u32 s3, s3, s13
	v_lshlrev_b64 v[3:4], 2, v[3:4]
	s_add_u32 s0, s2, s0
	s_addc_u32 s1, s3, s1
	v_mov_b32_e32 v6, s1
	v_add_co_u32_e32 v3, vcc, s0, v3
	s_mul_hi_i32 s1, s22, s15
	s_mul_i32 s0, s22, s15
	s_lshl_b64 s[2:3], s[0:1], 2
	v_or_b32_e32 v5, s15, v0
	v_addc_co_u32_e32 v4, vcc, v6, v4, vcc
	v_mov_b32_e32 v6, 0
	s_mov_b64 s[12:13], 0
	v_mov_b32_e32 v7, s5
	v_mov_b32_e32 v8, s3
	s_mov_b32 s3, s7
.LBB215_2:                              ; =>This Inner Loop Header: Depth=1
	global_load_dword v9, v[3:4], off
	global_load_dword v10, v[1:2], off
	v_add_co_u32_e64 v1, s[0:1], s4, v1
	v_addc_co_u32_e64 v2, s[0:1], v2, v7, s[0:1]
	s_add_i32 s5, s3, 1
	v_add_co_u32_e64 v3, s[0:1], s2, v3
	v_addc_co_u32_e64 v4, s[0:1], v4, v8, s[0:1]
	s_cmp_gt_u32 s3, 30
	v_cmp_le_i32_e32 vcc, s14, v5
	s_cselect_b64 s[0:1], -1, 0
	s_or_b64 s[0:1], s[0:1], vcc
	s_and_b64 s[0:1], exec, s[0:1]
	v_add_u32_e32 v5, s15, v5
	s_mov_b32 s3, s5
	s_or_b64 s[12:13], s[0:1], s[12:13]
	s_waitcnt vmcnt(0)
	v_fmac_f32_e32 v6, v9, v10
	s_andn2_b64 exec, exec, s[12:13]
	s_cbranch_execnz .LBB215_2
; %bb.3:
	s_or_b64 exec, exec, s[12:13]
.LBB215_4:
	s_or_b64 exec, exec, s[10:11]
	v_and_b32_e32 v4, 63, v0
	v_cmp_gt_u32_e32 vcc, 64, v0
	v_lshlrev_b32_e32 v1, 2, v4
	s_and_saveexec_b64 s[0:1], vcc
; %bb.5:
	v_mov_b32_e32 v2, 0
	ds_write_b32 v1, v2
; %bb.6:
	s_or_b64 exec, exec, s[0:1]
	v_mbcnt_lo_u32_b32 v2, -1, 0
	v_mbcnt_hi_u32_b32 v7, -1, v2
	v_mov_b32_e32 v2, 0x80
	v_lshl_or_b32 v2, v7, 2, v2
	ds_bpermute_b32 v2, v2, v6
	v_and_b32_e32 v8, 63, v7
	v_cmp_gt_u32_e64 s[0:1], 48, v8
	v_cndmask_b32_e64 v3, 0, 16, s[0:1]
	v_cmp_gt_u32_e64 s[0:1], 56, v8
	s_waitcnt lgkmcnt(0)
	v_add_f32_e32 v5, v6, v2
	v_add_lshl_u32 v2, v3, v7, 2
	ds_bpermute_b32 v3, v2, v5
	v_cndmask_b32_e64 v2, 0, 8, s[0:1]
	v_add_lshl_u32 v2, v2, v7, 2
	v_cmp_gt_u32_e64 s[0:1], 60, v8
	s_waitcnt lgkmcnt(0)
	v_add_f32_e32 v5, v5, v3
	ds_bpermute_b32 v6, v2, v5
	v_cndmask_b32_e64 v3, 0, 4, s[0:1]
	v_add_lshl_u32 v3, v3, v7, 2
	v_cmp_gt_u32_e64 s[0:1], 62, v8
	s_waitcnt lgkmcnt(0)
	s_barrier
	v_add_f32_e32 v6, v5, v6
	ds_bpermute_b32 v9, v3, v6
	v_cndmask_b32_e64 v5, 0, 2, s[0:1]
	v_add_lshl_u32 v5, v5, v7, 2
	v_cmp_ne_u32_e64 s[0:1], 63, v8
	v_addc_co_u32_e64 v8, s[0:1], 0, v7, s[0:1]
	s_waitcnt lgkmcnt(0)
	v_add_f32_e32 v6, v6, v9
	ds_bpermute_b32 v9, v5, v6
	v_cmp_eq_u32_e64 s[0:1], 0, v4
	s_waitcnt lgkmcnt(0)
	v_add_f32_e32 v7, v6, v9
	v_lshlrev_b32_e32 v6, 2, v8
	ds_bpermute_b32 v8, v6, v7
	s_and_saveexec_b64 s[2:3], s[0:1]
	s_cbranch_execz .LBB215_8
; %bb.7:
	s_waitcnt lgkmcnt(0)
	v_add_f32_e32 v4, v7, v8
	v_lshrrev_b32_e32 v7, 4, v0
	v_and_b32_e32 v7, 60, v7
	ds_write_b32 v7, v4
.LBB215_8:
	s_or_b64 exec, exec, s[2:3]
	v_cmp_gt_u32_e64 s[0:1], 16, v0
	v_mov_b32_e32 v4, 0
	s_waitcnt lgkmcnt(0)
	s_barrier
	s_and_saveexec_b64 s[2:3], s[0:1]
	s_cbranch_execnz .LBB215_12
; %bb.9:
	s_or_b64 exec, exec, s[2:3]
	s_and_saveexec_b64 s[0:1], vcc
	s_cbranch_execnz .LBB215_13
.LBB215_10:
	s_or_b64 exec, exec, s[0:1]
	v_cmp_eq_u32_e32 vcc, 0, v0
	s_and_saveexec_b64 s[0:1], vcc
	s_cbranch_execnz .LBB215_14
.LBB215_11:
	s_endpgm
.LBB215_12:
	ds_read_b32 v4, v1
	s_or_b64 exec, exec, s[2:3]
	s_and_saveexec_b64 s[0:1], vcc
	s_cbranch_execz .LBB215_10
.LBB215_13:
	s_waitcnt lgkmcnt(0)
	ds_bpermute_b32 v1, v2, v4
	s_waitcnt lgkmcnt(0)
	v_add_f32_e32 v1, v4, v1
	ds_bpermute_b32 v2, v3, v1
	s_waitcnt lgkmcnt(0)
	v_add_f32_e32 v1, v1, v2
	;; [unrolled: 3-line block ×4, first 2 shown]
	s_or_b64 exec, exec, s[0:1]
	v_cmp_eq_u32_e32 vcc, 0, v0
	s_and_saveexec_b64 s[0:1], vcc
	s_cbranch_execz .LBB215_11
.LBB215_14:
	s_lshl_b64 s[0:1], s[6:7], 2
	s_add_u32 s0, s8, s0
	s_addc_u32 s1, s9, s1
	v_mov_b32_e32 v0, 0
	s_waitcnt lgkmcnt(0)
	global_store_dword v0, v4, s[0:1]
	s_endpgm
	.section	.rodata,"a",@progbits
	.p2align	6, 0x0
	.amdhsa_kernel _ZL18rocblas_dot_kernelIiLb1ELi1024ELi32ELb1EfPKffEviT5_lT_lS2_lS3_liPT6_PT4_
		.amdhsa_group_segment_fixed_size 256
		.amdhsa_private_segment_fixed_size 0
		.amdhsa_kernarg_size 352
		.amdhsa_user_sgpr_count 6
		.amdhsa_user_sgpr_private_segment_buffer 1
		.amdhsa_user_sgpr_dispatch_ptr 0
		.amdhsa_user_sgpr_queue_ptr 0
		.amdhsa_user_sgpr_kernarg_segment_ptr 1
		.amdhsa_user_sgpr_dispatch_id 0
		.amdhsa_user_sgpr_flat_scratch_init 0
		.amdhsa_user_sgpr_private_segment_size 0
		.amdhsa_uses_dynamic_stack 0
		.amdhsa_system_sgpr_private_segment_wavefront_offset 0
		.amdhsa_system_sgpr_workgroup_id_x 1
		.amdhsa_system_sgpr_workgroup_id_y 0
		.amdhsa_system_sgpr_workgroup_id_z 1
		.amdhsa_system_sgpr_workgroup_info 0
		.amdhsa_system_vgpr_workitem_id 0
		.amdhsa_next_free_vgpr 11
		.amdhsa_next_free_sgpr 25
		.amdhsa_reserve_vcc 1
		.amdhsa_reserve_flat_scratch 0
		.amdhsa_float_round_mode_32 0
		.amdhsa_float_round_mode_16_64 0
		.amdhsa_float_denorm_mode_32 3
		.amdhsa_float_denorm_mode_16_64 3
		.amdhsa_dx10_clamp 1
		.amdhsa_ieee_mode 1
		.amdhsa_fp16_overflow 0
		.amdhsa_exception_fp_ieee_invalid_op 0
		.amdhsa_exception_fp_denorm_src 0
		.amdhsa_exception_fp_ieee_div_zero 0
		.amdhsa_exception_fp_ieee_overflow 0
		.amdhsa_exception_fp_ieee_underflow 0
		.amdhsa_exception_fp_ieee_inexact 0
		.amdhsa_exception_int_div_zero 0
	.end_amdhsa_kernel
	.section	.text._ZL18rocblas_dot_kernelIiLb1ELi1024ELi32ELb1EfPKffEviT5_lT_lS2_lS3_liPT6_PT4_,"axG",@progbits,_ZL18rocblas_dot_kernelIiLb1ELi1024ELi32ELb1EfPKffEviT5_lT_lS2_lS3_liPT6_PT4_,comdat
.Lfunc_end215:
	.size	_ZL18rocblas_dot_kernelIiLb1ELi1024ELi32ELb1EfPKffEviT5_lT_lS2_lS3_liPT6_PT4_, .Lfunc_end215-_ZL18rocblas_dot_kernelIiLb1ELi1024ELi32ELb1EfPKffEviT5_lT_lS2_lS3_liPT6_PT4_
                                        ; -- End function
	.set _ZL18rocblas_dot_kernelIiLb1ELi1024ELi32ELb1EfPKffEviT5_lT_lS2_lS3_liPT6_PT4_.num_vgpr, 11
	.set _ZL18rocblas_dot_kernelIiLb1ELi1024ELi32ELb1EfPKffEviT5_lT_lS2_lS3_liPT6_PT4_.num_agpr, 0
	.set _ZL18rocblas_dot_kernelIiLb1ELi1024ELi32ELb1EfPKffEviT5_lT_lS2_lS3_liPT6_PT4_.numbered_sgpr, 25
	.set _ZL18rocblas_dot_kernelIiLb1ELi1024ELi32ELb1EfPKffEviT5_lT_lS2_lS3_liPT6_PT4_.num_named_barrier, 0
	.set _ZL18rocblas_dot_kernelIiLb1ELi1024ELi32ELb1EfPKffEviT5_lT_lS2_lS3_liPT6_PT4_.private_seg_size, 0
	.set _ZL18rocblas_dot_kernelIiLb1ELi1024ELi32ELb1EfPKffEviT5_lT_lS2_lS3_liPT6_PT4_.uses_vcc, 1
	.set _ZL18rocblas_dot_kernelIiLb1ELi1024ELi32ELb1EfPKffEviT5_lT_lS2_lS3_liPT6_PT4_.uses_flat_scratch, 0
	.set _ZL18rocblas_dot_kernelIiLb1ELi1024ELi32ELb1EfPKffEviT5_lT_lS2_lS3_liPT6_PT4_.has_dyn_sized_stack, 0
	.set _ZL18rocblas_dot_kernelIiLb1ELi1024ELi32ELb1EfPKffEviT5_lT_lS2_lS3_liPT6_PT4_.has_recursion, 0
	.set _ZL18rocblas_dot_kernelIiLb1ELi1024ELi32ELb1EfPKffEviT5_lT_lS2_lS3_liPT6_PT4_.has_indirect_call, 0
	.section	.AMDGPU.csdata,"",@progbits
; Kernel info:
; codeLenInByte = 916
; TotalNumSgprs: 29
; NumVgprs: 11
; ScratchSize: 0
; MemoryBound: 0
; FloatMode: 240
; IeeeMode: 1
; LDSByteSize: 256 bytes/workgroup (compile time only)
; SGPRBlocks: 3
; VGPRBlocks: 2
; NumSGPRsForWavesPerEU: 29
; NumVGPRsForWavesPerEU: 11
; Occupancy: 10
; WaveLimiterHint : 0
; COMPUTE_PGM_RSRC2:SCRATCH_EN: 0
; COMPUTE_PGM_RSRC2:USER_SGPR: 6
; COMPUTE_PGM_RSRC2:TRAP_HANDLER: 0
; COMPUTE_PGM_RSRC2:TGID_X_EN: 1
; COMPUTE_PGM_RSRC2:TGID_Y_EN: 0
; COMPUTE_PGM_RSRC2:TGID_Z_EN: 1
; COMPUTE_PGM_RSRC2:TIDIG_COMP_CNT: 0
	.section	.text._ZL24rocblas_dot_kernel_magsqIiLb1ELi1024ELi32ELb1EfPKffEviT5_lT_liPT6_PT4_,"axG",@progbits,_ZL24rocblas_dot_kernel_magsqIiLb1ELi1024ELi32ELb1EfPKffEviT5_lT_liPT6_PT4_,comdat
	.globl	_ZL24rocblas_dot_kernel_magsqIiLb1ELi1024ELi32ELb1EfPKffEviT5_lT_liPT6_PT4_ ; -- Begin function _ZL24rocblas_dot_kernel_magsqIiLb1ELi1024ELi32ELb1EfPKffEviT5_lT_liPT6_PT4_
	.p2align	8
	.type	_ZL24rocblas_dot_kernel_magsqIiLb1ELi1024ELi32ELb1EfPKffEviT5_lT_liPT6_PT4_,@function
_ZL24rocblas_dot_kernel_magsqIiLb1ELi1024ELi32ELb1EfPKffEviT5_lT_liPT6_PT4_: ; @_ZL24rocblas_dot_kernel_magsqIiLb1ELi1024ELi32ELb1EfPKffEviT5_lT_liPT6_PT4_
; %bb.0:
	s_mov_b32 s2, s7
	s_load_dword s12, s[4:5], 0x0
	s_load_dwordx2 s[6:7], s[4:5], 0x38
	s_mov_b32 s3, 0
	v_mov_b32_e32 v3, 0
	s_waitcnt lgkmcnt(0)
	v_cmp_gt_i32_e32 vcc, s12, v0
	s_and_saveexec_b64 s[8:9], vcc
	s_cbranch_execz .LBB216_4
; %bb.1:
	s_load_dword s10, s[4:5], 0x40
	s_load_dwordx2 s[0:1], s[4:5], 0x20
	s_load_dwordx4 s[16:19], s[4:5], 0x8
	s_load_dword s11, s[4:5], 0x18
	s_waitcnt lgkmcnt(0)
	s_lshl_b32 s13, s10, 10
	s_mul_i32 s1, s1, s2
	s_mul_hi_u32 s10, s0, s2
	v_mad_i64_i32 v[1:2], s[4:5], s11, v0, 0
	s_add_i32 s1, s10, s1
	s_mul_i32 s0, s0, s2
	s_lshl_b64 s[0:1], s[0:1], 2
	s_lshl_b64 s[4:5], s[18:19], 2
	s_add_u32 s4, s16, s4
	s_addc_u32 s5, s17, s5
	v_lshlrev_b64 v[1:2], 2, v[1:2]
	s_add_u32 s0, s4, s0
	s_addc_u32 s1, s5, s1
	v_mov_b32_e32 v3, s1
	v_add_co_u32_e32 v1, vcc, s0, v1
	s_mul_hi_i32 s1, s11, s13
	s_mul_i32 s0, s11, s13
	s_lshl_b64 s[4:5], s[0:1], 2
	v_or_b32_e32 v4, s13, v0
	v_addc_co_u32_e32 v2, vcc, v3, v2, vcc
	v_mov_b32_e32 v3, 0
	s_mov_b64 s[10:11], 0
	v_mov_b32_e32 v5, s5
	s_mov_b32 s5, s3
.LBB216_2:                              ; =>This Inner Loop Header: Depth=1
	global_load_dword v6, v[1:2], off
	s_add_i32 s14, s5, 1
	v_add_co_u32_e64 v1, s[0:1], s4, v1
	v_addc_co_u32_e64 v2, s[0:1], v2, v5, s[0:1]
	s_cmp_gt_u32 s5, 30
	v_cmp_le_i32_e32 vcc, s12, v4
	s_cselect_b64 s[0:1], -1, 0
	s_or_b64 s[0:1], s[0:1], vcc
	s_and_b64 s[0:1], exec, s[0:1]
	v_add_u32_e32 v4, s13, v4
	s_mov_b32 s5, s14
	s_or_b64 s[10:11], s[0:1], s[10:11]
	s_waitcnt vmcnt(0)
	v_fmac_f32_e32 v3, v6, v6
	s_andn2_b64 exec, exec, s[10:11]
	s_cbranch_execnz .LBB216_2
; %bb.3:
	s_or_b64 exec, exec, s[10:11]
.LBB216_4:
	s_or_b64 exec, exec, s[8:9]
	v_and_b32_e32 v4, 63, v0
	v_cmp_gt_u32_e32 vcc, 64, v0
	v_lshlrev_b32_e32 v1, 2, v4
	s_and_saveexec_b64 s[0:1], vcc
; %bb.5:
	v_mov_b32_e32 v2, 0
	ds_write_b32 v1, v2
; %bb.6:
	s_or_b64 exec, exec, s[0:1]
	v_mbcnt_lo_u32_b32 v2, -1, 0
	v_mbcnt_hi_u32_b32 v6, -1, v2
	v_mov_b32_e32 v2, 0x80
	v_lshl_or_b32 v2, v6, 2, v2
	ds_bpermute_b32 v2, v2, v3
	v_and_b32_e32 v7, 63, v6
	v_cmp_gt_u32_e64 s[0:1], 48, v7
	v_cndmask_b32_e64 v5, 0, 16, s[0:1]
	v_cmp_gt_u32_e64 s[0:1], 56, v7
	s_waitcnt lgkmcnt(0)
	v_add_f32_e32 v3, v3, v2
	v_add_lshl_u32 v2, v5, v6, 2
	ds_bpermute_b32 v5, v2, v3
	v_cndmask_b32_e64 v2, 0, 8, s[0:1]
	v_add_lshl_u32 v2, v2, v6, 2
	v_cmp_gt_u32_e64 s[0:1], 60, v7
	s_waitcnt lgkmcnt(0)
	v_add_f32_e32 v5, v3, v5
	ds_bpermute_b32 v8, v2, v5
	v_cndmask_b32_e64 v3, 0, 4, s[0:1]
	v_add_lshl_u32 v3, v3, v6, 2
	v_cmp_gt_u32_e64 s[0:1], 62, v7
	s_waitcnt lgkmcnt(0)
	s_barrier
	v_add_f32_e32 v8, v5, v8
	ds_bpermute_b32 v9, v3, v8
	v_cndmask_b32_e64 v5, 0, 2, s[0:1]
	v_add_lshl_u32 v5, v5, v6, 2
	v_cmp_ne_u32_e64 s[0:1], 63, v7
	v_addc_co_u32_e64 v6, s[0:1], 0, v6, s[0:1]
	s_waitcnt lgkmcnt(0)
	v_add_f32_e32 v8, v8, v9
	ds_bpermute_b32 v9, v5, v8
	v_lshlrev_b32_e32 v6, 2, v6
	v_cmp_eq_u32_e64 s[0:1], 0, v4
	s_waitcnt lgkmcnt(0)
	v_add_f32_e32 v7, v8, v9
	ds_bpermute_b32 v8, v6, v7
	s_and_saveexec_b64 s[4:5], s[0:1]
	s_cbranch_execz .LBB216_8
; %bb.7:
	s_waitcnt lgkmcnt(0)
	v_add_f32_e32 v4, v7, v8
	v_lshrrev_b32_e32 v7, 4, v0
	v_and_b32_e32 v7, 60, v7
	ds_write_b32 v7, v4
.LBB216_8:
	s_or_b64 exec, exec, s[4:5]
	v_cmp_gt_u32_e64 s[0:1], 16, v0
	v_mov_b32_e32 v4, 0
	s_waitcnt lgkmcnt(0)
	s_barrier
	s_and_saveexec_b64 s[4:5], s[0:1]
	s_cbranch_execnz .LBB216_12
; %bb.9:
	s_or_b64 exec, exec, s[4:5]
	s_and_saveexec_b64 s[0:1], vcc
	s_cbranch_execnz .LBB216_13
.LBB216_10:
	s_or_b64 exec, exec, s[0:1]
	v_cmp_eq_u32_e32 vcc, 0, v0
	s_and_saveexec_b64 s[0:1], vcc
	s_cbranch_execnz .LBB216_14
.LBB216_11:
	s_endpgm
.LBB216_12:
	ds_read_b32 v4, v1
	s_or_b64 exec, exec, s[4:5]
	s_and_saveexec_b64 s[0:1], vcc
	s_cbranch_execz .LBB216_10
.LBB216_13:
	s_waitcnt lgkmcnt(0)
	ds_bpermute_b32 v1, v2, v4
	s_waitcnt lgkmcnt(0)
	v_add_f32_e32 v1, v4, v1
	ds_bpermute_b32 v2, v3, v1
	s_waitcnt lgkmcnt(0)
	v_add_f32_e32 v1, v1, v2
	ds_bpermute_b32 v2, v5, v1
	s_waitcnt lgkmcnt(0)
	v_add_f32_e32 v1, v1, v2
	ds_bpermute_b32 v2, v6, v1
	s_waitcnt lgkmcnt(0)
	v_add_f32_e32 v4, v1, v2
	s_or_b64 exec, exec, s[0:1]
	v_cmp_eq_u32_e32 vcc, 0, v0
	s_and_saveexec_b64 s[0:1], vcc
	s_cbranch_execz .LBB216_11
.LBB216_14:
	s_lshl_b64 s[0:1], s[2:3], 2
	s_add_u32 s0, s6, s0
	s_addc_u32 s1, s7, s1
	v_mov_b32_e32 v0, 0
	s_waitcnt lgkmcnt(0)
	global_store_dword v0, v4, s[0:1]
	s_endpgm
	.section	.rodata,"a",@progbits
	.p2align	6, 0x0
	.amdhsa_kernel _ZL24rocblas_dot_kernel_magsqIiLb1ELi1024ELi32ELb1EfPKffEviT5_lT_liPT6_PT4_
		.amdhsa_group_segment_fixed_size 256
		.amdhsa_private_segment_fixed_size 0
		.amdhsa_kernarg_size 320
		.amdhsa_user_sgpr_count 6
		.amdhsa_user_sgpr_private_segment_buffer 1
		.amdhsa_user_sgpr_dispatch_ptr 0
		.amdhsa_user_sgpr_queue_ptr 0
		.amdhsa_user_sgpr_kernarg_segment_ptr 1
		.amdhsa_user_sgpr_dispatch_id 0
		.amdhsa_user_sgpr_flat_scratch_init 0
		.amdhsa_user_sgpr_private_segment_size 0
		.amdhsa_uses_dynamic_stack 0
		.amdhsa_system_sgpr_private_segment_wavefront_offset 0
		.amdhsa_system_sgpr_workgroup_id_x 1
		.amdhsa_system_sgpr_workgroup_id_y 0
		.amdhsa_system_sgpr_workgroup_id_z 1
		.amdhsa_system_sgpr_workgroup_info 0
		.amdhsa_system_vgpr_workitem_id 0
		.amdhsa_next_free_vgpr 10
		.amdhsa_next_free_sgpr 20
		.amdhsa_reserve_vcc 1
		.amdhsa_reserve_flat_scratch 0
		.amdhsa_float_round_mode_32 0
		.amdhsa_float_round_mode_16_64 0
		.amdhsa_float_denorm_mode_32 3
		.amdhsa_float_denorm_mode_16_64 3
		.amdhsa_dx10_clamp 1
		.amdhsa_ieee_mode 1
		.amdhsa_fp16_overflow 0
		.amdhsa_exception_fp_ieee_invalid_op 0
		.amdhsa_exception_fp_denorm_src 0
		.amdhsa_exception_fp_ieee_div_zero 0
		.amdhsa_exception_fp_ieee_overflow 0
		.amdhsa_exception_fp_ieee_underflow 0
		.amdhsa_exception_fp_ieee_inexact 0
		.amdhsa_exception_int_div_zero 0
	.end_amdhsa_kernel
	.section	.text._ZL24rocblas_dot_kernel_magsqIiLb1ELi1024ELi32ELb1EfPKffEviT5_lT_liPT6_PT4_,"axG",@progbits,_ZL24rocblas_dot_kernel_magsqIiLb1ELi1024ELi32ELb1EfPKffEviT5_lT_liPT6_PT4_,comdat
.Lfunc_end216:
	.size	_ZL24rocblas_dot_kernel_magsqIiLb1ELi1024ELi32ELb1EfPKffEviT5_lT_liPT6_PT4_, .Lfunc_end216-_ZL24rocblas_dot_kernel_magsqIiLb1ELi1024ELi32ELb1EfPKffEviT5_lT_liPT6_PT4_
                                        ; -- End function
	.set _ZL24rocblas_dot_kernel_magsqIiLb1ELi1024ELi32ELb1EfPKffEviT5_lT_liPT6_PT4_.num_vgpr, 10
	.set _ZL24rocblas_dot_kernel_magsqIiLb1ELi1024ELi32ELb1EfPKffEviT5_lT_liPT6_PT4_.num_agpr, 0
	.set _ZL24rocblas_dot_kernel_magsqIiLb1ELi1024ELi32ELb1EfPKffEviT5_lT_liPT6_PT4_.numbered_sgpr, 20
	.set _ZL24rocblas_dot_kernel_magsqIiLb1ELi1024ELi32ELb1EfPKffEviT5_lT_liPT6_PT4_.num_named_barrier, 0
	.set _ZL24rocblas_dot_kernel_magsqIiLb1ELi1024ELi32ELb1EfPKffEviT5_lT_liPT6_PT4_.private_seg_size, 0
	.set _ZL24rocblas_dot_kernel_magsqIiLb1ELi1024ELi32ELb1EfPKffEviT5_lT_liPT6_PT4_.uses_vcc, 1
	.set _ZL24rocblas_dot_kernel_magsqIiLb1ELi1024ELi32ELb1EfPKffEviT5_lT_liPT6_PT4_.uses_flat_scratch, 0
	.set _ZL24rocblas_dot_kernel_magsqIiLb1ELi1024ELi32ELb1EfPKffEviT5_lT_liPT6_PT4_.has_dyn_sized_stack, 0
	.set _ZL24rocblas_dot_kernel_magsqIiLb1ELi1024ELi32ELb1EfPKffEviT5_lT_liPT6_PT4_.has_recursion, 0
	.set _ZL24rocblas_dot_kernel_magsqIiLb1ELi1024ELi32ELb1EfPKffEviT5_lT_liPT6_PT4_.has_indirect_call, 0
	.section	.AMDGPU.csdata,"",@progbits
; Kernel info:
; codeLenInByte = 784
; TotalNumSgprs: 24
; NumVgprs: 10
; ScratchSize: 0
; MemoryBound: 0
; FloatMode: 240
; IeeeMode: 1
; LDSByteSize: 256 bytes/workgroup (compile time only)
; SGPRBlocks: 2
; VGPRBlocks: 2
; NumSGPRsForWavesPerEU: 24
; NumVGPRsForWavesPerEU: 10
; Occupancy: 10
; WaveLimiterHint : 0
; COMPUTE_PGM_RSRC2:SCRATCH_EN: 0
; COMPUTE_PGM_RSRC2:USER_SGPR: 6
; COMPUTE_PGM_RSRC2:TRAP_HANDLER: 0
; COMPUTE_PGM_RSRC2:TGID_X_EN: 1
; COMPUTE_PGM_RSRC2:TGID_Y_EN: 0
; COMPUTE_PGM_RSRC2:TGID_Z_EN: 1
; COMPUTE_PGM_RSRC2:TIDIG_COMP_CNT: 0
	.section	.text._ZL38rocblas_dot_kernel_gfx942_float_doubleIiLi1024EfPKffEviT2_lT_lS2_lS3_lPT3_PT1_,"axG",@progbits,_ZL38rocblas_dot_kernel_gfx942_float_doubleIiLi1024EfPKffEviT2_lT_lS2_lS3_lPT3_PT1_,comdat
	.globl	_ZL38rocblas_dot_kernel_gfx942_float_doubleIiLi1024EfPKffEviT2_lT_lS2_lS3_lPT3_PT1_ ; -- Begin function _ZL38rocblas_dot_kernel_gfx942_float_doubleIiLi1024EfPKffEviT2_lT_lS2_lS3_lPT3_PT1_
	.p2align	8
	.type	_ZL38rocblas_dot_kernel_gfx942_float_doubleIiLi1024EfPKffEviT2_lT_lS2_lS3_lPT3_PT1_,@function
_ZL38rocblas_dot_kernel_gfx942_float_doubleIiLi1024EfPKffEviT2_lT_lS2_lS3_lPT3_PT1_: ; @_ZL38rocblas_dot_kernel_gfx942_float_doubleIiLi1024EfPKffEviT2_lT_lS2_lS3_lPT3_PT1_
; %bb.0:
	s_endpgm
	.section	.rodata,"a",@progbits
	.p2align	6, 0x0
	.amdhsa_kernel _ZL38rocblas_dot_kernel_gfx942_float_doubleIiLi1024EfPKffEviT2_lT_lS2_lS3_lPT3_PT1_
		.amdhsa_group_segment_fixed_size 0
		.amdhsa_private_segment_fixed_size 0
		.amdhsa_kernarg_size 88
		.amdhsa_user_sgpr_count 6
		.amdhsa_user_sgpr_private_segment_buffer 1
		.amdhsa_user_sgpr_dispatch_ptr 0
		.amdhsa_user_sgpr_queue_ptr 0
		.amdhsa_user_sgpr_kernarg_segment_ptr 1
		.amdhsa_user_sgpr_dispatch_id 0
		.amdhsa_user_sgpr_flat_scratch_init 0
		.amdhsa_user_sgpr_private_segment_size 0
		.amdhsa_uses_dynamic_stack 0
		.amdhsa_system_sgpr_private_segment_wavefront_offset 0
		.amdhsa_system_sgpr_workgroup_id_x 1
		.amdhsa_system_sgpr_workgroup_id_y 0
		.amdhsa_system_sgpr_workgroup_id_z 0
		.amdhsa_system_sgpr_workgroup_info 0
		.amdhsa_system_vgpr_workitem_id 0
		.amdhsa_next_free_vgpr 1
		.amdhsa_next_free_sgpr 0
		.amdhsa_reserve_vcc 0
		.amdhsa_reserve_flat_scratch 0
		.amdhsa_float_round_mode_32 0
		.amdhsa_float_round_mode_16_64 0
		.amdhsa_float_denorm_mode_32 3
		.amdhsa_float_denorm_mode_16_64 3
		.amdhsa_dx10_clamp 1
		.amdhsa_ieee_mode 1
		.amdhsa_fp16_overflow 0
		.amdhsa_exception_fp_ieee_invalid_op 0
		.amdhsa_exception_fp_denorm_src 0
		.amdhsa_exception_fp_ieee_div_zero 0
		.amdhsa_exception_fp_ieee_overflow 0
		.amdhsa_exception_fp_ieee_underflow 0
		.amdhsa_exception_fp_ieee_inexact 0
		.amdhsa_exception_int_div_zero 0
	.end_amdhsa_kernel
	.section	.text._ZL38rocblas_dot_kernel_gfx942_float_doubleIiLi1024EfPKffEviT2_lT_lS2_lS3_lPT3_PT1_,"axG",@progbits,_ZL38rocblas_dot_kernel_gfx942_float_doubleIiLi1024EfPKffEviT2_lT_lS2_lS3_lPT3_PT1_,comdat
.Lfunc_end217:
	.size	_ZL38rocblas_dot_kernel_gfx942_float_doubleIiLi1024EfPKffEviT2_lT_lS2_lS3_lPT3_PT1_, .Lfunc_end217-_ZL38rocblas_dot_kernel_gfx942_float_doubleIiLi1024EfPKffEviT2_lT_lS2_lS3_lPT3_PT1_
                                        ; -- End function
	.set _ZL38rocblas_dot_kernel_gfx942_float_doubleIiLi1024EfPKffEviT2_lT_lS2_lS3_lPT3_PT1_.num_vgpr, 0
	.set _ZL38rocblas_dot_kernel_gfx942_float_doubleIiLi1024EfPKffEviT2_lT_lS2_lS3_lPT3_PT1_.num_agpr, 0
	.set _ZL38rocblas_dot_kernel_gfx942_float_doubleIiLi1024EfPKffEviT2_lT_lS2_lS3_lPT3_PT1_.numbered_sgpr, 0
	.set _ZL38rocblas_dot_kernel_gfx942_float_doubleIiLi1024EfPKffEviT2_lT_lS2_lS3_lPT3_PT1_.num_named_barrier, 0
	.set _ZL38rocblas_dot_kernel_gfx942_float_doubleIiLi1024EfPKffEviT2_lT_lS2_lS3_lPT3_PT1_.private_seg_size, 0
	.set _ZL38rocblas_dot_kernel_gfx942_float_doubleIiLi1024EfPKffEviT2_lT_lS2_lS3_lPT3_PT1_.uses_vcc, 0
	.set _ZL38rocblas_dot_kernel_gfx942_float_doubleIiLi1024EfPKffEviT2_lT_lS2_lS3_lPT3_PT1_.uses_flat_scratch, 0
	.set _ZL38rocblas_dot_kernel_gfx942_float_doubleIiLi1024EfPKffEviT2_lT_lS2_lS3_lPT3_PT1_.has_dyn_sized_stack, 0
	.set _ZL38rocblas_dot_kernel_gfx942_float_doubleIiLi1024EfPKffEviT2_lT_lS2_lS3_lPT3_PT1_.has_recursion, 0
	.set _ZL38rocblas_dot_kernel_gfx942_float_doubleIiLi1024EfPKffEviT2_lT_lS2_lS3_lPT3_PT1_.has_indirect_call, 0
	.section	.AMDGPU.csdata,"",@progbits
; Kernel info:
; codeLenInByte = 4
; TotalNumSgprs: 4
; NumVgprs: 0
; ScratchSize: 0
; MemoryBound: 0
; FloatMode: 240
; IeeeMode: 1
; LDSByteSize: 0 bytes/workgroup (compile time only)
; SGPRBlocks: 0
; VGPRBlocks: 0
; NumSGPRsForWavesPerEU: 4
; NumVGPRsForWavesPerEU: 1
; Occupancy: 10
; WaveLimiterHint : 0
; COMPUTE_PGM_RSRC2:SCRATCH_EN: 0
; COMPUTE_PGM_RSRC2:USER_SGPR: 6
; COMPUTE_PGM_RSRC2:TRAP_HANDLER: 0
; COMPUTE_PGM_RSRC2:TGID_X_EN: 1
; COMPUTE_PGM_RSRC2:TGID_Y_EN: 0
; COMPUTE_PGM_RSRC2:TGID_Z_EN: 0
; COMPUTE_PGM_RSRC2:TIDIG_COMP_CNT: 0
	.section	.text._ZL30rocblas_reduction_kernel_part2ILi1024ELi4E25rocblas_finalize_identityffEviPT2_PT3_,"axG",@progbits,_ZL30rocblas_reduction_kernel_part2ILi1024ELi4E25rocblas_finalize_identityffEviPT2_PT3_,comdat
	.globl	_ZL30rocblas_reduction_kernel_part2ILi1024ELi4E25rocblas_finalize_identityffEviPT2_PT3_ ; -- Begin function _ZL30rocblas_reduction_kernel_part2ILi1024ELi4E25rocblas_finalize_identityffEviPT2_PT3_
	.p2align	8
	.type	_ZL30rocblas_reduction_kernel_part2ILi1024ELi4E25rocblas_finalize_identityffEviPT2_PT3_,@function
_ZL30rocblas_reduction_kernel_part2ILi1024ELi4E25rocblas_finalize_identityffEviPT2_PT3_: ; @_ZL30rocblas_reduction_kernel_part2ILi1024ELi4E25rocblas_finalize_identityffEviPT2_PT3_
; %bb.0:
	s_load_dword s12, s[4:5], 0x0
	s_load_dwordx4 s[0:3], s[4:5], 0x8
	v_lshlrev_b32_e32 v4, 2, v0
	s_mov_b32 s7, 0
	v_mov_b32_e32 v3, 0
	s_waitcnt lgkmcnt(0)
	s_ashr_i32 s8, s12, 31
	s_mul_i32 s5, s8, s6
	s_lshr_b32 s8, s8, 30
	s_add_i32 s8, s12, s8
	s_mul_hi_u32 s4, s12, s6
	s_and_b32 s13, s8, -4
	s_add_i32 s5, s4, s5
	s_mul_i32 s4, s12, s6
	v_cmp_gt_i32_e32 vcc, s13, v4
	s_and_saveexec_b64 s[8:9], vcc
	s_cbranch_execz .LBB218_4
; %bb.1:
	s_lshl_b64 s[10:11], s[4:5], 2
	s_add_u32 s10, s0, s10
	v_lshlrev_b32_e32 v1, 4, v0
	s_addc_u32 s11, s1, s11
	v_mov_b32_e32 v2, s11
	v_add_co_u32_e32 v1, vcc, s10, v1
	v_addc_co_u32_e32 v2, vcc, 0, v2, vcc
	v_add_co_u32_e32 v1, vcc, 8, v1
	v_mov_b32_e32 v3, 0
	v_addc_co_u32_e32 v2, vcc, 0, v2, vcc
	s_mov_b64 s[10:11], 0
.LBB218_2:                              ; =>This Inner Loop Header: Depth=1
	global_load_dwordx4 v[5:8], v[1:2], off offset:-8
	v_add_co_u32_e32 v1, vcc, 0x4000, v1
	v_add_u32_e32 v4, 0x1000, v4
	v_addc_co_u32_e32 v2, vcc, 0, v2, vcc
	v_cmp_le_i32_e32 vcc, s13, v4
	s_or_b64 s[10:11], vcc, s[10:11]
	s_waitcnt vmcnt(0)
	v_add_f32_e32 v3, v3, v5
	v_add_f32_e32 v3, v3, v6
	;; [unrolled: 1-line block ×4, first 2 shown]
	s_andn2_b64 exec, exec, s[10:11]
	s_cbranch_execnz .LBB218_2
; %bb.3:
	s_or_b64 exec, exec, s[10:11]
.LBB218_4:
	s_or_b64 exec, exec, s[8:9]
	s_sub_i32 s8, s12, s13
	v_cmp_gt_u32_e32 vcc, s8, v0
	s_and_saveexec_b64 s[8:9], vcc
	s_cbranch_execz .LBB218_6
; %bb.5:
	s_lshl_b64 s[4:5], s[4:5], 2
	v_xad_u32 v1, v0, -1, s12
	v_mov_b32_e32 v2, 0
	s_add_u32 s0, s0, s4
	v_lshlrev_b64 v[1:2], 2, v[1:2]
	s_addc_u32 s1, s1, s5
	v_mov_b32_e32 v4, s1
	v_add_co_u32_e32 v1, vcc, s0, v1
	v_addc_co_u32_e32 v2, vcc, v4, v2, vcc
	global_load_dword v1, v[1:2], off
	s_waitcnt vmcnt(0)
	v_add_f32_e32 v3, v3, v1
.LBB218_6:
	s_or_b64 exec, exec, s[8:9]
	v_and_b32_e32 v4, 63, v0
	v_cmp_gt_u32_e32 vcc, 64, v0
	v_lshlrev_b32_e32 v1, 2, v4
	s_and_saveexec_b64 s[0:1], vcc
; %bb.7:
	v_mov_b32_e32 v2, 0
	ds_write_b32 v1, v2
; %bb.8:
	s_or_b64 exec, exec, s[0:1]
	v_mbcnt_lo_u32_b32 v2, -1, 0
	v_mbcnt_hi_u32_b32 v6, -1, v2
	v_mov_b32_e32 v2, 0x80
	v_lshl_or_b32 v2, v6, 2, v2
	ds_bpermute_b32 v2, v2, v3
	v_and_b32_e32 v7, 63, v6
	v_cmp_gt_u32_e64 s[0:1], 48, v7
	v_cndmask_b32_e64 v5, 0, 16, s[0:1]
	v_cmp_gt_u32_e64 s[0:1], 56, v7
	s_waitcnt lgkmcnt(0)
	v_add_f32_e32 v3, v3, v2
	v_add_lshl_u32 v2, v5, v6, 2
	ds_bpermute_b32 v5, v2, v3
	v_cndmask_b32_e64 v2, 0, 8, s[0:1]
	v_add_lshl_u32 v2, v2, v6, 2
	v_cmp_gt_u32_e64 s[0:1], 60, v7
	s_waitcnt lgkmcnt(0)
	v_add_f32_e32 v5, v3, v5
	ds_bpermute_b32 v8, v2, v5
	v_cndmask_b32_e64 v3, 0, 4, s[0:1]
	v_add_lshl_u32 v3, v3, v6, 2
	v_cmp_gt_u32_e64 s[0:1], 62, v7
	s_waitcnt lgkmcnt(0)
	s_barrier
	v_add_f32_e32 v8, v5, v8
	ds_bpermute_b32 v9, v3, v8
	v_cndmask_b32_e64 v5, 0, 2, s[0:1]
	v_add_lshl_u32 v5, v5, v6, 2
	v_cmp_ne_u32_e64 s[0:1], 63, v7
	v_addc_co_u32_e64 v6, s[0:1], 0, v6, s[0:1]
	s_waitcnt lgkmcnt(0)
	v_add_f32_e32 v8, v8, v9
	ds_bpermute_b32 v9, v5, v8
	v_lshlrev_b32_e32 v6, 2, v6
	v_cmp_eq_u32_e64 s[0:1], 0, v4
	s_waitcnt lgkmcnt(0)
	v_add_f32_e32 v7, v8, v9
	ds_bpermute_b32 v8, v6, v7
	s_and_saveexec_b64 s[4:5], s[0:1]
	s_cbranch_execz .LBB218_10
; %bb.9:
	s_waitcnt lgkmcnt(0)
	v_add_f32_e32 v4, v7, v8
	v_lshrrev_b32_e32 v7, 4, v0
	v_and_b32_e32 v7, 60, v7
	ds_write_b32 v7, v4
.LBB218_10:
	s_or_b64 exec, exec, s[4:5]
	v_cmp_gt_u32_e64 s[0:1], 16, v0
	v_mov_b32_e32 v4, 0
	s_waitcnt lgkmcnt(0)
	s_barrier
	s_and_saveexec_b64 s[4:5], s[0:1]
	s_cbranch_execnz .LBB218_14
; %bb.11:
	s_or_b64 exec, exec, s[4:5]
	s_and_saveexec_b64 s[0:1], vcc
	s_cbranch_execnz .LBB218_15
.LBB218_12:
	s_or_b64 exec, exec, s[0:1]
	v_cmp_eq_u32_e32 vcc, 0, v0
	s_and_saveexec_b64 s[0:1], vcc
	s_cbranch_execnz .LBB218_16
.LBB218_13:
	s_endpgm
.LBB218_14:
	ds_read_b32 v4, v1
	s_or_b64 exec, exec, s[4:5]
	s_and_saveexec_b64 s[0:1], vcc
	s_cbranch_execz .LBB218_12
.LBB218_15:
	s_waitcnt lgkmcnt(0)
	ds_bpermute_b32 v1, v2, v4
	s_waitcnt lgkmcnt(0)
	v_add_f32_e32 v1, v4, v1
	ds_bpermute_b32 v2, v3, v1
	s_waitcnt lgkmcnt(0)
	v_add_f32_e32 v1, v1, v2
	;; [unrolled: 3-line block ×4, first 2 shown]
	s_or_b64 exec, exec, s[0:1]
	v_cmp_eq_u32_e32 vcc, 0, v0
	s_and_saveexec_b64 s[0:1], vcc
	s_cbranch_execz .LBB218_13
.LBB218_16:
	s_lshl_b64 s[0:1], s[6:7], 2
	s_add_u32 s0, s2, s0
	s_addc_u32 s1, s3, s1
	v_mov_b32_e32 v0, 0
	s_waitcnt lgkmcnt(0)
	global_store_dword v0, v4, s[0:1]
	s_endpgm
	.section	.rodata,"a",@progbits
	.p2align	6, 0x0
	.amdhsa_kernel _ZL30rocblas_reduction_kernel_part2ILi1024ELi4E25rocblas_finalize_identityffEviPT2_PT3_
		.amdhsa_group_segment_fixed_size 256
		.amdhsa_private_segment_fixed_size 0
		.amdhsa_kernarg_size 24
		.amdhsa_user_sgpr_count 6
		.amdhsa_user_sgpr_private_segment_buffer 1
		.amdhsa_user_sgpr_dispatch_ptr 0
		.amdhsa_user_sgpr_queue_ptr 0
		.amdhsa_user_sgpr_kernarg_segment_ptr 1
		.amdhsa_user_sgpr_dispatch_id 0
		.amdhsa_user_sgpr_flat_scratch_init 0
		.amdhsa_user_sgpr_private_segment_size 0
		.amdhsa_uses_dynamic_stack 0
		.amdhsa_system_sgpr_private_segment_wavefront_offset 0
		.amdhsa_system_sgpr_workgroup_id_x 1
		.amdhsa_system_sgpr_workgroup_id_y 0
		.amdhsa_system_sgpr_workgroup_id_z 0
		.amdhsa_system_sgpr_workgroup_info 0
		.amdhsa_system_vgpr_workitem_id 0
		.amdhsa_next_free_vgpr 10
		.amdhsa_next_free_sgpr 14
		.amdhsa_reserve_vcc 1
		.amdhsa_reserve_flat_scratch 0
		.amdhsa_float_round_mode_32 0
		.amdhsa_float_round_mode_16_64 0
		.amdhsa_float_denorm_mode_32 3
		.amdhsa_float_denorm_mode_16_64 3
		.amdhsa_dx10_clamp 1
		.amdhsa_ieee_mode 1
		.amdhsa_fp16_overflow 0
		.amdhsa_exception_fp_ieee_invalid_op 0
		.amdhsa_exception_fp_denorm_src 0
		.amdhsa_exception_fp_ieee_div_zero 0
		.amdhsa_exception_fp_ieee_overflow 0
		.amdhsa_exception_fp_ieee_underflow 0
		.amdhsa_exception_fp_ieee_inexact 0
		.amdhsa_exception_int_div_zero 0
	.end_amdhsa_kernel
	.section	.text._ZL30rocblas_reduction_kernel_part2ILi1024ELi4E25rocblas_finalize_identityffEviPT2_PT3_,"axG",@progbits,_ZL30rocblas_reduction_kernel_part2ILi1024ELi4E25rocblas_finalize_identityffEviPT2_PT3_,comdat
.Lfunc_end218:
	.size	_ZL30rocblas_reduction_kernel_part2ILi1024ELi4E25rocblas_finalize_identityffEviPT2_PT3_, .Lfunc_end218-_ZL30rocblas_reduction_kernel_part2ILi1024ELi4E25rocblas_finalize_identityffEviPT2_PT3_
                                        ; -- End function
	.set _ZL30rocblas_reduction_kernel_part2ILi1024ELi4E25rocblas_finalize_identityffEviPT2_PT3_.num_vgpr, 10
	.set _ZL30rocblas_reduction_kernel_part2ILi1024ELi4E25rocblas_finalize_identityffEviPT2_PT3_.num_agpr, 0
	.set _ZL30rocblas_reduction_kernel_part2ILi1024ELi4E25rocblas_finalize_identityffEviPT2_PT3_.numbered_sgpr, 14
	.set _ZL30rocblas_reduction_kernel_part2ILi1024ELi4E25rocblas_finalize_identityffEviPT2_PT3_.num_named_barrier, 0
	.set _ZL30rocblas_reduction_kernel_part2ILi1024ELi4E25rocblas_finalize_identityffEviPT2_PT3_.private_seg_size, 0
	.set _ZL30rocblas_reduction_kernel_part2ILi1024ELi4E25rocblas_finalize_identityffEviPT2_PT3_.uses_vcc, 1
	.set _ZL30rocblas_reduction_kernel_part2ILi1024ELi4E25rocblas_finalize_identityffEviPT2_PT3_.uses_flat_scratch, 0
	.set _ZL30rocblas_reduction_kernel_part2ILi1024ELi4E25rocblas_finalize_identityffEviPT2_PT3_.has_dyn_sized_stack, 0
	.set _ZL30rocblas_reduction_kernel_part2ILi1024ELi4E25rocblas_finalize_identityffEviPT2_PT3_.has_recursion, 0
	.set _ZL30rocblas_reduction_kernel_part2ILi1024ELi4E25rocblas_finalize_identityffEviPT2_PT3_.has_indirect_call, 0
	.section	.AMDGPU.csdata,"",@progbits
; Kernel info:
; codeLenInByte = 788
; TotalNumSgprs: 18
; NumVgprs: 10
; ScratchSize: 0
; MemoryBound: 0
; FloatMode: 240
; IeeeMode: 1
; LDSByteSize: 256 bytes/workgroup (compile time only)
; SGPRBlocks: 2
; VGPRBlocks: 2
; NumSGPRsForWavesPerEU: 18
; NumVGPRsForWavesPerEU: 10
; Occupancy: 10
; WaveLimiterHint : 0
; COMPUTE_PGM_RSRC2:SCRATCH_EN: 0
; COMPUTE_PGM_RSRC2:USER_SGPR: 6
; COMPUTE_PGM_RSRC2:TRAP_HANDLER: 0
; COMPUTE_PGM_RSRC2:TGID_X_EN: 1
; COMPUTE_PGM_RSRC2:TGID_Y_EN: 0
; COMPUTE_PGM_RSRC2:TGID_Z_EN: 0
; COMPUTE_PGM_RSRC2:TIDIG_COMP_CNT: 0
	.section	.text._ZL23rocblas_dot_kernel_inc1ILb0ELi512ELi4ELb1EfPKffEviT4_llS2_lliPT5_PT3_,"axG",@progbits,_ZL23rocblas_dot_kernel_inc1ILb0ELi512ELi4ELb1EfPKffEviT4_llS2_lliPT5_PT3_,comdat
	.globl	_ZL23rocblas_dot_kernel_inc1ILb0ELi512ELi4ELb1EfPKffEviT4_llS2_lliPT5_PT3_ ; -- Begin function _ZL23rocblas_dot_kernel_inc1ILb0ELi512ELi4ELb1EfPKffEviT4_llS2_lliPT5_PT3_
	.p2align	8
	.type	_ZL23rocblas_dot_kernel_inc1ILb0ELi512ELi4ELb1EfPKffEviT4_llS2_lliPT5_PT3_,@function
_ZL23rocblas_dot_kernel_inc1ILb0ELi512ELi4ELb1EfPKffEviT4_llS2_lliPT5_PT3_: ; @_ZL23rocblas_dot_kernel_inc1ILb0ELi512ELi4ELb1EfPKffEviT4_llS2_lliPT5_PT3_
; %bb.0:
	s_mov_b32 s2, s7
	s_load_dword s18, s[4:5], 0x50
	s_load_dword s7, s[4:5], 0x0
	s_load_dwordx4 s[8:11], s[4:5], 0x40
	v_lshl_or_b32 v1, s6, 9, v0
	s_mov_b32 s3, 0
	v_mov_b32_e32 v3, 0
	s_waitcnt lgkmcnt(0)
	v_cmp_gt_i32_e32 vcc, s7, v1
	s_and_saveexec_b64 s[12:13], vcc
	s_cbranch_execz .LBB219_4
; %bb.1:
	s_load_dwordx4 s[20:23], s[4:5], 0x10
	s_load_dwordx2 s[0:1], s[4:5], 0x8
	s_load_dwordx2 s[14:15], s[4:5], 0x20
	s_load_dwordx4 s[24:27], s[4:5], 0x28
	v_ashrrev_i32_e32 v2, 31, v1
	s_waitcnt lgkmcnt(0)
	s_mul_i32 s4, s23, s2
	s_mul_hi_u32 s5, s22, s2
	s_add_i32 s5, s5, s4
	s_mul_i32 s4, s22, s2
	s_lshl_b64 s[4:5], s[4:5], 2
	s_add_u32 s4, s0, s4
	s_addc_u32 s5, s1, s5
	s_lshl_b64 s[0:1], s[20:21], 2
	s_add_u32 s19, s4, s0
	s_addc_u32 s21, s5, s1
	s_mul_i32 s0, s27, s2
	s_mul_hi_u32 s1, s26, s2
	s_add_i32 s1, s1, s0
	s_mul_i32 s0, s26, s2
	s_lshl_b64 s[0:1], s[0:1], 2
	s_add_u32 s4, s14, s0
	s_addc_u32 s5, s15, s1
	s_lshl_b64 s[0:1], s[24:25], 2
	s_add_u32 s20, s4, s0
	s_addc_u32 s0, s5, s1
	s_lshl_b32 s4, s18, 9
	s_ashr_i32 s5, s4, 31
	v_add_u32_e32 v4, s4, v1
	v_lshlrev_b64 v[1:2], 2, v[1:2]
	s_lshl_b64 s[14:15], s[4:5], 2
	v_mov_b32_e32 v3, 0
	s_mov_b64 s[16:17], 0
	v_mov_b32_e32 v5, s0
	v_mov_b32_e32 v6, s21
	;; [unrolled: 1-line block ×3, first 2 shown]
	s_mov_b32 s5, s3
.LBB219_2:                              ; =>This Inner Loop Header: Depth=1
	v_add_co_u32_e32 v8, vcc, s20, v1
	v_addc_co_u32_e32 v9, vcc, v5, v2, vcc
	v_add_co_u32_e32 v10, vcc, s19, v1
	v_addc_co_u32_e32 v11, vcc, v6, v2, vcc
	global_load_dword v12, v[8:9], off
	global_load_dword v13, v[10:11], off
	s_add_i32 s15, s5, 1
	v_add_co_u32_e64 v1, s[0:1], s14, v1
	v_addc_co_u32_e64 v2, s[0:1], v2, v7, s[0:1]
	s_cmp_gt_u32 s5, 2
	v_cmp_le_i32_e32 vcc, s7, v4
	s_cselect_b64 s[0:1], -1, 0
	s_or_b64 s[0:1], s[0:1], vcc
	s_and_b64 s[0:1], exec, s[0:1]
	v_add_u32_e32 v4, s4, v4
	s_mov_b32 s5, s15
	s_or_b64 s[16:17], s[0:1], s[16:17]
	s_waitcnt vmcnt(0)
	v_fmac_f32_e32 v3, v12, v13
	s_andn2_b64 exec, exec, s[16:17]
	s_cbranch_execnz .LBB219_2
; %bb.3:
	s_or_b64 exec, exec, s[16:17]
.LBB219_4:
	s_or_b64 exec, exec, s[12:13]
	v_and_b32_e32 v2, 63, v0
	v_cmp_gt_u32_e32 vcc, 64, v0
	v_lshlrev_b32_e32 v1, 2, v2
	s_and_saveexec_b64 s[0:1], vcc
; %bb.5:
	v_mov_b32_e32 v4, 0
	ds_write_b32 v1, v4
; %bb.6:
	s_or_b64 exec, exec, s[0:1]
	v_mbcnt_lo_u32_b32 v4, -1, 0
	v_mbcnt_hi_u32_b32 v5, -1, v4
	v_mov_b32_e32 v4, 0x80
	v_lshl_or_b32 v4, v5, 2, v4
	ds_bpermute_b32 v4, v4, v3
	v_and_b32_e32 v6, 63, v5
	v_cmp_gt_u32_e64 s[0:1], 48, v6
	v_cndmask_b32_e64 v7, 0, 16, s[0:1]
	v_cmp_gt_u32_e64 s[0:1], 56, v6
	s_waitcnt lgkmcnt(0)
	v_add_f32_e32 v3, v3, v4
	v_add_lshl_u32 v4, v7, v5, 2
	ds_bpermute_b32 v4, v4, v3
	v_cndmask_b32_e64 v7, 0, 8, s[0:1]
	v_add_lshl_u32 v7, v7, v5, 2
	v_cmp_gt_u32_e64 s[0:1], 60, v6
	s_waitcnt lgkmcnt(0)
	v_add_f32_e32 v4, v3, v4
	ds_bpermute_b32 v7, v7, v4
	v_cndmask_b32_e64 v3, 0, 4, s[0:1]
	v_add_lshl_u32 v3, v3, v5, 2
	v_cmp_gt_u32_e64 s[0:1], 62, v6
	s_waitcnt lgkmcnt(0)
	s_barrier
	v_add_f32_e32 v7, v4, v7
	ds_bpermute_b32 v8, v3, v7
	v_cndmask_b32_e64 v4, 0, 2, s[0:1]
	v_add_lshl_u32 v4, v4, v5, 2
	v_cmp_ne_u32_e64 s[0:1], 63, v6
	v_addc_co_u32_e64 v5, s[0:1], 0, v5, s[0:1]
	s_waitcnt lgkmcnt(0)
	v_add_f32_e32 v7, v7, v8
	ds_bpermute_b32 v8, v4, v7
	v_lshlrev_b32_e32 v5, 2, v5
	v_cmp_eq_u32_e64 s[0:1], 0, v2
	s_waitcnt lgkmcnt(0)
	v_add_f32_e32 v6, v7, v8
	ds_bpermute_b32 v7, v5, v6
	s_and_saveexec_b64 s[4:5], s[0:1]
	s_cbranch_execz .LBB219_8
; %bb.7:
	s_waitcnt lgkmcnt(0)
	v_add_f32_e32 v2, v6, v7
	v_lshrrev_b32_e32 v6, 4, v0
	v_and_b32_e32 v6, 28, v6
	ds_write_b32 v6, v2
.LBB219_8:
	s_or_b64 exec, exec, s[4:5]
	v_cmp_gt_u32_e64 s[0:1], 8, v0
	v_mov_b32_e32 v2, 0
	s_waitcnt lgkmcnt(0)
	s_barrier
	s_and_saveexec_b64 s[4:5], s[0:1]
	s_cbranch_execnz .LBB219_12
; %bb.9:
	s_or_b64 exec, exec, s[4:5]
	s_and_saveexec_b64 s[0:1], vcc
	s_cbranch_execnz .LBB219_13
.LBB219_10:
	s_or_b64 exec, exec, s[0:1]
	v_cmp_eq_u32_e32 vcc, 0, v0
	s_and_saveexec_b64 s[0:1], vcc
	s_cbranch_execnz .LBB219_14
.LBB219_11:
	s_endpgm
.LBB219_12:
	ds_read_b32 v2, v1
	s_or_b64 exec, exec, s[4:5]
	s_and_saveexec_b64 s[0:1], vcc
	s_cbranch_execz .LBB219_10
.LBB219_13:
	s_waitcnt lgkmcnt(0)
	ds_bpermute_b32 v1, v3, v2
	s_waitcnt lgkmcnt(0)
	v_add_f32_e32 v1, v2, v1
	ds_bpermute_b32 v2, v4, v1
	s_waitcnt lgkmcnt(0)
	v_add_f32_e32 v1, v1, v2
	;; [unrolled: 3-line block ×3, first 2 shown]
	s_or_b64 exec, exec, s[0:1]
	v_cmp_eq_u32_e32 vcc, 0, v0
	s_and_saveexec_b64 s[0:1], vcc
	s_cbranch_execz .LBB219_11
.LBB219_14:
	s_cmp_lg_u32 s18, 1
	s_mov_b64 s[0:1], -1
	s_cbranch_scc0 .LBB219_16
; %bb.15:
	s_mul_hi_u32 s1, s18, s2
	s_mul_i32 s0, s18, s2
	s_lshl_b64 s[0:1], s[0:1], 2
	s_mov_b32 s7, 0
	s_add_u32 s4, s8, s0
	s_addc_u32 s5, s9, s1
	s_lshl_b64 s[0:1], s[6:7], 2
	s_add_u32 s0, s4, s0
	s_addc_u32 s1, s5, s1
	v_mov_b32_e32 v0, 0
	s_waitcnt lgkmcnt(0)
	global_store_dword v0, v2, s[0:1]
	s_mov_b64 s[0:1], 0
.LBB219_16:
	s_andn2_b64 vcc, exec, s[0:1]
	s_cbranch_vccnz .LBB219_11
; %bb.17:
	s_lshl_b64 s[0:1], s[2:3], 2
	s_add_u32 s0, s10, s0
	s_addc_u32 s1, s11, s1
	v_mov_b32_e32 v0, 0
	s_waitcnt lgkmcnt(0)
	global_store_dword v0, v2, s[0:1]
	s_endpgm
	.section	.rodata,"a",@progbits
	.p2align	6, 0x0
	.amdhsa_kernel _ZL23rocblas_dot_kernel_inc1ILb0ELi512ELi4ELb1EfPKffEviT4_llS2_lliPT5_PT3_
		.amdhsa_group_segment_fixed_size 256
		.amdhsa_private_segment_fixed_size 0
		.amdhsa_kernarg_size 336
		.amdhsa_user_sgpr_count 6
		.amdhsa_user_sgpr_private_segment_buffer 1
		.amdhsa_user_sgpr_dispatch_ptr 0
		.amdhsa_user_sgpr_queue_ptr 0
		.amdhsa_user_sgpr_kernarg_segment_ptr 1
		.amdhsa_user_sgpr_dispatch_id 0
		.amdhsa_user_sgpr_flat_scratch_init 0
		.amdhsa_user_sgpr_private_segment_size 0
		.amdhsa_uses_dynamic_stack 0
		.amdhsa_system_sgpr_private_segment_wavefront_offset 0
		.amdhsa_system_sgpr_workgroup_id_x 1
		.amdhsa_system_sgpr_workgroup_id_y 0
		.amdhsa_system_sgpr_workgroup_id_z 1
		.amdhsa_system_sgpr_workgroup_info 0
		.amdhsa_system_vgpr_workitem_id 0
		.amdhsa_next_free_vgpr 14
		.amdhsa_next_free_sgpr 28
		.amdhsa_reserve_vcc 1
		.amdhsa_reserve_flat_scratch 0
		.amdhsa_float_round_mode_32 0
		.amdhsa_float_round_mode_16_64 0
		.amdhsa_float_denorm_mode_32 3
		.amdhsa_float_denorm_mode_16_64 3
		.amdhsa_dx10_clamp 1
		.amdhsa_ieee_mode 1
		.amdhsa_fp16_overflow 0
		.amdhsa_exception_fp_ieee_invalid_op 0
		.amdhsa_exception_fp_denorm_src 0
		.amdhsa_exception_fp_ieee_div_zero 0
		.amdhsa_exception_fp_ieee_overflow 0
		.amdhsa_exception_fp_ieee_underflow 0
		.amdhsa_exception_fp_ieee_inexact 0
		.amdhsa_exception_int_div_zero 0
	.end_amdhsa_kernel
	.section	.text._ZL23rocblas_dot_kernel_inc1ILb0ELi512ELi4ELb1EfPKffEviT4_llS2_lliPT5_PT3_,"axG",@progbits,_ZL23rocblas_dot_kernel_inc1ILb0ELi512ELi4ELb1EfPKffEviT4_llS2_lliPT5_PT3_,comdat
.Lfunc_end219:
	.size	_ZL23rocblas_dot_kernel_inc1ILb0ELi512ELi4ELb1EfPKffEviT4_llS2_lliPT5_PT3_, .Lfunc_end219-_ZL23rocblas_dot_kernel_inc1ILb0ELi512ELi4ELb1EfPKffEviT4_llS2_lliPT5_PT3_
                                        ; -- End function
	.set _ZL23rocblas_dot_kernel_inc1ILb0ELi512ELi4ELb1EfPKffEviT4_llS2_lliPT5_PT3_.num_vgpr, 14
	.set _ZL23rocblas_dot_kernel_inc1ILb0ELi512ELi4ELb1EfPKffEviT4_llS2_lliPT5_PT3_.num_agpr, 0
	.set _ZL23rocblas_dot_kernel_inc1ILb0ELi512ELi4ELb1EfPKffEviT4_llS2_lliPT5_PT3_.numbered_sgpr, 28
	.set _ZL23rocblas_dot_kernel_inc1ILb0ELi512ELi4ELb1EfPKffEviT4_llS2_lliPT5_PT3_.num_named_barrier, 0
	.set _ZL23rocblas_dot_kernel_inc1ILb0ELi512ELi4ELb1EfPKffEviT4_llS2_lliPT5_PT3_.private_seg_size, 0
	.set _ZL23rocblas_dot_kernel_inc1ILb0ELi512ELi4ELb1EfPKffEviT4_llS2_lliPT5_PT3_.uses_vcc, 1
	.set _ZL23rocblas_dot_kernel_inc1ILb0ELi512ELi4ELb1EfPKffEviT4_llS2_lliPT5_PT3_.uses_flat_scratch, 0
	.set _ZL23rocblas_dot_kernel_inc1ILb0ELi512ELi4ELb1EfPKffEviT4_llS2_lliPT5_PT3_.has_dyn_sized_stack, 0
	.set _ZL23rocblas_dot_kernel_inc1ILb0ELi512ELi4ELb1EfPKffEviT4_llS2_lliPT5_PT3_.has_recursion, 0
	.set _ZL23rocblas_dot_kernel_inc1ILb0ELi512ELi4ELb1EfPKffEviT4_llS2_lliPT5_PT3_.has_indirect_call, 0
	.section	.AMDGPU.csdata,"",@progbits
; Kernel info:
; codeLenInByte = 912
; TotalNumSgprs: 32
; NumVgprs: 14
; ScratchSize: 0
; MemoryBound: 0
; FloatMode: 240
; IeeeMode: 1
; LDSByteSize: 256 bytes/workgroup (compile time only)
; SGPRBlocks: 3
; VGPRBlocks: 3
; NumSGPRsForWavesPerEU: 32
; NumVGPRsForWavesPerEU: 14
; Occupancy: 10
; WaveLimiterHint : 0
; COMPUTE_PGM_RSRC2:SCRATCH_EN: 0
; COMPUTE_PGM_RSRC2:USER_SGPR: 6
; COMPUTE_PGM_RSRC2:TRAP_HANDLER: 0
; COMPUTE_PGM_RSRC2:TGID_X_EN: 1
; COMPUTE_PGM_RSRC2:TGID_Y_EN: 0
; COMPUTE_PGM_RSRC2:TGID_Z_EN: 1
; COMPUTE_PGM_RSRC2:TIDIG_COMP_CNT: 0
	.section	.text._ZL18rocblas_dot_kernelIiLb0ELi512ELi4ELb1EfPKffEviT5_lT_lS2_lS3_liPT6_PT4_,"axG",@progbits,_ZL18rocblas_dot_kernelIiLb0ELi512ELi4ELb1EfPKffEviT5_lT_lS2_lS3_liPT6_PT4_,comdat
	.globl	_ZL18rocblas_dot_kernelIiLb0ELi512ELi4ELb1EfPKffEviT5_lT_lS2_lS3_liPT6_PT4_ ; -- Begin function _ZL18rocblas_dot_kernelIiLb0ELi512ELi4ELb1EfPKffEviT5_lT_lS2_lS3_liPT6_PT4_
	.p2align	8
	.type	_ZL18rocblas_dot_kernelIiLb0ELi512ELi4ELb1EfPKffEviT5_lT_lS2_lS3_liPT6_PT4_,@function
_ZL18rocblas_dot_kernelIiLb0ELi512ELi4ELb1EfPKffEviT5_lT_lS2_lS3_liPT6_PT4_: ; @_ZL18rocblas_dot_kernelIiLb0ELi512ELi4ELb1EfPKffEviT5_lT_lS2_lS3_liPT6_PT4_
; %bb.0:
	s_mov_b32 s12, s7
	s_load_dword s18, s[4:5], 0x60
	s_load_dword s7, s[4:5], 0x0
	s_load_dwordx4 s[8:11], s[4:5], 0x50
	v_lshl_or_b32 v3, s6, 9, v0
	s_mov_b32 s13, 0
	v_mov_b32_e32 v6, 0
	s_waitcnt lgkmcnt(0)
	v_cmp_gt_i32_e32 vcc, s7, v3
	s_and_saveexec_b64 s[14:15], vcc
	s_cbranch_execz .LBB220_4
; %bb.1:
	s_load_dword s26, s[4:5], 0x18
	s_load_dwordx4 s[20:23], s[4:5], 0x8
	s_load_dwordx4 s[0:3], s[4:5], 0x20
	s_load_dwordx2 s[16:17], s[4:5], 0x30
	s_lshl_b32 s19, s18, 9
	s_waitcnt lgkmcnt(0)
	v_mad_i64_i32 v[1:2], s[24:25], s26, v3, 0
	s_load_dword s27, s[4:5], 0x38
	s_load_dwordx2 s[24:25], s[4:5], 0x40
	s_mul_i32 s1, s1, s12
	s_mul_hi_u32 s4, s0, s12
	s_add_i32 s1, s4, s1
	s_mul_i32 s0, s0, s12
	s_lshl_b64 s[0:1], s[0:1], 2
	s_lshl_b64 s[4:5], s[22:23], 2
	s_add_u32 s4, s20, s4
	s_addc_u32 s5, s21, s5
	v_lshlrev_b64 v[1:2], 2, v[1:2]
	s_add_u32 s0, s4, s0
	s_addc_u32 s1, s5, s1
	v_mov_b32_e32 v4, s1
	v_add_co_u32_e32 v1, vcc, s0, v1
	v_add_u32_e32 v5, s19, v3
	v_addc_co_u32_e32 v2, vcc, v4, v2, vcc
	s_waitcnt lgkmcnt(0)
	v_mad_i64_i32 v[3:4], s[0:1], s27, v3, 0
	s_mul_hi_i32 s1, s26, s19
	s_mul_i32 s0, s26, s19
	s_lshl_b64 s[4:5], s[0:1], 2
	s_mul_i32 s0, s25, s12
	s_mul_hi_u32 s1, s24, s12
	s_add_i32 s1, s1, s0
	s_mul_i32 s0, s24, s12
	s_lshl_b64 s[0:1], s[0:1], 2
	s_lshl_b64 s[16:17], s[16:17], 2
	s_add_u32 s2, s2, s16
	s_addc_u32 s3, s3, s17
	v_lshlrev_b64 v[3:4], 2, v[3:4]
	s_add_u32 s0, s2, s0
	s_addc_u32 s1, s3, s1
	v_mov_b32_e32 v6, s1
	v_add_co_u32_e32 v3, vcc, s0, v3
	s_mul_hi_i32 s1, s27, s19
	s_mul_i32 s0, s27, s19
	s_lshl_b64 s[2:3], s[0:1], 2
	v_addc_co_u32_e32 v4, vcc, v6, v4, vcc
	v_mov_b32_e32 v6, 0
	s_mov_b64 s[16:17], 0
	v_mov_b32_e32 v7, s5
	v_mov_b32_e32 v8, s3
	s_mov_b32 s3, s13
.LBB220_2:                              ; =>This Inner Loop Header: Depth=1
	global_load_dword v9, v[3:4], off
	global_load_dword v10, v[1:2], off
	v_add_co_u32_e64 v1, s[0:1], s4, v1
	v_addc_co_u32_e64 v2, s[0:1], v2, v7, s[0:1]
	s_add_i32 s5, s3, 1
	v_add_co_u32_e64 v3, s[0:1], s2, v3
	v_addc_co_u32_e64 v4, s[0:1], v4, v8, s[0:1]
	s_cmp_gt_u32 s3, 2
	v_cmp_le_i32_e32 vcc, s7, v5
	s_cselect_b64 s[0:1], -1, 0
	s_or_b64 s[0:1], s[0:1], vcc
	s_and_b64 s[0:1], exec, s[0:1]
	v_add_u32_e32 v5, s19, v5
	s_mov_b32 s3, s5
	s_or_b64 s[16:17], s[0:1], s[16:17]
	s_waitcnt vmcnt(0)
	v_fmac_f32_e32 v6, v9, v10
	s_andn2_b64 exec, exec, s[16:17]
	s_cbranch_execnz .LBB220_2
; %bb.3:
	s_or_b64 exec, exec, s[16:17]
.LBB220_4:
	s_or_b64 exec, exec, s[14:15]
	v_and_b32_e32 v2, 63, v0
	v_cmp_gt_u32_e32 vcc, 64, v0
	v_lshlrev_b32_e32 v1, 2, v2
	s_and_saveexec_b64 s[0:1], vcc
; %bb.5:
	v_mov_b32_e32 v3, 0
	ds_write_b32 v1, v3
; %bb.6:
	s_or_b64 exec, exec, s[0:1]
	v_mbcnt_lo_u32_b32 v3, -1, 0
	v_mbcnt_hi_u32_b32 v5, -1, v3
	v_mov_b32_e32 v3, 0x80
	v_lshl_or_b32 v3, v5, 2, v3
	ds_bpermute_b32 v3, v3, v6
	v_and_b32_e32 v7, 63, v5
	v_cmp_gt_u32_e64 s[0:1], 48, v7
	v_cndmask_b32_e64 v4, 0, 16, s[0:1]
	v_add_lshl_u32 v4, v4, v5, 2
	s_waitcnt lgkmcnt(0)
	v_add_f32_e32 v3, v6, v3
	ds_bpermute_b32 v4, v4, v3
	v_cmp_gt_u32_e64 s[0:1], 56, v7
	v_cndmask_b32_e64 v6, 0, 8, s[0:1]
	v_add_lshl_u32 v6, v6, v5, 2
	v_cmp_gt_u32_e64 s[0:1], 60, v7
	s_waitcnt lgkmcnt(0)
	v_add_f32_e32 v4, v3, v4
	ds_bpermute_b32 v6, v6, v4
	v_cndmask_b32_e64 v3, 0, 4, s[0:1]
	v_add_lshl_u32 v3, v3, v5, 2
	v_cmp_gt_u32_e64 s[0:1], 62, v7
	s_waitcnt lgkmcnt(0)
	v_add_f32_e32 v6, v4, v6
	ds_bpermute_b32 v8, v3, v6
	v_cndmask_b32_e64 v4, 0, 2, s[0:1]
	v_add_lshl_u32 v4, v4, v5, 2
	v_cmp_ne_u32_e64 s[0:1], 63, v7
	v_addc_co_u32_e64 v5, s[0:1], 0, v5, s[0:1]
	s_waitcnt lgkmcnt(0)
	v_add_f32_e32 v6, v6, v8
	ds_bpermute_b32 v8, v4, v6
	v_lshlrev_b32_e32 v5, 2, v5
	v_cmp_eq_u32_e64 s[0:1], 0, v2
	s_waitcnt lgkmcnt(0)
	s_barrier
	v_add_f32_e32 v6, v6, v8
	ds_bpermute_b32 v7, v5, v6
	s_and_saveexec_b64 s[2:3], s[0:1]
	s_cbranch_execz .LBB220_8
; %bb.7:
	s_waitcnt lgkmcnt(0)
	v_add_f32_e32 v2, v6, v7
	v_lshrrev_b32_e32 v6, 4, v0
	v_and_b32_e32 v6, 28, v6
	ds_write_b32 v6, v2
.LBB220_8:
	s_or_b64 exec, exec, s[2:3]
	v_cmp_gt_u32_e64 s[0:1], 8, v0
	v_mov_b32_e32 v2, 0
	s_waitcnt lgkmcnt(0)
	s_barrier
	s_and_saveexec_b64 s[2:3], s[0:1]
	s_cbranch_execnz .LBB220_12
; %bb.9:
	s_or_b64 exec, exec, s[2:3]
	s_and_saveexec_b64 s[0:1], vcc
	s_cbranch_execnz .LBB220_13
.LBB220_10:
	s_or_b64 exec, exec, s[0:1]
	v_cmp_eq_u32_e32 vcc, 0, v0
	s_and_saveexec_b64 s[0:1], vcc
	s_cbranch_execnz .LBB220_14
.LBB220_11:
	s_endpgm
.LBB220_12:
	ds_read_b32 v2, v1
	s_or_b64 exec, exec, s[2:3]
	s_and_saveexec_b64 s[0:1], vcc
	s_cbranch_execz .LBB220_10
.LBB220_13:
	s_waitcnt lgkmcnt(0)
	ds_bpermute_b32 v1, v3, v2
	s_waitcnt lgkmcnt(0)
	v_add_f32_e32 v1, v2, v1
	ds_bpermute_b32 v2, v4, v1
	s_waitcnt lgkmcnt(0)
	v_add_f32_e32 v1, v1, v2
	;; [unrolled: 3-line block ×3, first 2 shown]
	s_or_b64 exec, exec, s[0:1]
	v_cmp_eq_u32_e32 vcc, 0, v0
	s_and_saveexec_b64 s[0:1], vcc
	s_cbranch_execz .LBB220_11
.LBB220_14:
	s_cmp_lg_u32 s18, 1
	s_mov_b64 s[0:1], -1
	s_cbranch_scc0 .LBB220_16
; %bb.15:
	s_mul_hi_u32 s1, s18, s12
	s_mul_i32 s0, s18, s12
	s_lshl_b64 s[0:1], s[0:1], 2
	s_mov_b32 s7, 0
	s_add_u32 s2, s8, s0
	s_addc_u32 s3, s9, s1
	s_lshl_b64 s[0:1], s[6:7], 2
	s_add_u32 s0, s2, s0
	s_addc_u32 s1, s3, s1
	v_mov_b32_e32 v0, 0
	s_waitcnt lgkmcnt(0)
	global_store_dword v0, v2, s[0:1]
	s_mov_b64 s[0:1], 0
.LBB220_16:
	s_andn2_b64 vcc, exec, s[0:1]
	s_cbranch_vccnz .LBB220_11
; %bb.17:
	s_lshl_b64 s[0:1], s[12:13], 2
	s_add_u32 s0, s10, s0
	s_addc_u32 s1, s11, s1
	v_mov_b32_e32 v0, 0
	s_waitcnt lgkmcnt(0)
	global_store_dword v0, v2, s[0:1]
	s_endpgm
	.section	.rodata,"a",@progbits
	.p2align	6, 0x0
	.amdhsa_kernel _ZL18rocblas_dot_kernelIiLb0ELi512ELi4ELb1EfPKffEviT5_lT_lS2_lS3_liPT6_PT4_
		.amdhsa_group_segment_fixed_size 256
		.amdhsa_private_segment_fixed_size 0
		.amdhsa_kernarg_size 352
		.amdhsa_user_sgpr_count 6
		.amdhsa_user_sgpr_private_segment_buffer 1
		.amdhsa_user_sgpr_dispatch_ptr 0
		.amdhsa_user_sgpr_queue_ptr 0
		.amdhsa_user_sgpr_kernarg_segment_ptr 1
		.amdhsa_user_sgpr_dispatch_id 0
		.amdhsa_user_sgpr_flat_scratch_init 0
		.amdhsa_user_sgpr_private_segment_size 0
		.amdhsa_uses_dynamic_stack 0
		.amdhsa_system_sgpr_private_segment_wavefront_offset 0
		.amdhsa_system_sgpr_workgroup_id_x 1
		.amdhsa_system_sgpr_workgroup_id_y 0
		.amdhsa_system_sgpr_workgroup_id_z 1
		.amdhsa_system_sgpr_workgroup_info 0
		.amdhsa_system_vgpr_workitem_id 0
		.amdhsa_next_free_vgpr 11
		.amdhsa_next_free_sgpr 28
		.amdhsa_reserve_vcc 1
		.amdhsa_reserve_flat_scratch 0
		.amdhsa_float_round_mode_32 0
		.amdhsa_float_round_mode_16_64 0
		.amdhsa_float_denorm_mode_32 3
		.amdhsa_float_denorm_mode_16_64 3
		.amdhsa_dx10_clamp 1
		.amdhsa_ieee_mode 1
		.amdhsa_fp16_overflow 0
		.amdhsa_exception_fp_ieee_invalid_op 0
		.amdhsa_exception_fp_denorm_src 0
		.amdhsa_exception_fp_ieee_div_zero 0
		.amdhsa_exception_fp_ieee_overflow 0
		.amdhsa_exception_fp_ieee_underflow 0
		.amdhsa_exception_fp_ieee_inexact 0
		.amdhsa_exception_int_div_zero 0
	.end_amdhsa_kernel
	.section	.text._ZL18rocblas_dot_kernelIiLb0ELi512ELi4ELb1EfPKffEviT5_lT_lS2_lS3_liPT6_PT4_,"axG",@progbits,_ZL18rocblas_dot_kernelIiLb0ELi512ELi4ELb1EfPKffEviT5_lT_lS2_lS3_liPT6_PT4_,comdat
.Lfunc_end220:
	.size	_ZL18rocblas_dot_kernelIiLb0ELi512ELi4ELb1EfPKffEviT5_lT_lS2_lS3_liPT6_PT4_, .Lfunc_end220-_ZL18rocblas_dot_kernelIiLb0ELi512ELi4ELb1EfPKffEviT5_lT_lS2_lS3_liPT6_PT4_
                                        ; -- End function
	.set _ZL18rocblas_dot_kernelIiLb0ELi512ELi4ELb1EfPKffEviT5_lT_lS2_lS3_liPT6_PT4_.num_vgpr, 11
	.set _ZL18rocblas_dot_kernelIiLb0ELi512ELi4ELb1EfPKffEviT5_lT_lS2_lS3_liPT6_PT4_.num_agpr, 0
	.set _ZL18rocblas_dot_kernelIiLb0ELi512ELi4ELb1EfPKffEviT5_lT_lS2_lS3_liPT6_PT4_.numbered_sgpr, 28
	.set _ZL18rocblas_dot_kernelIiLb0ELi512ELi4ELb1EfPKffEviT5_lT_lS2_lS3_liPT6_PT4_.num_named_barrier, 0
	.set _ZL18rocblas_dot_kernelIiLb0ELi512ELi4ELb1EfPKffEviT5_lT_lS2_lS3_liPT6_PT4_.private_seg_size, 0
	.set _ZL18rocblas_dot_kernelIiLb0ELi512ELi4ELb1EfPKffEviT5_lT_lS2_lS3_liPT6_PT4_.uses_vcc, 1
	.set _ZL18rocblas_dot_kernelIiLb0ELi512ELi4ELb1EfPKffEviT5_lT_lS2_lS3_liPT6_PT4_.uses_flat_scratch, 0
	.set _ZL18rocblas_dot_kernelIiLb0ELi512ELi4ELb1EfPKffEviT5_lT_lS2_lS3_liPT6_PT4_.has_dyn_sized_stack, 0
	.set _ZL18rocblas_dot_kernelIiLb0ELi512ELi4ELb1EfPKffEviT5_lT_lS2_lS3_liPT6_PT4_.has_recursion, 0
	.set _ZL18rocblas_dot_kernelIiLb0ELi512ELi4ELb1EfPKffEviT5_lT_lS2_lS3_liPT6_PT4_.has_indirect_call, 0
	.section	.AMDGPU.csdata,"",@progbits
; Kernel info:
; codeLenInByte = 988
; TotalNumSgprs: 32
; NumVgprs: 11
; ScratchSize: 0
; MemoryBound: 0
; FloatMode: 240
; IeeeMode: 1
; LDSByteSize: 256 bytes/workgroup (compile time only)
; SGPRBlocks: 3
; VGPRBlocks: 2
; NumSGPRsForWavesPerEU: 32
; NumVGPRsForWavesPerEU: 11
; Occupancy: 10
; WaveLimiterHint : 0
; COMPUTE_PGM_RSRC2:SCRATCH_EN: 0
; COMPUTE_PGM_RSRC2:USER_SGPR: 6
; COMPUTE_PGM_RSRC2:TRAP_HANDLER: 0
; COMPUTE_PGM_RSRC2:TGID_X_EN: 1
; COMPUTE_PGM_RSRC2:TGID_Y_EN: 0
; COMPUTE_PGM_RSRC2:TGID_Z_EN: 1
; COMPUTE_PGM_RSRC2:TIDIG_COMP_CNT: 0
	.section	.text._ZL24rocblas_dot_kernel_magsqIiLb0ELi512ELi4ELb1EfPKffEviT5_lT_liPT6_PT4_,"axG",@progbits,_ZL24rocblas_dot_kernel_magsqIiLb0ELi512ELi4ELb1EfPKffEviT5_lT_liPT6_PT4_,comdat
	.globl	_ZL24rocblas_dot_kernel_magsqIiLb0ELi512ELi4ELb1EfPKffEviT5_lT_liPT6_PT4_ ; -- Begin function _ZL24rocblas_dot_kernel_magsqIiLb0ELi512ELi4ELb1EfPKffEviT5_lT_liPT6_PT4_
	.p2align	8
	.type	_ZL24rocblas_dot_kernel_magsqIiLb0ELi512ELi4ELb1EfPKffEviT5_lT_liPT6_PT4_,@function
_ZL24rocblas_dot_kernel_magsqIiLb0ELi512ELi4ELb1EfPKffEviT5_lT_liPT6_PT4_: ; @_ZL24rocblas_dot_kernel_magsqIiLb0ELi512ELi4ELb1EfPKffEviT5_lT_liPT6_PT4_
; %bb.0:
	s_mov_b32 s2, s7
	s_load_dword s7, s[4:5], 0x0
	s_load_dwordx4 s[8:11], s[4:5], 0x30
	s_load_dword s16, s[4:5], 0x40
	v_lshl_or_b32 v1, s6, 9, v0
	s_mov_b32 s3, 0
	s_waitcnt lgkmcnt(0)
	v_cmp_gt_i32_e32 vcc, s7, v1
	v_mov_b32_e32 v3, 0
	s_and_saveexec_b64 s[12:13], vcc
	s_cbranch_execz .LBB221_4
; %bb.1:
	s_load_dword s14, s[4:5], 0x18
	s_load_dwordx4 s[20:23], s[4:5], 0x8
	s_load_dwordx2 s[0:1], s[4:5], 0x20
	s_lshl_b32 s17, s16, 9
	v_add_u32_e32 v4, s17, v1
	s_waitcnt lgkmcnt(0)
	v_mad_i64_i32 v[2:3], s[4:5], s14, v1, 0
	s_mul_i32 s1, s1, s2
	s_mul_hi_u32 s4, s0, s2
	s_add_i32 s1, s4, s1
	s_mul_i32 s0, s0, s2
	s_lshl_b64 s[0:1], s[0:1], 2
	s_lshl_b64 s[4:5], s[22:23], 2
	s_add_u32 s4, s20, s4
	s_addc_u32 s5, s21, s5
	v_lshlrev_b64 v[1:2], 2, v[2:3]
	s_add_u32 s0, s4, s0
	s_addc_u32 s1, s5, s1
	v_mov_b32_e32 v3, s1
	v_add_co_u32_e32 v1, vcc, s0, v1
	s_mul_hi_i32 s1, s14, s17
	s_mul_i32 s0, s14, s17
	s_lshl_b64 s[4:5], s[0:1], 2
	v_addc_co_u32_e32 v2, vcc, v3, v2, vcc
	v_mov_b32_e32 v3, 0
	s_mov_b64 s[14:15], 0
	v_mov_b32_e32 v5, s5
	s_mov_b32 s5, s3
.LBB221_2:                              ; =>This Inner Loop Header: Depth=1
	global_load_dword v6, v[1:2], off
	s_add_i32 s18, s5, 1
	v_add_co_u32_e64 v1, s[0:1], s4, v1
	v_addc_co_u32_e64 v2, s[0:1], v2, v5, s[0:1]
	s_cmp_gt_u32 s5, 2
	v_cmp_le_i32_e32 vcc, s7, v4
	s_cselect_b64 s[0:1], -1, 0
	s_or_b64 s[0:1], s[0:1], vcc
	s_and_b64 s[0:1], exec, s[0:1]
	v_add_u32_e32 v4, s17, v4
	s_mov_b32 s5, s18
	s_or_b64 s[14:15], s[0:1], s[14:15]
	s_waitcnt vmcnt(0)
	v_fmac_f32_e32 v3, v6, v6
	s_andn2_b64 exec, exec, s[14:15]
	s_cbranch_execnz .LBB221_2
; %bb.3:
	s_or_b64 exec, exec, s[14:15]
.LBB221_4:
	s_or_b64 exec, exec, s[12:13]
	v_and_b32_e32 v2, 63, v0
	v_cmp_gt_u32_e32 vcc, 64, v0
	v_lshlrev_b32_e32 v1, 2, v2
	s_and_saveexec_b64 s[0:1], vcc
; %bb.5:
	v_mov_b32_e32 v4, 0
	ds_write_b32 v1, v4
; %bb.6:
	s_or_b64 exec, exec, s[0:1]
	v_mbcnt_lo_u32_b32 v4, -1, 0
	v_mbcnt_hi_u32_b32 v5, -1, v4
	v_mov_b32_e32 v4, 0x80
	v_lshl_or_b32 v4, v5, 2, v4
	ds_bpermute_b32 v4, v4, v3
	v_and_b32_e32 v6, 63, v5
	v_cmp_gt_u32_e64 s[0:1], 48, v6
	v_cndmask_b32_e64 v7, 0, 16, s[0:1]
	v_cmp_gt_u32_e64 s[0:1], 56, v6
	s_waitcnt lgkmcnt(0)
	v_add_f32_e32 v3, v3, v4
	v_add_lshl_u32 v4, v7, v5, 2
	ds_bpermute_b32 v4, v4, v3
	v_cndmask_b32_e64 v7, 0, 8, s[0:1]
	v_add_lshl_u32 v7, v7, v5, 2
	v_cmp_gt_u32_e64 s[0:1], 60, v6
	s_waitcnt lgkmcnt(0)
	v_add_f32_e32 v4, v3, v4
	ds_bpermute_b32 v7, v7, v4
	v_cndmask_b32_e64 v3, 0, 4, s[0:1]
	v_add_lshl_u32 v3, v3, v5, 2
	v_cmp_gt_u32_e64 s[0:1], 62, v6
	s_waitcnt lgkmcnt(0)
	s_barrier
	v_add_f32_e32 v7, v4, v7
	ds_bpermute_b32 v8, v3, v7
	v_cndmask_b32_e64 v4, 0, 2, s[0:1]
	v_add_lshl_u32 v4, v4, v5, 2
	v_cmp_ne_u32_e64 s[0:1], 63, v6
	v_addc_co_u32_e64 v5, s[0:1], 0, v5, s[0:1]
	s_waitcnt lgkmcnt(0)
	v_add_f32_e32 v7, v7, v8
	ds_bpermute_b32 v8, v4, v7
	v_lshlrev_b32_e32 v5, 2, v5
	v_cmp_eq_u32_e64 s[0:1], 0, v2
	s_waitcnt lgkmcnt(0)
	v_add_f32_e32 v6, v7, v8
	ds_bpermute_b32 v7, v5, v6
	s_and_saveexec_b64 s[4:5], s[0:1]
	s_cbranch_execz .LBB221_8
; %bb.7:
	s_waitcnt lgkmcnt(0)
	v_add_f32_e32 v2, v6, v7
	v_lshrrev_b32_e32 v6, 4, v0
	v_and_b32_e32 v6, 28, v6
	ds_write_b32 v6, v2
.LBB221_8:
	s_or_b64 exec, exec, s[4:5]
	v_cmp_gt_u32_e64 s[0:1], 8, v0
	v_mov_b32_e32 v2, 0
	s_waitcnt lgkmcnt(0)
	s_barrier
	s_and_saveexec_b64 s[4:5], s[0:1]
	s_cbranch_execnz .LBB221_12
; %bb.9:
	s_or_b64 exec, exec, s[4:5]
	s_and_saveexec_b64 s[0:1], vcc
	s_cbranch_execnz .LBB221_13
.LBB221_10:
	s_or_b64 exec, exec, s[0:1]
	v_cmp_eq_u32_e32 vcc, 0, v0
	s_and_saveexec_b64 s[0:1], vcc
	s_cbranch_execnz .LBB221_14
.LBB221_11:
	s_endpgm
.LBB221_12:
	ds_read_b32 v2, v1
	s_or_b64 exec, exec, s[4:5]
	s_and_saveexec_b64 s[0:1], vcc
	s_cbranch_execz .LBB221_10
.LBB221_13:
	s_waitcnt lgkmcnt(0)
	ds_bpermute_b32 v1, v3, v2
	s_waitcnt lgkmcnt(0)
	v_add_f32_e32 v1, v2, v1
	ds_bpermute_b32 v2, v4, v1
	s_waitcnt lgkmcnt(0)
	v_add_f32_e32 v1, v1, v2
	;; [unrolled: 3-line block ×3, first 2 shown]
	s_or_b64 exec, exec, s[0:1]
	v_cmp_eq_u32_e32 vcc, 0, v0
	s_and_saveexec_b64 s[0:1], vcc
	s_cbranch_execz .LBB221_11
.LBB221_14:
	s_cmp_lg_u32 s16, 1
	s_mov_b64 s[0:1], -1
	s_cbranch_scc0 .LBB221_16
; %bb.15:
	s_mul_hi_u32 s1, s16, s2
	s_mul_i32 s0, s16, s2
	s_lshl_b64 s[0:1], s[0:1], 2
	s_mov_b32 s7, 0
	s_add_u32 s4, s8, s0
	s_addc_u32 s5, s9, s1
	s_lshl_b64 s[0:1], s[6:7], 2
	s_add_u32 s0, s4, s0
	s_addc_u32 s1, s5, s1
	v_mov_b32_e32 v0, 0
	s_waitcnt lgkmcnt(0)
	global_store_dword v0, v2, s[0:1]
	s_mov_b64 s[0:1], 0
.LBB221_16:
	s_andn2_b64 vcc, exec, s[0:1]
	s_cbranch_vccnz .LBB221_11
; %bb.17:
	s_lshl_b64 s[0:1], s[2:3], 2
	s_add_u32 s0, s10, s0
	s_addc_u32 s1, s11, s1
	v_mov_b32_e32 v0, 0
	s_waitcnt lgkmcnt(0)
	global_store_dword v0, v2, s[0:1]
	s_endpgm
	.section	.rodata,"a",@progbits
	.p2align	6, 0x0
	.amdhsa_kernel _ZL24rocblas_dot_kernel_magsqIiLb0ELi512ELi4ELb1EfPKffEviT5_lT_liPT6_PT4_
		.amdhsa_group_segment_fixed_size 256
		.amdhsa_private_segment_fixed_size 0
		.amdhsa_kernarg_size 320
		.amdhsa_user_sgpr_count 6
		.amdhsa_user_sgpr_private_segment_buffer 1
		.amdhsa_user_sgpr_dispatch_ptr 0
		.amdhsa_user_sgpr_queue_ptr 0
		.amdhsa_user_sgpr_kernarg_segment_ptr 1
		.amdhsa_user_sgpr_dispatch_id 0
		.amdhsa_user_sgpr_flat_scratch_init 0
		.amdhsa_user_sgpr_private_segment_size 0
		.amdhsa_uses_dynamic_stack 0
		.amdhsa_system_sgpr_private_segment_wavefront_offset 0
		.amdhsa_system_sgpr_workgroup_id_x 1
		.amdhsa_system_sgpr_workgroup_id_y 0
		.amdhsa_system_sgpr_workgroup_id_z 1
		.amdhsa_system_sgpr_workgroup_info 0
		.amdhsa_system_vgpr_workitem_id 0
		.amdhsa_next_free_vgpr 9
		.amdhsa_next_free_sgpr 24
		.amdhsa_reserve_vcc 1
		.amdhsa_reserve_flat_scratch 0
		.amdhsa_float_round_mode_32 0
		.amdhsa_float_round_mode_16_64 0
		.amdhsa_float_denorm_mode_32 3
		.amdhsa_float_denorm_mode_16_64 3
		.amdhsa_dx10_clamp 1
		.amdhsa_ieee_mode 1
		.amdhsa_fp16_overflow 0
		.amdhsa_exception_fp_ieee_invalid_op 0
		.amdhsa_exception_fp_denorm_src 0
		.amdhsa_exception_fp_ieee_div_zero 0
		.amdhsa_exception_fp_ieee_overflow 0
		.amdhsa_exception_fp_ieee_underflow 0
		.amdhsa_exception_fp_ieee_inexact 0
		.amdhsa_exception_int_div_zero 0
	.end_amdhsa_kernel
	.section	.text._ZL24rocblas_dot_kernel_magsqIiLb0ELi512ELi4ELb1EfPKffEviT5_lT_liPT6_PT4_,"axG",@progbits,_ZL24rocblas_dot_kernel_magsqIiLb0ELi512ELi4ELb1EfPKffEviT5_lT_liPT6_PT4_,comdat
.Lfunc_end221:
	.size	_ZL24rocblas_dot_kernel_magsqIiLb0ELi512ELi4ELb1EfPKffEviT5_lT_liPT6_PT4_, .Lfunc_end221-_ZL24rocblas_dot_kernel_magsqIiLb0ELi512ELi4ELb1EfPKffEviT5_lT_liPT6_PT4_
                                        ; -- End function
	.set _ZL24rocblas_dot_kernel_magsqIiLb0ELi512ELi4ELb1EfPKffEviT5_lT_liPT6_PT4_.num_vgpr, 9
	.set _ZL24rocblas_dot_kernel_magsqIiLb0ELi512ELi4ELb1EfPKffEviT5_lT_liPT6_PT4_.num_agpr, 0
	.set _ZL24rocblas_dot_kernel_magsqIiLb0ELi512ELi4ELb1EfPKffEviT5_lT_liPT6_PT4_.numbered_sgpr, 24
	.set _ZL24rocblas_dot_kernel_magsqIiLb0ELi512ELi4ELb1EfPKffEviT5_lT_liPT6_PT4_.num_named_barrier, 0
	.set _ZL24rocblas_dot_kernel_magsqIiLb0ELi512ELi4ELb1EfPKffEviT5_lT_liPT6_PT4_.private_seg_size, 0
	.set _ZL24rocblas_dot_kernel_magsqIiLb0ELi512ELi4ELb1EfPKffEviT5_lT_liPT6_PT4_.uses_vcc, 1
	.set _ZL24rocblas_dot_kernel_magsqIiLb0ELi512ELi4ELb1EfPKffEviT5_lT_liPT6_PT4_.uses_flat_scratch, 0
	.set _ZL24rocblas_dot_kernel_magsqIiLb0ELi512ELi4ELb1EfPKffEviT5_lT_liPT6_PT4_.has_dyn_sized_stack, 0
	.set _ZL24rocblas_dot_kernel_magsqIiLb0ELi512ELi4ELb1EfPKffEviT5_lT_liPT6_PT4_.has_recursion, 0
	.set _ZL24rocblas_dot_kernel_magsqIiLb0ELi512ELi4ELb1EfPKffEviT5_lT_liPT6_PT4_.has_indirect_call, 0
	.section	.AMDGPU.csdata,"",@progbits
; Kernel info:
; codeLenInByte = 852
; TotalNumSgprs: 28
; NumVgprs: 9
; ScratchSize: 0
; MemoryBound: 0
; FloatMode: 240
; IeeeMode: 1
; LDSByteSize: 256 bytes/workgroup (compile time only)
; SGPRBlocks: 3
; VGPRBlocks: 2
; NumSGPRsForWavesPerEU: 28
; NumVGPRsForWavesPerEU: 9
; Occupancy: 10
; WaveLimiterHint : 0
; COMPUTE_PGM_RSRC2:SCRATCH_EN: 0
; COMPUTE_PGM_RSRC2:USER_SGPR: 6
; COMPUTE_PGM_RSRC2:TRAP_HANDLER: 0
; COMPUTE_PGM_RSRC2:TGID_X_EN: 1
; COMPUTE_PGM_RSRC2:TGID_Y_EN: 0
; COMPUTE_PGM_RSRC2:TGID_Z_EN: 1
; COMPUTE_PGM_RSRC2:TIDIG_COMP_CNT: 0
	.section	.text._ZL30rocblas_reduction_kernel_part2ILi512ELi4E25rocblas_finalize_identityffEviPT2_PT3_,"axG",@progbits,_ZL30rocblas_reduction_kernel_part2ILi512ELi4E25rocblas_finalize_identityffEviPT2_PT3_,comdat
	.globl	_ZL30rocblas_reduction_kernel_part2ILi512ELi4E25rocblas_finalize_identityffEviPT2_PT3_ ; -- Begin function _ZL30rocblas_reduction_kernel_part2ILi512ELi4E25rocblas_finalize_identityffEviPT2_PT3_
	.p2align	8
	.type	_ZL30rocblas_reduction_kernel_part2ILi512ELi4E25rocblas_finalize_identityffEviPT2_PT3_,@function
_ZL30rocblas_reduction_kernel_part2ILi512ELi4E25rocblas_finalize_identityffEviPT2_PT3_: ; @_ZL30rocblas_reduction_kernel_part2ILi512ELi4E25rocblas_finalize_identityffEviPT2_PT3_
; %bb.0:
	s_load_dword s12, s[4:5], 0x0
	s_load_dwordx4 s[0:3], s[4:5], 0x8
	v_lshlrev_b32_e32 v4, 2, v0
	s_mov_b32 s7, 0
	v_mov_b32_e32 v3, 0
	s_waitcnt lgkmcnt(0)
	s_ashr_i32 s8, s12, 31
	s_mul_i32 s5, s8, s6
	s_lshr_b32 s8, s8, 30
	s_add_i32 s8, s12, s8
	s_mul_hi_u32 s4, s12, s6
	s_and_b32 s13, s8, -4
	s_add_i32 s5, s4, s5
	s_mul_i32 s4, s12, s6
	v_cmp_gt_i32_e32 vcc, s13, v4
	s_and_saveexec_b64 s[8:9], vcc
	s_cbranch_execz .LBB222_4
; %bb.1:
	s_lshl_b64 s[10:11], s[4:5], 2
	s_add_u32 s10, s0, s10
	v_lshlrev_b32_e32 v1, 4, v0
	s_addc_u32 s11, s1, s11
	v_mov_b32_e32 v2, s11
	v_add_co_u32_e32 v1, vcc, s10, v1
	v_addc_co_u32_e32 v2, vcc, 0, v2, vcc
	v_add_co_u32_e32 v1, vcc, 8, v1
	v_mov_b32_e32 v3, 0
	v_addc_co_u32_e32 v2, vcc, 0, v2, vcc
	s_mov_b64 s[10:11], 0
.LBB222_2:                              ; =>This Inner Loop Header: Depth=1
	global_load_dwordx4 v[5:8], v[1:2], off offset:-8
	v_add_co_u32_e32 v1, vcc, 0x2000, v1
	v_add_u32_e32 v4, 0x800, v4
	v_addc_co_u32_e32 v2, vcc, 0, v2, vcc
	v_cmp_le_i32_e32 vcc, s13, v4
	s_or_b64 s[10:11], vcc, s[10:11]
	s_waitcnt vmcnt(0)
	v_add_f32_e32 v3, v3, v5
	v_add_f32_e32 v3, v3, v6
	;; [unrolled: 1-line block ×4, first 2 shown]
	s_andn2_b64 exec, exec, s[10:11]
	s_cbranch_execnz .LBB222_2
; %bb.3:
	s_or_b64 exec, exec, s[10:11]
.LBB222_4:
	s_or_b64 exec, exec, s[8:9]
	s_sub_i32 s8, s12, s13
	v_cmp_gt_u32_e32 vcc, s8, v0
	s_and_saveexec_b64 s[8:9], vcc
	s_cbranch_execz .LBB222_6
; %bb.5:
	s_lshl_b64 s[4:5], s[4:5], 2
	v_xad_u32 v1, v0, -1, s12
	v_mov_b32_e32 v2, 0
	s_add_u32 s0, s0, s4
	v_lshlrev_b64 v[1:2], 2, v[1:2]
	s_addc_u32 s1, s1, s5
	v_mov_b32_e32 v4, s1
	v_add_co_u32_e32 v1, vcc, s0, v1
	v_addc_co_u32_e32 v2, vcc, v4, v2, vcc
	global_load_dword v1, v[1:2], off
	s_waitcnt vmcnt(0)
	v_add_f32_e32 v3, v3, v1
.LBB222_6:
	s_or_b64 exec, exec, s[8:9]
	v_and_b32_e32 v2, 63, v0
	v_cmp_gt_u32_e32 vcc, 64, v0
	v_lshlrev_b32_e32 v1, 2, v2
	s_and_saveexec_b64 s[0:1], vcc
; %bb.7:
	v_mov_b32_e32 v4, 0
	ds_write_b32 v1, v4
; %bb.8:
	s_or_b64 exec, exec, s[0:1]
	v_mbcnt_lo_u32_b32 v4, -1, 0
	v_mbcnt_hi_u32_b32 v5, -1, v4
	v_mov_b32_e32 v4, 0x80
	v_lshl_or_b32 v4, v5, 2, v4
	ds_bpermute_b32 v4, v4, v3
	v_and_b32_e32 v6, 63, v5
	v_cmp_gt_u32_e64 s[0:1], 48, v6
	v_cndmask_b32_e64 v7, 0, 16, s[0:1]
	v_cmp_gt_u32_e64 s[0:1], 56, v6
	s_waitcnt lgkmcnt(0)
	v_add_f32_e32 v3, v3, v4
	v_add_lshl_u32 v4, v7, v5, 2
	ds_bpermute_b32 v4, v4, v3
	v_cndmask_b32_e64 v7, 0, 8, s[0:1]
	v_add_lshl_u32 v7, v7, v5, 2
	v_cmp_gt_u32_e64 s[0:1], 60, v6
	s_waitcnt lgkmcnt(0)
	v_add_f32_e32 v4, v3, v4
	ds_bpermute_b32 v7, v7, v4
	v_cndmask_b32_e64 v3, 0, 4, s[0:1]
	v_add_lshl_u32 v3, v3, v5, 2
	v_cmp_gt_u32_e64 s[0:1], 62, v6
	s_waitcnt lgkmcnt(0)
	s_barrier
	v_add_f32_e32 v7, v4, v7
	ds_bpermute_b32 v8, v3, v7
	v_cndmask_b32_e64 v4, 0, 2, s[0:1]
	v_add_lshl_u32 v4, v4, v5, 2
	v_cmp_ne_u32_e64 s[0:1], 63, v6
	v_addc_co_u32_e64 v5, s[0:1], 0, v5, s[0:1]
	s_waitcnt lgkmcnt(0)
	v_add_f32_e32 v7, v7, v8
	ds_bpermute_b32 v8, v4, v7
	v_lshlrev_b32_e32 v5, 2, v5
	v_cmp_eq_u32_e64 s[0:1], 0, v2
	s_waitcnt lgkmcnt(0)
	v_add_f32_e32 v6, v7, v8
	ds_bpermute_b32 v7, v5, v6
	s_and_saveexec_b64 s[4:5], s[0:1]
	s_cbranch_execz .LBB222_10
; %bb.9:
	s_waitcnt lgkmcnt(0)
	v_add_f32_e32 v2, v6, v7
	v_lshrrev_b32_e32 v6, 4, v0
	v_and_b32_e32 v6, 28, v6
	ds_write_b32 v6, v2
.LBB222_10:
	s_or_b64 exec, exec, s[4:5]
	v_cmp_gt_u32_e64 s[0:1], 8, v0
	v_mov_b32_e32 v2, 0
	s_waitcnt lgkmcnt(0)
	s_barrier
	s_and_saveexec_b64 s[4:5], s[0:1]
	s_cbranch_execnz .LBB222_14
; %bb.11:
	s_or_b64 exec, exec, s[4:5]
	s_and_saveexec_b64 s[0:1], vcc
	s_cbranch_execnz .LBB222_15
.LBB222_12:
	s_or_b64 exec, exec, s[0:1]
	v_cmp_eq_u32_e32 vcc, 0, v0
	s_and_saveexec_b64 s[0:1], vcc
	s_cbranch_execnz .LBB222_16
.LBB222_13:
	s_endpgm
.LBB222_14:
	ds_read_b32 v2, v1
	s_or_b64 exec, exec, s[4:5]
	s_and_saveexec_b64 s[0:1], vcc
	s_cbranch_execz .LBB222_12
.LBB222_15:
	s_waitcnt lgkmcnt(0)
	ds_bpermute_b32 v1, v3, v2
	s_waitcnt lgkmcnt(0)
	v_add_f32_e32 v1, v2, v1
	ds_bpermute_b32 v2, v4, v1
	s_waitcnt lgkmcnt(0)
	v_add_f32_e32 v1, v1, v2
	;; [unrolled: 3-line block ×3, first 2 shown]
	s_or_b64 exec, exec, s[0:1]
	v_cmp_eq_u32_e32 vcc, 0, v0
	s_and_saveexec_b64 s[0:1], vcc
	s_cbranch_execz .LBB222_13
.LBB222_16:
	s_lshl_b64 s[0:1], s[6:7], 2
	s_add_u32 s0, s2, s0
	s_addc_u32 s1, s3, s1
	v_mov_b32_e32 v0, 0
	s_waitcnt lgkmcnt(0)
	global_store_dword v0, v2, s[0:1]
	s_endpgm
	.section	.rodata,"a",@progbits
	.p2align	6, 0x0
	.amdhsa_kernel _ZL30rocblas_reduction_kernel_part2ILi512ELi4E25rocblas_finalize_identityffEviPT2_PT3_
		.amdhsa_group_segment_fixed_size 256
		.amdhsa_private_segment_fixed_size 0
		.amdhsa_kernarg_size 24
		.amdhsa_user_sgpr_count 6
		.amdhsa_user_sgpr_private_segment_buffer 1
		.amdhsa_user_sgpr_dispatch_ptr 0
		.amdhsa_user_sgpr_queue_ptr 0
		.amdhsa_user_sgpr_kernarg_segment_ptr 1
		.amdhsa_user_sgpr_dispatch_id 0
		.amdhsa_user_sgpr_flat_scratch_init 0
		.amdhsa_user_sgpr_private_segment_size 0
		.amdhsa_uses_dynamic_stack 0
		.amdhsa_system_sgpr_private_segment_wavefront_offset 0
		.amdhsa_system_sgpr_workgroup_id_x 1
		.amdhsa_system_sgpr_workgroup_id_y 0
		.amdhsa_system_sgpr_workgroup_id_z 0
		.amdhsa_system_sgpr_workgroup_info 0
		.amdhsa_system_vgpr_workitem_id 0
		.amdhsa_next_free_vgpr 9
		.amdhsa_next_free_sgpr 14
		.amdhsa_reserve_vcc 1
		.amdhsa_reserve_flat_scratch 0
		.amdhsa_float_round_mode_32 0
		.amdhsa_float_round_mode_16_64 0
		.amdhsa_float_denorm_mode_32 3
		.amdhsa_float_denorm_mode_16_64 3
		.amdhsa_dx10_clamp 1
		.amdhsa_ieee_mode 1
		.amdhsa_fp16_overflow 0
		.amdhsa_exception_fp_ieee_invalid_op 0
		.amdhsa_exception_fp_denorm_src 0
		.amdhsa_exception_fp_ieee_div_zero 0
		.amdhsa_exception_fp_ieee_overflow 0
		.amdhsa_exception_fp_ieee_underflow 0
		.amdhsa_exception_fp_ieee_inexact 0
		.amdhsa_exception_int_div_zero 0
	.end_amdhsa_kernel
	.section	.text._ZL30rocblas_reduction_kernel_part2ILi512ELi4E25rocblas_finalize_identityffEviPT2_PT3_,"axG",@progbits,_ZL30rocblas_reduction_kernel_part2ILi512ELi4E25rocblas_finalize_identityffEviPT2_PT3_,comdat
.Lfunc_end222:
	.size	_ZL30rocblas_reduction_kernel_part2ILi512ELi4E25rocblas_finalize_identityffEviPT2_PT3_, .Lfunc_end222-_ZL30rocblas_reduction_kernel_part2ILi512ELi4E25rocblas_finalize_identityffEviPT2_PT3_
                                        ; -- End function
	.set _ZL30rocblas_reduction_kernel_part2ILi512ELi4E25rocblas_finalize_identityffEviPT2_PT3_.num_vgpr, 9
	.set _ZL30rocblas_reduction_kernel_part2ILi512ELi4E25rocblas_finalize_identityffEviPT2_PT3_.num_agpr, 0
	.set _ZL30rocblas_reduction_kernel_part2ILi512ELi4E25rocblas_finalize_identityffEviPT2_PT3_.numbered_sgpr, 14
	.set _ZL30rocblas_reduction_kernel_part2ILi512ELi4E25rocblas_finalize_identityffEviPT2_PT3_.num_named_barrier, 0
	.set _ZL30rocblas_reduction_kernel_part2ILi512ELi4E25rocblas_finalize_identityffEviPT2_PT3_.private_seg_size, 0
	.set _ZL30rocblas_reduction_kernel_part2ILi512ELi4E25rocblas_finalize_identityffEviPT2_PT3_.uses_vcc, 1
	.set _ZL30rocblas_reduction_kernel_part2ILi512ELi4E25rocblas_finalize_identityffEviPT2_PT3_.uses_flat_scratch, 0
	.set _ZL30rocblas_reduction_kernel_part2ILi512ELi4E25rocblas_finalize_identityffEviPT2_PT3_.has_dyn_sized_stack, 0
	.set _ZL30rocblas_reduction_kernel_part2ILi512ELi4E25rocblas_finalize_identityffEviPT2_PT3_.has_recursion, 0
	.set _ZL30rocblas_reduction_kernel_part2ILi512ELi4E25rocblas_finalize_identityffEviPT2_PT3_.has_indirect_call, 0
	.section	.AMDGPU.csdata,"",@progbits
; Kernel info:
; codeLenInByte = 772
; TotalNumSgprs: 18
; NumVgprs: 9
; ScratchSize: 0
; MemoryBound: 0
; FloatMode: 240
; IeeeMode: 1
; LDSByteSize: 256 bytes/workgroup (compile time only)
; SGPRBlocks: 2
; VGPRBlocks: 2
; NumSGPRsForWavesPerEU: 18
; NumVGPRsForWavesPerEU: 9
; Occupancy: 10
; WaveLimiterHint : 0
; COMPUTE_PGM_RSRC2:SCRATCH_EN: 0
; COMPUTE_PGM_RSRC2:USER_SGPR: 6
; COMPUTE_PGM_RSRC2:TRAP_HANDLER: 0
; COMPUTE_PGM_RSRC2:TGID_X_EN: 1
; COMPUTE_PGM_RSRC2:TGID_Y_EN: 0
; COMPUTE_PGM_RSRC2:TGID_Z_EN: 0
; COMPUTE_PGM_RSRC2:TIDIG_COMP_CNT: 0
	.section	.text._ZL28rocblas_dot_batched_4_kernelIiLi32ELi4ELb1EffPKPKfEviT5_lT_lS4_lS5_liPT4_,"axG",@progbits,_ZL28rocblas_dot_batched_4_kernelIiLi32ELi4ELb1EffPKPKfEviT5_lT_lS4_lS5_liPT4_,comdat
	.globl	_ZL28rocblas_dot_batched_4_kernelIiLi32ELi4ELb1EffPKPKfEviT5_lT_lS4_lS5_liPT4_ ; -- Begin function _ZL28rocblas_dot_batched_4_kernelIiLi32ELi4ELb1EffPKPKfEviT5_lT_lS4_lS5_liPT4_
	.p2align	8
	.type	_ZL28rocblas_dot_batched_4_kernelIiLi32ELi4ELb1EffPKPKfEviT5_lT_lS4_lS5_liPT4_,@function
_ZL28rocblas_dot_batched_4_kernelIiLi32ELi4ELb1EffPKPKfEviT5_lT_lS4_lS5_liPT4_: ; @_ZL28rocblas_dot_batched_4_kernelIiLi32ELi4ELb1EffPKPKfEviT5_lT_lS4_lS5_liPT4_
; %bb.0:
	s_load_dword s0, s[4:5], 0x48
	v_lshl_add_u32 v1, s6, 2, v1
	s_waitcnt lgkmcnt(0)
	v_cmp_gt_u32_e32 vcc, s0, v1
	s_and_saveexec_b64 s[0:1], vcc
	s_cbranch_execz .LBB223_7
; %bb.1:
	s_load_dword s14, s[4:5], 0x0
	s_load_dwordx2 s[6:7], s[4:5], 0x50
	v_mov_b32_e32 v2, 0
	v_mov_b32_e32 v7, v2
	s_waitcnt lgkmcnt(0)
	v_cmp_gt_i32_e32 vcc, s14, v0
	s_and_saveexec_b64 s[12:13], vcc
	s_cbranch_execz .LBB223_5
; %bb.2:
	s_load_dwordx4 s[0:3], s[4:5], 0x8
	s_load_dwordx4 s[8:11], s[4:5], 0x28
	v_lshlrev_b64 v[3:4], 3, v[1:2]
	s_load_dword s16, s[4:5], 0x18
	s_waitcnt lgkmcnt(0)
	v_mov_b32_e32 v6, s1
	v_add_co_u32_e32 v5, vcc, s0, v3
	v_addc_co_u32_e32 v6, vcc, v6, v4, vcc
	global_load_dwordx2 v[5:6], v[5:6], off
	v_mov_b32_e32 v7, s9
	v_add_co_u32_e32 v3, vcc, s8, v3
	v_addc_co_u32_e32 v4, vcc, v7, v4, vcc
	global_load_dwordx2 v[10:11], v[3:4], off
	s_load_dword s4, s[4:5], 0x38
	v_mad_i64_i32 v[3:4], s[8:9], s16, v0, 0
	s_lshl_b64 s[8:9], s[2:3], 2
	v_mov_b32_e32 v14, s9
	s_waitcnt lgkmcnt(0)
	v_mad_i64_i32 v[12:13], s[2:3], s4, v0, 0
	v_lshlrev_b64 v[3:4], 2, v[3:4]
	s_lshl_b64 s[10:11], s[10:11], 2
	v_lshlrev_b64 v[12:13], 2, v[12:13]
	v_add_co_u32_e32 v3, vcc, s8, v3
	v_addc_co_u32_e32 v4, vcc, v4, v14, vcc
	v_mov_b32_e32 v15, s11
	v_add_co_u32_e32 v12, vcc, s10, v12
	v_addc_co_u32_e32 v13, vcc, v13, v15, vcc
	s_ashr_i32 s17, s16, 31
	s_ashr_i32 s5, s4, 31
	s_lshl_b64 s[2:3], s[16:17], 7
	s_lshl_b64 s[4:5], s[4:5], 7
	v_mov_b32_e32 v7, 0
	s_mov_b64 s[0:1], 0
	v_mov_b32_e32 v8, s3
	v_mov_b32_e32 v9, s5
	s_waitcnt vmcnt(1)
	v_add_co_u32_e32 v3, vcc, v5, v3
	v_addc_co_u32_e32 v4, vcc, v6, v4, vcc
	s_waitcnt vmcnt(0)
	v_add_co_u32_e32 v5, vcc, v10, v12
	v_addc_co_u32_e32 v6, vcc, v11, v13, vcc
	v_mov_b32_e32 v10, v0
.LBB223_3:                              ; =>This Inner Loop Header: Depth=1
	flat_load_dword v11, v[3:4]
	flat_load_dword v12, v[5:6]
	v_add_co_u32_e32 v3, vcc, s2, v3
	v_addc_co_u32_e32 v4, vcc, v4, v8, vcc
	v_add_co_u32_e32 v5, vcc, s4, v5
	v_add_u32_e32 v10, 32, v10
	v_addc_co_u32_e32 v6, vcc, v6, v9, vcc
	v_cmp_le_i32_e32 vcc, s14, v10
	s_or_b64 s[0:1], vcc, s[0:1]
	s_waitcnt vmcnt(0) lgkmcnt(0)
	v_fmac_f32_e32 v7, v11, v12
	s_andn2_b64 exec, exec, s[0:1]
	s_cbranch_execnz .LBB223_3
; %bb.4:
	s_or_b64 exec, exec, s[0:1]
.LBB223_5:
	s_or_b64 exec, exec, s[12:13]
	v_mbcnt_lo_u32_b32 v3, -1, 0
	v_mbcnt_hi_u32_b32 v3, -1, v3
	v_and_b32_e32 v4, 63, v3
	v_cmp_gt_u32_e32 vcc, 48, v4
	v_cndmask_b32_e64 v5, 0, 16, vcc
	v_add_lshl_u32 v5, v5, v3, 2
	ds_bpermute_b32 v5, v5, v7
	v_cmp_gt_u32_e32 vcc, 56, v4
	v_cndmask_b32_e64 v6, 0, 8, vcc
	v_add_lshl_u32 v6, v6, v3, 2
	v_cmp_gt_u32_e32 vcc, 60, v4
	s_waitcnt lgkmcnt(0)
	v_add_f32_e32 v5, v7, v5
	ds_bpermute_b32 v6, v6, v5
	v_cndmask_b32_e64 v7, 0, 4, vcc
	v_add_lshl_u32 v7, v7, v3, 2
	v_cmp_gt_u32_e32 vcc, 62, v4
	s_waitcnt lgkmcnt(0)
	v_add_f32_e32 v5, v5, v6
	ds_bpermute_b32 v6, v7, v5
	v_cndmask_b32_e64 v7, 0, 2, vcc
	v_add_lshl_u32 v7, v7, v3, 2
	v_cmp_ne_u32_e32 vcc, 63, v4
	v_addc_co_u32_e32 v4, vcc, 0, v3, vcc
	s_waitcnt lgkmcnt(0)
	v_add_f32_e32 v5, v5, v6
	ds_bpermute_b32 v6, v7, v5
	v_lshlrev_b32_e32 v4, 2, v4
	v_cmp_eq_u32_e32 vcc, 0, v0
	s_waitcnt lgkmcnt(0)
	s_barrier
	v_add_f32_e32 v3, v5, v6
	ds_bpermute_b32 v4, v4, v3
	s_and_b64 exec, exec, vcc
	s_cbranch_execz .LBB223_7
; %bb.6:
	v_lshlrev_b64 v[0:1], 2, v[1:2]
	v_mov_b32_e32 v2, s7
	v_add_co_u32_e32 v0, vcc, s6, v0
	v_addc_co_u32_e32 v1, vcc, v2, v1, vcc
	s_waitcnt lgkmcnt(0)
	v_add_f32_e32 v2, v3, v4
	global_store_dword v[0:1], v2, off
.LBB223_7:
	s_endpgm
	.section	.rodata,"a",@progbits
	.p2align	6, 0x0
	.amdhsa_kernel _ZL28rocblas_dot_batched_4_kernelIiLi32ELi4ELb1EffPKPKfEviT5_lT_lS4_lS5_liPT4_
		.amdhsa_group_segment_fixed_size 0
		.amdhsa_private_segment_fixed_size 0
		.amdhsa_kernarg_size 88
		.amdhsa_user_sgpr_count 6
		.amdhsa_user_sgpr_private_segment_buffer 1
		.amdhsa_user_sgpr_dispatch_ptr 0
		.amdhsa_user_sgpr_queue_ptr 0
		.amdhsa_user_sgpr_kernarg_segment_ptr 1
		.amdhsa_user_sgpr_dispatch_id 0
		.amdhsa_user_sgpr_flat_scratch_init 0
		.amdhsa_user_sgpr_private_segment_size 0
		.amdhsa_uses_dynamic_stack 0
		.amdhsa_system_sgpr_private_segment_wavefront_offset 0
		.amdhsa_system_sgpr_workgroup_id_x 1
		.amdhsa_system_sgpr_workgroup_id_y 0
		.amdhsa_system_sgpr_workgroup_id_z 0
		.amdhsa_system_sgpr_workgroup_info 0
		.amdhsa_system_vgpr_workitem_id 1
		.amdhsa_next_free_vgpr 16
		.amdhsa_next_free_sgpr 18
		.amdhsa_reserve_vcc 1
		.amdhsa_reserve_flat_scratch 0
		.amdhsa_float_round_mode_32 0
		.amdhsa_float_round_mode_16_64 0
		.amdhsa_float_denorm_mode_32 3
		.amdhsa_float_denorm_mode_16_64 3
		.amdhsa_dx10_clamp 1
		.amdhsa_ieee_mode 1
		.amdhsa_fp16_overflow 0
		.amdhsa_exception_fp_ieee_invalid_op 0
		.amdhsa_exception_fp_denorm_src 0
		.amdhsa_exception_fp_ieee_div_zero 0
		.amdhsa_exception_fp_ieee_overflow 0
		.amdhsa_exception_fp_ieee_underflow 0
		.amdhsa_exception_fp_ieee_inexact 0
		.amdhsa_exception_int_div_zero 0
	.end_amdhsa_kernel
	.section	.text._ZL28rocblas_dot_batched_4_kernelIiLi32ELi4ELb1EffPKPKfEviT5_lT_lS4_lS5_liPT4_,"axG",@progbits,_ZL28rocblas_dot_batched_4_kernelIiLi32ELi4ELb1EffPKPKfEviT5_lT_lS4_lS5_liPT4_,comdat
.Lfunc_end223:
	.size	_ZL28rocblas_dot_batched_4_kernelIiLi32ELi4ELb1EffPKPKfEviT5_lT_lS4_lS5_liPT4_, .Lfunc_end223-_ZL28rocblas_dot_batched_4_kernelIiLi32ELi4ELb1EffPKPKfEviT5_lT_lS4_lS5_liPT4_
                                        ; -- End function
	.set _ZL28rocblas_dot_batched_4_kernelIiLi32ELi4ELb1EffPKPKfEviT5_lT_lS4_lS5_liPT4_.num_vgpr, 16
	.set _ZL28rocblas_dot_batched_4_kernelIiLi32ELi4ELb1EffPKPKfEviT5_lT_lS4_lS5_liPT4_.num_agpr, 0
	.set _ZL28rocblas_dot_batched_4_kernelIiLi32ELi4ELb1EffPKPKfEviT5_lT_lS4_lS5_liPT4_.numbered_sgpr, 18
	.set _ZL28rocblas_dot_batched_4_kernelIiLi32ELi4ELb1EffPKPKfEviT5_lT_lS4_lS5_liPT4_.num_named_barrier, 0
	.set _ZL28rocblas_dot_batched_4_kernelIiLi32ELi4ELb1EffPKPKfEviT5_lT_lS4_lS5_liPT4_.private_seg_size, 0
	.set _ZL28rocblas_dot_batched_4_kernelIiLi32ELi4ELb1EffPKPKfEviT5_lT_lS4_lS5_liPT4_.uses_vcc, 1
	.set _ZL28rocblas_dot_batched_4_kernelIiLi32ELi4ELb1EffPKPKfEviT5_lT_lS4_lS5_liPT4_.uses_flat_scratch, 0
	.set _ZL28rocblas_dot_batched_4_kernelIiLi32ELi4ELb1EffPKPKfEviT5_lT_lS4_lS5_liPT4_.has_dyn_sized_stack, 0
	.set _ZL28rocblas_dot_batched_4_kernelIiLi32ELi4ELb1EffPKPKfEviT5_lT_lS4_lS5_liPT4_.has_recursion, 0
	.set _ZL28rocblas_dot_batched_4_kernelIiLi32ELi4ELb1EffPKPKfEviT5_lT_lS4_lS5_liPT4_.has_indirect_call, 0
	.section	.AMDGPU.csdata,"",@progbits
; Kernel info:
; codeLenInByte = 592
; TotalNumSgprs: 22
; NumVgprs: 16
; ScratchSize: 0
; MemoryBound: 0
; FloatMode: 240
; IeeeMode: 1
; LDSByteSize: 0 bytes/workgroup (compile time only)
; SGPRBlocks: 2
; VGPRBlocks: 3
; NumSGPRsForWavesPerEU: 22
; NumVGPRsForWavesPerEU: 16
; Occupancy: 10
; WaveLimiterHint : 0
; COMPUTE_PGM_RSRC2:SCRATCH_EN: 0
; COMPUTE_PGM_RSRC2:USER_SGPR: 6
; COMPUTE_PGM_RSRC2:TRAP_HANDLER: 0
; COMPUTE_PGM_RSRC2:TGID_X_EN: 1
; COMPUTE_PGM_RSRC2:TGID_Y_EN: 0
; COMPUTE_PGM_RSRC2:TGID_Z_EN: 0
; COMPUTE_PGM_RSRC2:TIDIG_COMP_CNT: 1
	.section	.text._ZL28rocblas_dot_batched_4_kernelIiLi64ELi4ELb1EffPKPKfEviT5_lT_lS4_lS5_liPT4_,"axG",@progbits,_ZL28rocblas_dot_batched_4_kernelIiLi64ELi4ELb1EffPKPKfEviT5_lT_lS4_lS5_liPT4_,comdat
	.globl	_ZL28rocblas_dot_batched_4_kernelIiLi64ELi4ELb1EffPKPKfEviT5_lT_lS4_lS5_liPT4_ ; -- Begin function _ZL28rocblas_dot_batched_4_kernelIiLi64ELi4ELb1EffPKPKfEviT5_lT_lS4_lS5_liPT4_
	.p2align	8
	.type	_ZL28rocblas_dot_batched_4_kernelIiLi64ELi4ELb1EffPKPKfEviT5_lT_lS4_lS5_liPT4_,@function
_ZL28rocblas_dot_batched_4_kernelIiLi64ELi4ELb1EffPKPKfEviT5_lT_lS4_lS5_liPT4_: ; @_ZL28rocblas_dot_batched_4_kernelIiLi64ELi4ELb1EffPKPKfEviT5_lT_lS4_lS5_liPT4_
; %bb.0:
	s_load_dword s0, s[4:5], 0x48
	v_lshl_add_u32 v1, s6, 2, v1
	s_waitcnt lgkmcnt(0)
	v_cmp_gt_u32_e32 vcc, s0, v1
	s_and_saveexec_b64 s[0:1], vcc
	s_cbranch_execz .LBB224_7
; %bb.1:
	s_load_dword s14, s[4:5], 0x0
	s_load_dwordx2 s[6:7], s[4:5], 0x50
	v_mov_b32_e32 v2, 0
	v_mov_b32_e32 v7, v2
	s_waitcnt lgkmcnt(0)
	v_cmp_gt_i32_e32 vcc, s14, v0
	s_and_saveexec_b64 s[12:13], vcc
	s_cbranch_execz .LBB224_5
; %bb.2:
	s_load_dwordx4 s[0:3], s[4:5], 0x8
	s_load_dwordx4 s[8:11], s[4:5], 0x28
	v_lshlrev_b64 v[3:4], 3, v[1:2]
	s_load_dword s16, s[4:5], 0x18
	s_waitcnt lgkmcnt(0)
	v_mov_b32_e32 v6, s1
	v_add_co_u32_e32 v5, vcc, s0, v3
	v_addc_co_u32_e32 v6, vcc, v6, v4, vcc
	global_load_dwordx2 v[5:6], v[5:6], off
	v_mov_b32_e32 v7, s9
	v_add_co_u32_e32 v3, vcc, s8, v3
	v_addc_co_u32_e32 v4, vcc, v7, v4, vcc
	global_load_dwordx2 v[8:9], v[3:4], off
	s_load_dword s0, s[4:5], 0x38
	v_mad_i64_i32 v[3:4], s[8:9], s16, v0, 0
	s_lshl_b64 s[18:19], s[2:3], 2
	v_mov_b32_e32 v12, s19
	s_waitcnt lgkmcnt(0)
	v_mad_i64_i32 v[10:11], s[2:3], s0, v0, 0
	v_lshlrev_b64 v[3:4], 2, v[3:4]
	s_lshl_b64 s[10:11], s[10:11], 2
	v_lshlrev_b64 v[10:11], 2, v[10:11]
	v_add_co_u32_e32 v3, vcc, s18, v3
	v_addc_co_u32_e32 v4, vcc, v4, v12, vcc
	v_mov_b32_e32 v13, s11
	v_add_co_u32_e32 v10, vcc, s10, v10
	v_addc_co_u32_e32 v11, vcc, v11, v13, vcc
	s_ashr_i32 s17, s16, 31
	s_ashr_i32 s1, s0, 31
	v_mov_b32_e32 v7, 0
	s_mov_b64 s[4:5], 0
	s_lshl_b64 s[2:3], s[16:17], 8
	s_lshl_b64 s[8:9], s[0:1], 8
	s_waitcnt vmcnt(1)
	v_add_co_u32_e32 v3, vcc, v5, v3
	v_addc_co_u32_e32 v4, vcc, v6, v4, vcc
	s_waitcnt vmcnt(0)
	v_add_co_u32_e32 v5, vcc, v8, v10
	v_addc_co_u32_e32 v6, vcc, v9, v11, vcc
	v_mov_b32_e32 v8, v0
.LBB224_3:                              ; =>This Inner Loop Header: Depth=1
	flat_load_dword v9, v[3:4]
	flat_load_dword v10, v[5:6]
	v_mov_b32_e32 v12, s9
	v_add_co_u32_e32 v5, vcc, s8, v5
	v_add_u32_e32 v8, 64, v8
	v_addc_co_u32_e32 v6, vcc, v6, v12, vcc
	v_mov_b32_e32 v11, s3
	v_add_co_u32_e64 v3, s[0:1], s2, v3
	v_cmp_le_i32_e32 vcc, s14, v8
	v_addc_co_u32_e64 v4, s[0:1], v4, v11, s[0:1]
	s_or_b64 s[4:5], vcc, s[4:5]
	s_waitcnt vmcnt(0) lgkmcnt(0)
	v_fmac_f32_e32 v7, v9, v10
	s_andn2_b64 exec, exec, s[4:5]
	s_cbranch_execnz .LBB224_3
; %bb.4:
	s_or_b64 exec, exec, s[4:5]
.LBB224_5:
	s_or_b64 exec, exec, s[12:13]
	v_mbcnt_lo_u32_b32 v3, -1, 0
	v_mbcnt_hi_u32_b32 v3, -1, v3
	v_mov_b32_e32 v4, 0x80
	v_lshl_or_b32 v4, v3, 2, v4
	ds_bpermute_b32 v4, v4, v7
	v_and_b32_e32 v5, 63, v3
	v_cmp_gt_u32_e32 vcc, 48, v5
	v_cndmask_b32_e64 v6, 0, 16, vcc
	v_add_lshl_u32 v6, v6, v3, 2
	s_waitcnt lgkmcnt(0)
	v_add_f32_e32 v4, v7, v4
	ds_bpermute_b32 v6, v6, v4
	v_cmp_gt_u32_e32 vcc, 56, v5
	v_cndmask_b32_e64 v7, 0, 8, vcc
	v_add_lshl_u32 v7, v7, v3, 2
	v_cmp_gt_u32_e32 vcc, 60, v5
	s_waitcnt lgkmcnt(0)
	v_add_f32_e32 v4, v4, v6
	ds_bpermute_b32 v6, v7, v4
	v_cndmask_b32_e64 v7, 0, 4, vcc
	v_add_lshl_u32 v7, v7, v3, 2
	v_cmp_gt_u32_e32 vcc, 62, v5
	s_waitcnt lgkmcnt(0)
	v_add_f32_e32 v4, v4, v6
	ds_bpermute_b32 v6, v7, v4
	v_cndmask_b32_e64 v7, 0, 2, vcc
	v_add_lshl_u32 v7, v7, v3, 2
	v_cmp_ne_u32_e32 vcc, 63, v5
	v_addc_co_u32_e32 v5, vcc, 0, v3, vcc
	s_waitcnt lgkmcnt(0)
	v_add_f32_e32 v4, v4, v6
	ds_bpermute_b32 v6, v7, v4
	v_cmp_eq_u32_e32 vcc, 0, v0
	s_waitcnt lgkmcnt(0)
	s_barrier
	v_add_f32_e32 v3, v4, v6
	v_lshlrev_b32_e32 v4, 2, v5
	ds_bpermute_b32 v4, v4, v3
	s_and_b64 exec, exec, vcc
	s_cbranch_execz .LBB224_7
; %bb.6:
	v_lshlrev_b64 v[0:1], 2, v[1:2]
	v_mov_b32_e32 v2, s7
	v_add_co_u32_e32 v0, vcc, s6, v0
	v_addc_co_u32_e32 v1, vcc, v2, v1, vcc
	s_waitcnt lgkmcnt(0)
	v_add_f32_e32 v2, v3, v4
	global_store_dword v[0:1], v2, off
.LBB224_7:
	s_endpgm
	.section	.rodata,"a",@progbits
	.p2align	6, 0x0
	.amdhsa_kernel _ZL28rocblas_dot_batched_4_kernelIiLi64ELi4ELb1EffPKPKfEviT5_lT_lS4_lS5_liPT4_
		.amdhsa_group_segment_fixed_size 0
		.amdhsa_private_segment_fixed_size 0
		.amdhsa_kernarg_size 88
		.amdhsa_user_sgpr_count 6
		.amdhsa_user_sgpr_private_segment_buffer 1
		.amdhsa_user_sgpr_dispatch_ptr 0
		.amdhsa_user_sgpr_queue_ptr 0
		.amdhsa_user_sgpr_kernarg_segment_ptr 1
		.amdhsa_user_sgpr_dispatch_id 0
		.amdhsa_user_sgpr_flat_scratch_init 0
		.amdhsa_user_sgpr_private_segment_size 0
		.amdhsa_uses_dynamic_stack 0
		.amdhsa_system_sgpr_private_segment_wavefront_offset 0
		.amdhsa_system_sgpr_workgroup_id_x 1
		.amdhsa_system_sgpr_workgroup_id_y 0
		.amdhsa_system_sgpr_workgroup_id_z 0
		.amdhsa_system_sgpr_workgroup_info 0
		.amdhsa_system_vgpr_workitem_id 1
		.amdhsa_next_free_vgpr 14
		.amdhsa_next_free_sgpr 20
		.amdhsa_reserve_vcc 1
		.amdhsa_reserve_flat_scratch 0
		.amdhsa_float_round_mode_32 0
		.amdhsa_float_round_mode_16_64 0
		.amdhsa_float_denorm_mode_32 3
		.amdhsa_float_denorm_mode_16_64 3
		.amdhsa_dx10_clamp 1
		.amdhsa_ieee_mode 1
		.amdhsa_fp16_overflow 0
		.amdhsa_exception_fp_ieee_invalid_op 0
		.amdhsa_exception_fp_denorm_src 0
		.amdhsa_exception_fp_ieee_div_zero 0
		.amdhsa_exception_fp_ieee_overflow 0
		.amdhsa_exception_fp_ieee_underflow 0
		.amdhsa_exception_fp_ieee_inexact 0
		.amdhsa_exception_int_div_zero 0
	.end_amdhsa_kernel
	.section	.text._ZL28rocblas_dot_batched_4_kernelIiLi64ELi4ELb1EffPKPKfEviT5_lT_lS4_lS5_liPT4_,"axG",@progbits,_ZL28rocblas_dot_batched_4_kernelIiLi64ELi4ELb1EffPKPKfEviT5_lT_lS4_lS5_liPT4_,comdat
.Lfunc_end224:
	.size	_ZL28rocblas_dot_batched_4_kernelIiLi64ELi4ELb1EffPKPKfEviT5_lT_lS4_lS5_liPT4_, .Lfunc_end224-_ZL28rocblas_dot_batched_4_kernelIiLi64ELi4ELb1EffPKPKfEviT5_lT_lS4_lS5_liPT4_
                                        ; -- End function
	.set _ZL28rocblas_dot_batched_4_kernelIiLi64ELi4ELb1EffPKPKfEviT5_lT_lS4_lS5_liPT4_.num_vgpr, 14
	.set _ZL28rocblas_dot_batched_4_kernelIiLi64ELi4ELb1EffPKPKfEviT5_lT_lS4_lS5_liPT4_.num_agpr, 0
	.set _ZL28rocblas_dot_batched_4_kernelIiLi64ELi4ELb1EffPKPKfEviT5_lT_lS4_lS5_liPT4_.numbered_sgpr, 20
	.set _ZL28rocblas_dot_batched_4_kernelIiLi64ELi4ELb1EffPKPKfEviT5_lT_lS4_lS5_liPT4_.num_named_barrier, 0
	.set _ZL28rocblas_dot_batched_4_kernelIiLi64ELi4ELb1EffPKPKfEviT5_lT_lS4_lS5_liPT4_.private_seg_size, 0
	.set _ZL28rocblas_dot_batched_4_kernelIiLi64ELi4ELb1EffPKPKfEviT5_lT_lS4_lS5_liPT4_.uses_vcc, 1
	.set _ZL28rocblas_dot_batched_4_kernelIiLi64ELi4ELb1EffPKPKfEviT5_lT_lS4_lS5_liPT4_.uses_flat_scratch, 0
	.set _ZL28rocblas_dot_batched_4_kernelIiLi64ELi4ELb1EffPKPKfEviT5_lT_lS4_lS5_liPT4_.has_dyn_sized_stack, 0
	.set _ZL28rocblas_dot_batched_4_kernelIiLi64ELi4ELb1EffPKPKfEviT5_lT_lS4_lS5_liPT4_.has_recursion, 0
	.set _ZL28rocblas_dot_batched_4_kernelIiLi64ELi4ELb1EffPKPKfEviT5_lT_lS4_lS5_liPT4_.has_indirect_call, 0
	.section	.AMDGPU.csdata,"",@progbits
; Kernel info:
; codeLenInByte = 632
; TotalNumSgprs: 24
; NumVgprs: 14
; ScratchSize: 0
; MemoryBound: 0
; FloatMode: 240
; IeeeMode: 1
; LDSByteSize: 0 bytes/workgroup (compile time only)
; SGPRBlocks: 2
; VGPRBlocks: 3
; NumSGPRsForWavesPerEU: 24
; NumVGPRsForWavesPerEU: 14
; Occupancy: 10
; WaveLimiterHint : 0
; COMPUTE_PGM_RSRC2:SCRATCH_EN: 0
; COMPUTE_PGM_RSRC2:USER_SGPR: 6
; COMPUTE_PGM_RSRC2:TRAP_HANDLER: 0
; COMPUTE_PGM_RSRC2:TGID_X_EN: 1
; COMPUTE_PGM_RSRC2:TGID_Y_EN: 0
; COMPUTE_PGM_RSRC2:TGID_Z_EN: 0
; COMPUTE_PGM_RSRC2:TIDIG_COMP_CNT: 1
	.section	.text._ZL26rocblas_dot_kernel_inc1by2ILb1ELi1024ELi32ELb1EfPKPKffEviT4_llS4_lliPT5_PT3_,"axG",@progbits,_ZL26rocblas_dot_kernel_inc1by2ILb1ELi1024ELi32ELb1EfPKPKffEviT4_llS4_lliPT5_PT3_,comdat
	.globl	_ZL26rocblas_dot_kernel_inc1by2ILb1ELi1024ELi32ELb1EfPKPKffEviT4_llS4_lliPT5_PT3_ ; -- Begin function _ZL26rocblas_dot_kernel_inc1by2ILb1ELi1024ELi32ELb1EfPKPKffEviT4_llS4_lliPT5_PT3_
	.p2align	8
	.type	_ZL26rocblas_dot_kernel_inc1by2ILb1ELi1024ELi32ELb1EfPKPKffEviT4_llS4_lliPT5_PT3_,@function
_ZL26rocblas_dot_kernel_inc1by2ILb1ELi1024ELi32ELb1EfPKPKffEviT4_llS4_lliPT5_PT3_: ; @_ZL26rocblas_dot_kernel_inc1by2ILb1ELi1024ELi32ELb1EfPKPKffEviT4_llS4_lliPT5_PT3_
; %bb.0:
	s_load_dword s20, s[4:5], 0x0
	s_load_dwordx4 s[0:3], s[4:5], 0x8
	s_load_dwordx2 s[12:13], s[4:5], 0x48
	s_load_dwordx4 s[8:11], s[4:5], 0x20
	s_mov_b32 s6, s7
	s_mov_b32 s7, 0
	s_lshl_b64 s[14:15], s[6:7], 3
	s_waitcnt lgkmcnt(0)
	s_add_u32 s0, s0, s14
	s_addc_u32 s1, s1, s15
	s_load_dwordx2 s[4:5], s[0:1], 0x0
	s_add_u32 s0, s8, s14
	s_addc_u32 s1, s9, s15
	s_load_dwordx2 s[14:15], s[0:1], 0x0
	v_lshlrev_b32_e32 v6, 1, v0
	s_add_i32 s8, s20, -1
	v_cmp_gt_i32_e32 vcc, s8, v6
	v_mov_b32_e32 v5, 0
	s_and_saveexec_b64 s[16:17], vcc
	s_cbranch_execz .LBB225_4
; %bb.1:
	s_lshl_b64 s[0:1], s[10:11], 2
	s_waitcnt lgkmcnt(0)
	s_add_u32 s0, s14, s0
	v_lshlrev_b32_e32 v3, 3, v0
	s_addc_u32 s1, s15, s1
	v_mov_b32_e32 v2, s1
	v_add_co_u32_e32 v1, vcc, s0, v3
	s_lshl_b64 s[0:1], s[2:3], 2
	s_add_u32 s0, s4, s0
	v_addc_co_u32_e32 v2, vcc, 0, v2, vcc
	s_addc_u32 s1, s5, s1
	v_mov_b32_e32 v4, s1
	v_add_co_u32_e32 v3, vcc, s0, v3
	v_mov_b32_e32 v5, 0
	v_addc_co_u32_e32 v4, vcc, 0, v4, vcc
	s_mov_b64 s[18:19], 0
	s_mov_b32 s9, s7
.LBB225_2:                              ; =>This Inner Loop Header: Depth=1
	flat_load_dwordx2 v[7:8], v[1:2]
	flat_load_dwordx2 v[9:10], v[3:4]
	s_add_i32 s21, s9, 1
	v_add_u32_e32 v6, 0x800, v6
	s_cmp_gt_u32 s9, 30
	v_add_co_u32_e32 v1, vcc, 0x2000, v1
	v_cmp_le_i32_e64 s[0:1], s8, v6
	s_cselect_b64 s[22:23], -1, 0
	v_addc_co_u32_e32 v2, vcc, 0, v2, vcc
	s_or_b64 s[0:1], s[22:23], s[0:1]
	v_add_co_u32_e32 v3, vcc, 0x2000, v3
	s_and_b64 s[0:1], exec, s[0:1]
	s_mov_b32 s9, s21
	v_addc_co_u32_e32 v4, vcc, 0, v4, vcc
	s_or_b64 s[18:19], s[0:1], s[18:19]
	s_waitcnt vmcnt(0) lgkmcnt(0)
	v_fmac_f32_e32 v5, v7, v9
	v_fmac_f32_e32 v5, v8, v10
	s_andn2_b64 exec, exec, s[18:19]
	s_cbranch_execnz .LBB225_2
; %bb.3:
	s_or_b64 exec, exec, s[18:19]
.LBB225_4:
	s_or_b64 exec, exec, s[16:17]
	s_bitcmp1_b32 s20, 0
	s_cselect_b64 s[0:1], -1, 0
	v_cmp_eq_u32_e32 vcc, s8, v6
	s_and_b64 s[16:17], s[0:1], vcc
	s_and_saveexec_b64 s[0:1], s[16:17]
	s_cbranch_execz .LBB225_6
; %bb.5:
	s_lshl_b64 s[2:3], s[2:3], 2
	s_waitcnt lgkmcnt(0)
	s_add_u32 s4, s4, s2
	s_addc_u32 s5, s5, s3
	s_lshl_b64 s[2:3], s[10:11], 2
	s_add_u32 s10, s14, s2
	s_mov_b32 s9, 0
	s_addc_u32 s11, s15, s3
	s_lshl_b64 s[2:3], s[8:9], 2
	s_add_u32 s4, s4, s2
	s_addc_u32 s5, s5, s3
	s_add_u32 s2, s10, s2
	s_addc_u32 s3, s11, s3
	v_mov_b32_e32 v1, s2
	v_mov_b32_e32 v2, s3
	flat_load_dword v3, v[1:2]
	v_mov_b32_e32 v1, s4
	v_mov_b32_e32 v2, s5
	flat_load_dword v1, v[1:2]
	s_waitcnt vmcnt(0) lgkmcnt(0)
	v_fmac_f32_e32 v5, v3, v1
.LBB225_6:
	s_or_b64 exec, exec, s[0:1]
	v_and_b32_e32 v4, 63, v0
	v_cmp_gt_u32_e32 vcc, 64, v0
	v_lshlrev_b32_e32 v1, 2, v4
	s_and_saveexec_b64 s[0:1], vcc
; %bb.7:
	v_mov_b32_e32 v2, 0
	ds_write_b32 v1, v2
; %bb.8:
	s_or_b64 exec, exec, s[0:1]
	v_mbcnt_lo_u32_b32 v2, -1, 0
	v_mbcnt_hi_u32_b32 v6, -1, v2
	v_mov_b32_e32 v2, 0x80
	v_lshl_or_b32 v2, v6, 2, v2
	ds_bpermute_b32 v2, v2, v5
	v_and_b32_e32 v7, 63, v6
	v_cmp_gt_u32_e64 s[0:1], 48, v7
	v_cndmask_b32_e64 v3, 0, 16, s[0:1]
	v_cmp_gt_u32_e64 s[0:1], 56, v7
	s_waitcnt lgkmcnt(0)
	v_add_f32_e32 v5, v5, v2
	v_add_lshl_u32 v2, v3, v6, 2
	ds_bpermute_b32 v3, v2, v5
	v_cndmask_b32_e64 v2, 0, 8, s[0:1]
	v_add_lshl_u32 v2, v2, v6, 2
	v_cmp_gt_u32_e64 s[0:1], 60, v7
	s_waitcnt lgkmcnt(0)
	v_add_f32_e32 v5, v5, v3
	ds_bpermute_b32 v8, v2, v5
	v_cndmask_b32_e64 v3, 0, 4, s[0:1]
	v_add_lshl_u32 v3, v3, v6, 2
	v_cmp_gt_u32_e64 s[0:1], 62, v7
	s_waitcnt lgkmcnt(0)
	s_barrier
	v_add_f32_e32 v8, v5, v8
	ds_bpermute_b32 v9, v3, v8
	v_cndmask_b32_e64 v5, 0, 2, s[0:1]
	v_add_lshl_u32 v5, v5, v6, 2
	v_cmp_ne_u32_e64 s[0:1], 63, v7
	v_addc_co_u32_e64 v6, s[0:1], 0, v6, s[0:1]
	s_waitcnt lgkmcnt(0)
	v_add_f32_e32 v8, v8, v9
	ds_bpermute_b32 v9, v5, v8
	v_lshlrev_b32_e32 v6, 2, v6
	v_cmp_eq_u32_e64 s[0:1], 0, v4
	s_waitcnt lgkmcnt(0)
	v_add_f32_e32 v7, v8, v9
	ds_bpermute_b32 v8, v6, v7
	s_and_saveexec_b64 s[2:3], s[0:1]
	s_cbranch_execz .LBB225_10
; %bb.9:
	s_waitcnt lgkmcnt(0)
	v_add_f32_e32 v4, v7, v8
	v_lshrrev_b32_e32 v7, 4, v0
	v_and_b32_e32 v7, 60, v7
	ds_write_b32 v7, v4
.LBB225_10:
	s_or_b64 exec, exec, s[2:3]
	v_cmp_gt_u32_e64 s[0:1], 16, v0
	v_mov_b32_e32 v4, 0
	s_waitcnt lgkmcnt(0)
	s_barrier
	s_and_saveexec_b64 s[2:3], s[0:1]
	s_cbranch_execnz .LBB225_14
; %bb.11:
	s_or_b64 exec, exec, s[2:3]
	s_and_saveexec_b64 s[0:1], vcc
	s_cbranch_execnz .LBB225_15
.LBB225_12:
	s_or_b64 exec, exec, s[0:1]
	v_cmp_eq_u32_e32 vcc, 0, v0
	s_and_saveexec_b64 s[0:1], vcc
	s_cbranch_execnz .LBB225_16
.LBB225_13:
	s_endpgm
.LBB225_14:
	ds_read_b32 v4, v1
	s_or_b64 exec, exec, s[2:3]
	s_and_saveexec_b64 s[0:1], vcc
	s_cbranch_execz .LBB225_12
.LBB225_15:
	s_waitcnt lgkmcnt(0)
	ds_bpermute_b32 v1, v2, v4
	s_waitcnt lgkmcnt(0)
	v_add_f32_e32 v1, v4, v1
	ds_bpermute_b32 v2, v3, v1
	s_waitcnt lgkmcnt(0)
	v_add_f32_e32 v1, v1, v2
	;; [unrolled: 3-line block ×4, first 2 shown]
	s_or_b64 exec, exec, s[0:1]
	v_cmp_eq_u32_e32 vcc, 0, v0
	s_and_saveexec_b64 s[0:1], vcc
	s_cbranch_execz .LBB225_13
.LBB225_16:
	s_lshl_b64 s[0:1], s[6:7], 2
	s_add_u32 s0, s12, s0
	s_addc_u32 s1, s13, s1
	v_mov_b32_e32 v0, 0
	s_waitcnt lgkmcnt(0)
	global_store_dword v0, v4, s[0:1]
	s_endpgm
	.section	.rodata,"a",@progbits
	.p2align	6, 0x0
	.amdhsa_kernel _ZL26rocblas_dot_kernel_inc1by2ILb1ELi1024ELi32ELb1EfPKPKffEviT4_llS4_lliPT5_PT3_
		.amdhsa_group_segment_fixed_size 256
		.amdhsa_private_segment_fixed_size 0
		.amdhsa_kernarg_size 80
		.amdhsa_user_sgpr_count 6
		.amdhsa_user_sgpr_private_segment_buffer 1
		.amdhsa_user_sgpr_dispatch_ptr 0
		.amdhsa_user_sgpr_queue_ptr 0
		.amdhsa_user_sgpr_kernarg_segment_ptr 1
		.amdhsa_user_sgpr_dispatch_id 0
		.amdhsa_user_sgpr_flat_scratch_init 0
		.amdhsa_user_sgpr_private_segment_size 0
		.amdhsa_uses_dynamic_stack 0
		.amdhsa_system_sgpr_private_segment_wavefront_offset 0
		.amdhsa_system_sgpr_workgroup_id_x 1
		.amdhsa_system_sgpr_workgroup_id_y 0
		.amdhsa_system_sgpr_workgroup_id_z 1
		.amdhsa_system_sgpr_workgroup_info 0
		.amdhsa_system_vgpr_workitem_id 0
		.amdhsa_next_free_vgpr 11
		.amdhsa_next_free_sgpr 24
		.amdhsa_reserve_vcc 1
		.amdhsa_reserve_flat_scratch 0
		.amdhsa_float_round_mode_32 0
		.amdhsa_float_round_mode_16_64 0
		.amdhsa_float_denorm_mode_32 3
		.amdhsa_float_denorm_mode_16_64 3
		.amdhsa_dx10_clamp 1
		.amdhsa_ieee_mode 1
		.amdhsa_fp16_overflow 0
		.amdhsa_exception_fp_ieee_invalid_op 0
		.amdhsa_exception_fp_denorm_src 0
		.amdhsa_exception_fp_ieee_div_zero 0
		.amdhsa_exception_fp_ieee_overflow 0
		.amdhsa_exception_fp_ieee_underflow 0
		.amdhsa_exception_fp_ieee_inexact 0
		.amdhsa_exception_int_div_zero 0
	.end_amdhsa_kernel
	.section	.text._ZL26rocblas_dot_kernel_inc1by2ILb1ELi1024ELi32ELb1EfPKPKffEviT4_llS4_lliPT5_PT3_,"axG",@progbits,_ZL26rocblas_dot_kernel_inc1by2ILb1ELi1024ELi32ELb1EfPKPKffEviT4_llS4_lliPT5_PT3_,comdat
.Lfunc_end225:
	.size	_ZL26rocblas_dot_kernel_inc1by2ILb1ELi1024ELi32ELb1EfPKPKffEviT4_llS4_lliPT5_PT3_, .Lfunc_end225-_ZL26rocblas_dot_kernel_inc1by2ILb1ELi1024ELi32ELb1EfPKPKffEviT4_llS4_lliPT5_PT3_
                                        ; -- End function
	.set _ZL26rocblas_dot_kernel_inc1by2ILb1ELi1024ELi32ELb1EfPKPKffEviT4_llS4_lliPT5_PT3_.num_vgpr, 11
	.set _ZL26rocblas_dot_kernel_inc1by2ILb1ELi1024ELi32ELb1EfPKPKffEviT4_llS4_lliPT5_PT3_.num_agpr, 0
	.set _ZL26rocblas_dot_kernel_inc1by2ILb1ELi1024ELi32ELb1EfPKPKffEviT4_llS4_lliPT5_PT3_.numbered_sgpr, 24
	.set _ZL26rocblas_dot_kernel_inc1by2ILb1ELi1024ELi32ELb1EfPKPKffEviT4_llS4_lliPT5_PT3_.num_named_barrier, 0
	.set _ZL26rocblas_dot_kernel_inc1by2ILb1ELi1024ELi32ELb1EfPKPKffEviT4_llS4_lliPT5_PT3_.private_seg_size, 0
	.set _ZL26rocblas_dot_kernel_inc1by2ILb1ELi1024ELi32ELb1EfPKPKffEviT4_llS4_lliPT5_PT3_.uses_vcc, 1
	.set _ZL26rocblas_dot_kernel_inc1by2ILb1ELi1024ELi32ELb1EfPKPKffEviT4_llS4_lliPT5_PT3_.uses_flat_scratch, 0
	.set _ZL26rocblas_dot_kernel_inc1by2ILb1ELi1024ELi32ELb1EfPKPKffEviT4_llS4_lliPT5_PT3_.has_dyn_sized_stack, 0
	.set _ZL26rocblas_dot_kernel_inc1by2ILb1ELi1024ELi32ELb1EfPKPKffEviT4_llS4_lliPT5_PT3_.has_recursion, 0
	.set _ZL26rocblas_dot_kernel_inc1by2ILb1ELi1024ELi32ELb1EfPKPKffEviT4_llS4_lliPT5_PT3_.has_indirect_call, 0
	.section	.AMDGPU.csdata,"",@progbits
; Kernel info:
; codeLenInByte = 920
; TotalNumSgprs: 28
; NumVgprs: 11
; ScratchSize: 0
; MemoryBound: 0
; FloatMode: 240
; IeeeMode: 1
; LDSByteSize: 256 bytes/workgroup (compile time only)
; SGPRBlocks: 3
; VGPRBlocks: 2
; NumSGPRsForWavesPerEU: 28
; NumVGPRsForWavesPerEU: 11
; Occupancy: 10
; WaveLimiterHint : 1
; COMPUTE_PGM_RSRC2:SCRATCH_EN: 0
; COMPUTE_PGM_RSRC2:USER_SGPR: 6
; COMPUTE_PGM_RSRC2:TRAP_HANDLER: 0
; COMPUTE_PGM_RSRC2:TGID_X_EN: 1
; COMPUTE_PGM_RSRC2:TGID_Y_EN: 0
; COMPUTE_PGM_RSRC2:TGID_Z_EN: 1
; COMPUTE_PGM_RSRC2:TIDIG_COMP_CNT: 0
	.section	.text._ZL18rocblas_dot_kernelIiLb1ELi1024ELi32ELb1EfPKPKffEviT5_lT_lS4_lS5_liPT6_PT4_,"axG",@progbits,_ZL18rocblas_dot_kernelIiLb1ELi1024ELi32ELb1EfPKPKffEviT5_lT_lS4_lS5_liPT6_PT4_,comdat
	.globl	_ZL18rocblas_dot_kernelIiLb1ELi1024ELi32ELb1EfPKPKffEviT5_lT_lS4_lS5_liPT6_PT4_ ; -- Begin function _ZL18rocblas_dot_kernelIiLb1ELi1024ELi32ELb1EfPKPKffEviT5_lT_lS4_lS5_liPT6_PT4_
	.p2align	8
	.type	_ZL18rocblas_dot_kernelIiLb1ELi1024ELi32ELb1EfPKPKffEviT5_lT_lS4_lS5_liPT6_PT4_,@function
_ZL18rocblas_dot_kernelIiLb1ELi1024ELi32ELb1EfPKPKffEviT5_lT_lS4_lS5_liPT6_PT4_: ; @_ZL18rocblas_dot_kernelIiLb1ELi1024ELi32ELb1EfPKPKffEviT5_lT_lS4_lS5_liPT6_PT4_
; %bb.0:
	s_load_dword s14, s[4:5], 0x0
	s_load_dwordx2 s[8:9], s[4:5], 0x58
	s_mov_b32 s6, s7
	s_mov_b32 s7, 0
	v_mov_b32_e32 v5, 0
	s_waitcnt lgkmcnt(0)
	v_cmp_gt_i32_e32 vcc, s14, v0
	s_and_saveexec_b64 s[10:11], vcc
	s_cbranch_execz .LBB226_4
; %bb.1:
	s_load_dwordx4 s[16:19], s[4:5], 0x8
	s_load_dwordx4 s[0:3], s[4:5], 0x28
	s_load_dword s22, s[4:5], 0x18
	s_lshl_b64 s[12:13], s[6:7], 3
	s_waitcnt lgkmcnt(0)
	s_add_u32 s16, s16, s12
	s_addc_u32 s17, s17, s13
	s_load_dwordx2 s[20:21], s[16:17], 0x0
	s_load_dword s23, s[4:5], 0x38
	s_load_dword s15, s[4:5], 0x60
	v_mad_i64_i32 v[1:2], s[4:5], s22, v0, 0
	s_add_u32 s0, s0, s12
	s_addc_u32 s1, s1, s13
	s_waitcnt lgkmcnt(0)
	s_lshl_b32 s15, s15, 10
	s_lshl_b64 s[4:5], s[18:19], 2
	v_lshlrev_b64 v[1:2], 2, v[1:2]
	s_add_u32 s4, s20, s4
	s_addc_u32 s5, s21, s5
	s_load_dwordx2 s[0:1], s[0:1], 0x0
	v_mov_b32_e32 v3, s5
	v_add_co_u32_e32 v1, vcc, s4, v1
	v_addc_co_u32_e32 v2, vcc, v3, v2, vcc
	v_mad_i64_i32 v[3:4], s[4:5], s23, v0, 0
	s_mul_hi_i32 s5, s22, s15
	s_mul_i32 s4, s22, s15
	s_lshl_b64 s[4:5], s[4:5], 2
	s_lshl_b64 s[2:3], s[2:3], 2
	v_lshlrev_b64 v[3:4], 2, v[3:4]
	s_waitcnt lgkmcnt(0)
	s_add_u32 s0, s0, s2
	s_addc_u32 s1, s1, s3
	v_mov_b32_e32 v5, s1
	v_add_co_u32_e32 v3, vcc, s0, v3
	s_mul_hi_i32 s1, s23, s15
	s_mul_i32 s0, s23, s15
	s_lshl_b64 s[2:3], s[0:1], 2
	v_or_b32_e32 v6, s15, v0
	v_addc_co_u32_e32 v4, vcc, v5, v4, vcc
	v_mov_b32_e32 v5, 0
	s_mov_b64 s[12:13], 0
	v_mov_b32_e32 v7, s5
	v_mov_b32_e32 v8, s3
	s_mov_b32 s3, s7
.LBB226_2:                              ; =>This Inner Loop Header: Depth=1
	flat_load_dword v9, v[3:4]
	flat_load_dword v10, v[1:2]
	v_add_co_u32_e64 v1, s[0:1], s4, v1
	v_addc_co_u32_e64 v2, s[0:1], v2, v7, s[0:1]
	s_add_i32 s5, s3, 1
	v_add_co_u32_e64 v3, s[0:1], s2, v3
	v_addc_co_u32_e64 v4, s[0:1], v4, v8, s[0:1]
	s_cmp_gt_u32 s3, 30
	v_cmp_le_i32_e32 vcc, s14, v6
	s_cselect_b64 s[0:1], -1, 0
	s_or_b64 s[0:1], s[0:1], vcc
	s_and_b64 s[0:1], exec, s[0:1]
	v_add_u32_e32 v6, s15, v6
	s_mov_b32 s3, s5
	s_or_b64 s[12:13], s[0:1], s[12:13]
	s_waitcnt vmcnt(0) lgkmcnt(0)
	v_fmac_f32_e32 v5, v9, v10
	s_andn2_b64 exec, exec, s[12:13]
	s_cbranch_execnz .LBB226_2
; %bb.3:
	s_or_b64 exec, exec, s[12:13]
.LBB226_4:
	s_or_b64 exec, exec, s[10:11]
	v_and_b32_e32 v4, 63, v0
	v_cmp_gt_u32_e32 vcc, 64, v0
	v_lshlrev_b32_e32 v1, 2, v4
	s_and_saveexec_b64 s[0:1], vcc
; %bb.5:
	v_mov_b32_e32 v2, 0
	ds_write_b32 v1, v2
; %bb.6:
	s_or_b64 exec, exec, s[0:1]
	v_mbcnt_lo_u32_b32 v2, -1, 0
	v_mbcnt_hi_u32_b32 v6, -1, v2
	v_mov_b32_e32 v2, 0x80
	v_lshl_or_b32 v2, v6, 2, v2
	ds_bpermute_b32 v2, v2, v5
	v_and_b32_e32 v7, 63, v6
	v_cmp_gt_u32_e64 s[0:1], 48, v7
	v_cndmask_b32_e64 v3, 0, 16, s[0:1]
	v_cmp_gt_u32_e64 s[0:1], 56, v7
	s_waitcnt lgkmcnt(0)
	v_add_f32_e32 v5, v5, v2
	v_add_lshl_u32 v2, v3, v6, 2
	ds_bpermute_b32 v3, v2, v5
	v_cndmask_b32_e64 v2, 0, 8, s[0:1]
	v_add_lshl_u32 v2, v2, v6, 2
	v_cmp_gt_u32_e64 s[0:1], 60, v7
	s_waitcnt lgkmcnt(0)
	v_add_f32_e32 v5, v5, v3
	ds_bpermute_b32 v8, v2, v5
	v_cndmask_b32_e64 v3, 0, 4, s[0:1]
	v_add_lshl_u32 v3, v3, v6, 2
	v_cmp_gt_u32_e64 s[0:1], 62, v7
	s_waitcnt lgkmcnt(0)
	s_barrier
	v_add_f32_e32 v8, v5, v8
	ds_bpermute_b32 v9, v3, v8
	v_cndmask_b32_e64 v5, 0, 2, s[0:1]
	v_add_lshl_u32 v5, v5, v6, 2
	v_cmp_ne_u32_e64 s[0:1], 63, v7
	v_addc_co_u32_e64 v6, s[0:1], 0, v6, s[0:1]
	s_waitcnt lgkmcnt(0)
	v_add_f32_e32 v8, v8, v9
	ds_bpermute_b32 v9, v5, v8
	v_lshlrev_b32_e32 v6, 2, v6
	v_cmp_eq_u32_e64 s[0:1], 0, v4
	s_waitcnt lgkmcnt(0)
	v_add_f32_e32 v7, v8, v9
	ds_bpermute_b32 v8, v6, v7
	s_and_saveexec_b64 s[2:3], s[0:1]
	s_cbranch_execz .LBB226_8
; %bb.7:
	s_waitcnt lgkmcnt(0)
	v_add_f32_e32 v4, v7, v8
	v_lshrrev_b32_e32 v7, 4, v0
	v_and_b32_e32 v7, 60, v7
	ds_write_b32 v7, v4
.LBB226_8:
	s_or_b64 exec, exec, s[2:3]
	v_cmp_gt_u32_e64 s[0:1], 16, v0
	v_mov_b32_e32 v4, 0
	s_waitcnt lgkmcnt(0)
	s_barrier
	s_and_saveexec_b64 s[2:3], s[0:1]
	s_cbranch_execnz .LBB226_12
; %bb.9:
	s_or_b64 exec, exec, s[2:3]
	s_and_saveexec_b64 s[0:1], vcc
	s_cbranch_execnz .LBB226_13
.LBB226_10:
	s_or_b64 exec, exec, s[0:1]
	v_cmp_eq_u32_e32 vcc, 0, v0
	s_and_saveexec_b64 s[0:1], vcc
	s_cbranch_execnz .LBB226_14
.LBB226_11:
	s_endpgm
.LBB226_12:
	ds_read_b32 v4, v1
	s_or_b64 exec, exec, s[2:3]
	s_and_saveexec_b64 s[0:1], vcc
	s_cbranch_execz .LBB226_10
.LBB226_13:
	s_waitcnt lgkmcnt(0)
	ds_bpermute_b32 v1, v2, v4
	s_waitcnt lgkmcnt(0)
	v_add_f32_e32 v1, v4, v1
	ds_bpermute_b32 v2, v3, v1
	s_waitcnt lgkmcnt(0)
	v_add_f32_e32 v1, v1, v2
	;; [unrolled: 3-line block ×4, first 2 shown]
	s_or_b64 exec, exec, s[0:1]
	v_cmp_eq_u32_e32 vcc, 0, v0
	s_and_saveexec_b64 s[0:1], vcc
	s_cbranch_execz .LBB226_11
.LBB226_14:
	s_lshl_b64 s[0:1], s[6:7], 2
	s_add_u32 s0, s8, s0
	s_addc_u32 s1, s9, s1
	v_mov_b32_e32 v0, 0
	s_waitcnt lgkmcnt(0)
	global_store_dword v0, v4, s[0:1]
	s_endpgm
	.section	.rodata,"a",@progbits
	.p2align	6, 0x0
	.amdhsa_kernel _ZL18rocblas_dot_kernelIiLb1ELi1024ELi32ELb1EfPKPKffEviT5_lT_lS4_lS5_liPT6_PT4_
		.amdhsa_group_segment_fixed_size 256
		.amdhsa_private_segment_fixed_size 0
		.amdhsa_kernarg_size 352
		.amdhsa_user_sgpr_count 6
		.amdhsa_user_sgpr_private_segment_buffer 1
		.amdhsa_user_sgpr_dispatch_ptr 0
		.amdhsa_user_sgpr_queue_ptr 0
		.amdhsa_user_sgpr_kernarg_segment_ptr 1
		.amdhsa_user_sgpr_dispatch_id 0
		.amdhsa_user_sgpr_flat_scratch_init 0
		.amdhsa_user_sgpr_private_segment_size 0
		.amdhsa_uses_dynamic_stack 0
		.amdhsa_system_sgpr_private_segment_wavefront_offset 0
		.amdhsa_system_sgpr_workgroup_id_x 1
		.amdhsa_system_sgpr_workgroup_id_y 0
		.amdhsa_system_sgpr_workgroup_id_z 1
		.amdhsa_system_sgpr_workgroup_info 0
		.amdhsa_system_vgpr_workitem_id 0
		.amdhsa_next_free_vgpr 11
		.amdhsa_next_free_sgpr 24
		.amdhsa_reserve_vcc 1
		.amdhsa_reserve_flat_scratch 0
		.amdhsa_float_round_mode_32 0
		.amdhsa_float_round_mode_16_64 0
		.amdhsa_float_denorm_mode_32 3
		.amdhsa_float_denorm_mode_16_64 3
		.amdhsa_dx10_clamp 1
		.amdhsa_ieee_mode 1
		.amdhsa_fp16_overflow 0
		.amdhsa_exception_fp_ieee_invalid_op 0
		.amdhsa_exception_fp_denorm_src 0
		.amdhsa_exception_fp_ieee_div_zero 0
		.amdhsa_exception_fp_ieee_overflow 0
		.amdhsa_exception_fp_ieee_underflow 0
		.amdhsa_exception_fp_ieee_inexact 0
		.amdhsa_exception_int_div_zero 0
	.end_amdhsa_kernel
	.section	.text._ZL18rocblas_dot_kernelIiLb1ELi1024ELi32ELb1EfPKPKffEviT5_lT_lS4_lS5_liPT6_PT4_,"axG",@progbits,_ZL18rocblas_dot_kernelIiLb1ELi1024ELi32ELb1EfPKPKffEviT5_lT_lS4_lS5_liPT6_PT4_,comdat
.Lfunc_end226:
	.size	_ZL18rocblas_dot_kernelIiLb1ELi1024ELi32ELb1EfPKPKffEviT5_lT_lS4_lS5_liPT6_PT4_, .Lfunc_end226-_ZL18rocblas_dot_kernelIiLb1ELi1024ELi32ELb1EfPKPKffEviT5_lT_lS4_lS5_liPT6_PT4_
                                        ; -- End function
	.set _ZL18rocblas_dot_kernelIiLb1ELi1024ELi32ELb1EfPKPKffEviT5_lT_lS4_lS5_liPT6_PT4_.num_vgpr, 11
	.set _ZL18rocblas_dot_kernelIiLb1ELi1024ELi32ELb1EfPKPKffEviT5_lT_lS4_lS5_liPT6_PT4_.num_agpr, 0
	.set _ZL18rocblas_dot_kernelIiLb1ELi1024ELi32ELb1EfPKPKffEviT5_lT_lS4_lS5_liPT6_PT4_.numbered_sgpr, 24
	.set _ZL18rocblas_dot_kernelIiLb1ELi1024ELi32ELb1EfPKPKffEviT5_lT_lS4_lS5_liPT6_PT4_.num_named_barrier, 0
	.set _ZL18rocblas_dot_kernelIiLb1ELi1024ELi32ELb1EfPKPKffEviT5_lT_lS4_lS5_liPT6_PT4_.private_seg_size, 0
	.set _ZL18rocblas_dot_kernelIiLb1ELi1024ELi32ELb1EfPKPKffEviT5_lT_lS4_lS5_liPT6_PT4_.uses_vcc, 1
	.set _ZL18rocblas_dot_kernelIiLb1ELi1024ELi32ELb1EfPKPKffEviT5_lT_lS4_lS5_liPT6_PT4_.uses_flat_scratch, 0
	.set _ZL18rocblas_dot_kernelIiLb1ELi1024ELi32ELb1EfPKPKffEviT5_lT_lS4_lS5_liPT6_PT4_.has_dyn_sized_stack, 0
	.set _ZL18rocblas_dot_kernelIiLb1ELi1024ELi32ELb1EfPKPKffEviT5_lT_lS4_lS5_liPT6_PT4_.has_recursion, 0
	.set _ZL18rocblas_dot_kernelIiLb1ELi1024ELi32ELb1EfPKPKffEviT5_lT_lS4_lS5_liPT6_PT4_.has_indirect_call, 0
	.section	.AMDGPU.csdata,"",@progbits
; Kernel info:
; codeLenInByte = 888
; TotalNumSgprs: 28
; NumVgprs: 11
; ScratchSize: 0
; MemoryBound: 0
; FloatMode: 240
; IeeeMode: 1
; LDSByteSize: 256 bytes/workgroup (compile time only)
; SGPRBlocks: 3
; VGPRBlocks: 2
; NumSGPRsForWavesPerEU: 28
; NumVGPRsForWavesPerEU: 11
; Occupancy: 10
; WaveLimiterHint : 0
; COMPUTE_PGM_RSRC2:SCRATCH_EN: 0
; COMPUTE_PGM_RSRC2:USER_SGPR: 6
; COMPUTE_PGM_RSRC2:TRAP_HANDLER: 0
; COMPUTE_PGM_RSRC2:TGID_X_EN: 1
; COMPUTE_PGM_RSRC2:TGID_Y_EN: 0
; COMPUTE_PGM_RSRC2:TGID_Z_EN: 1
; COMPUTE_PGM_RSRC2:TIDIG_COMP_CNT: 0
	.section	.text._ZL24rocblas_dot_kernel_magsqIiLb1ELi1024ELi32ELb1EfPKPKffEviT5_lT_liPT6_PT4_,"axG",@progbits,_ZL24rocblas_dot_kernel_magsqIiLb1ELi1024ELi32ELb1EfPKPKffEviT5_lT_liPT6_PT4_,comdat
	.globl	_ZL24rocblas_dot_kernel_magsqIiLb1ELi1024ELi32ELb1EfPKPKffEviT5_lT_liPT6_PT4_ ; -- Begin function _ZL24rocblas_dot_kernel_magsqIiLb1ELi1024ELi32ELb1EfPKPKffEviT5_lT_liPT6_PT4_
	.p2align	8
	.type	_ZL24rocblas_dot_kernel_magsqIiLb1ELi1024ELi32ELb1EfPKPKffEviT5_lT_liPT6_PT4_,@function
_ZL24rocblas_dot_kernel_magsqIiLb1ELi1024ELi32ELb1EfPKPKffEviT5_lT_liPT6_PT4_: ; @_ZL24rocblas_dot_kernel_magsqIiLb1ELi1024ELi32ELb1EfPKPKffEviT5_lT_liPT6_PT4_
; %bb.0:
	s_mov_b32 s2, s7
	s_load_dword s12, s[4:5], 0x0
	s_load_dwordx2 s[6:7], s[4:5], 0x38
	s_mov_b32 s3, 0
	v_mov_b32_e32 v3, 0
	s_waitcnt lgkmcnt(0)
	v_cmp_gt_i32_e32 vcc, s12, v0
	s_and_saveexec_b64 s[8:9], vcc
	s_cbranch_execz .LBB227_4
; %bb.1:
	s_load_dwordx4 s[16:19], s[4:5], 0x8
	s_lshl_b64 s[0:1], s[2:3], 3
	s_load_dword s10, s[4:5], 0x18
	s_load_dword s11, s[4:5], 0x40
	s_waitcnt lgkmcnt(0)
	s_add_u32 s0, s16, s0
	s_addc_u32 s1, s17, s1
	s_load_dwordx2 s[0:1], s[0:1], 0x0
	v_mad_i64_i32 v[1:2], s[4:5], s10, v0, 0
	s_lshl_b32 s13, s11, 10
	s_lshl_b64 s[4:5], s[18:19], 2
	v_lshlrev_b64 v[1:2], 2, v[1:2]
	s_waitcnt lgkmcnt(0)
	s_add_u32 s0, s0, s4
	s_addc_u32 s1, s1, s5
	v_mov_b32_e32 v3, s1
	v_add_co_u32_e32 v1, vcc, s0, v1
	s_mul_hi_i32 s1, s10, s13
	s_mul_i32 s0, s10, s13
	s_lshl_b64 s[4:5], s[0:1], 2
	v_or_b32_e32 v4, s13, v0
	v_addc_co_u32_e32 v2, vcc, v3, v2, vcc
	v_mov_b32_e32 v3, 0
	s_mov_b64 s[10:11], 0
	v_mov_b32_e32 v5, s5
	s_mov_b32 s5, s3
.LBB227_2:                              ; =>This Inner Loop Header: Depth=1
	flat_load_dword v6, v[1:2]
	s_add_i32 s14, s5, 1
	v_add_co_u32_e64 v1, s[0:1], s4, v1
	v_addc_co_u32_e64 v2, s[0:1], v2, v5, s[0:1]
	s_cmp_gt_u32 s5, 30
	v_cmp_le_i32_e32 vcc, s12, v4
	s_cselect_b64 s[0:1], -1, 0
	s_or_b64 s[0:1], s[0:1], vcc
	s_and_b64 s[0:1], exec, s[0:1]
	v_add_u32_e32 v4, s13, v4
	s_mov_b32 s5, s14
	s_or_b64 s[10:11], s[0:1], s[10:11]
	s_waitcnt vmcnt(0) lgkmcnt(0)
	v_fmac_f32_e32 v3, v6, v6
	s_andn2_b64 exec, exec, s[10:11]
	s_cbranch_execnz .LBB227_2
; %bb.3:
	s_or_b64 exec, exec, s[10:11]
.LBB227_4:
	s_or_b64 exec, exec, s[8:9]
	v_and_b32_e32 v4, 63, v0
	v_cmp_gt_u32_e32 vcc, 64, v0
	v_lshlrev_b32_e32 v1, 2, v4
	s_and_saveexec_b64 s[0:1], vcc
; %bb.5:
	v_mov_b32_e32 v2, 0
	ds_write_b32 v1, v2
; %bb.6:
	s_or_b64 exec, exec, s[0:1]
	v_mbcnt_lo_u32_b32 v2, -1, 0
	v_mbcnt_hi_u32_b32 v6, -1, v2
	v_mov_b32_e32 v2, 0x80
	v_lshl_or_b32 v2, v6, 2, v2
	ds_bpermute_b32 v2, v2, v3
	v_and_b32_e32 v7, 63, v6
	v_cmp_gt_u32_e64 s[0:1], 48, v7
	v_cndmask_b32_e64 v5, 0, 16, s[0:1]
	v_cmp_gt_u32_e64 s[0:1], 56, v7
	s_waitcnt lgkmcnt(0)
	v_add_f32_e32 v3, v3, v2
	v_add_lshl_u32 v2, v5, v6, 2
	ds_bpermute_b32 v5, v2, v3
	v_cndmask_b32_e64 v2, 0, 8, s[0:1]
	v_add_lshl_u32 v2, v2, v6, 2
	v_cmp_gt_u32_e64 s[0:1], 60, v7
	s_waitcnt lgkmcnt(0)
	v_add_f32_e32 v5, v3, v5
	ds_bpermute_b32 v8, v2, v5
	v_cndmask_b32_e64 v3, 0, 4, s[0:1]
	v_add_lshl_u32 v3, v3, v6, 2
	v_cmp_gt_u32_e64 s[0:1], 62, v7
	s_waitcnt lgkmcnt(0)
	s_barrier
	v_add_f32_e32 v8, v5, v8
	ds_bpermute_b32 v9, v3, v8
	v_cndmask_b32_e64 v5, 0, 2, s[0:1]
	v_add_lshl_u32 v5, v5, v6, 2
	v_cmp_ne_u32_e64 s[0:1], 63, v7
	v_addc_co_u32_e64 v6, s[0:1], 0, v6, s[0:1]
	s_waitcnt lgkmcnt(0)
	v_add_f32_e32 v8, v8, v9
	ds_bpermute_b32 v9, v5, v8
	v_lshlrev_b32_e32 v6, 2, v6
	v_cmp_eq_u32_e64 s[0:1], 0, v4
	s_waitcnt lgkmcnt(0)
	v_add_f32_e32 v7, v8, v9
	ds_bpermute_b32 v8, v6, v7
	s_and_saveexec_b64 s[4:5], s[0:1]
	s_cbranch_execz .LBB227_8
; %bb.7:
	s_waitcnt lgkmcnt(0)
	v_add_f32_e32 v4, v7, v8
	v_lshrrev_b32_e32 v7, 4, v0
	v_and_b32_e32 v7, 60, v7
	ds_write_b32 v7, v4
.LBB227_8:
	s_or_b64 exec, exec, s[4:5]
	v_cmp_gt_u32_e64 s[0:1], 16, v0
	v_mov_b32_e32 v4, 0
	s_waitcnt lgkmcnt(0)
	s_barrier
	s_and_saveexec_b64 s[4:5], s[0:1]
	s_cbranch_execnz .LBB227_12
; %bb.9:
	s_or_b64 exec, exec, s[4:5]
	s_and_saveexec_b64 s[0:1], vcc
	s_cbranch_execnz .LBB227_13
.LBB227_10:
	s_or_b64 exec, exec, s[0:1]
	v_cmp_eq_u32_e32 vcc, 0, v0
	s_and_saveexec_b64 s[0:1], vcc
	s_cbranch_execnz .LBB227_14
.LBB227_11:
	s_endpgm
.LBB227_12:
	ds_read_b32 v4, v1
	s_or_b64 exec, exec, s[4:5]
	s_and_saveexec_b64 s[0:1], vcc
	s_cbranch_execz .LBB227_10
.LBB227_13:
	s_waitcnt lgkmcnt(0)
	ds_bpermute_b32 v1, v2, v4
	s_waitcnt lgkmcnt(0)
	v_add_f32_e32 v1, v4, v1
	ds_bpermute_b32 v2, v3, v1
	s_waitcnt lgkmcnt(0)
	v_add_f32_e32 v1, v1, v2
	;; [unrolled: 3-line block ×4, first 2 shown]
	s_or_b64 exec, exec, s[0:1]
	v_cmp_eq_u32_e32 vcc, 0, v0
	s_and_saveexec_b64 s[0:1], vcc
	s_cbranch_execz .LBB227_11
.LBB227_14:
	s_lshl_b64 s[0:1], s[2:3], 2
	s_add_u32 s0, s6, s0
	s_addc_u32 s1, s7, s1
	v_mov_b32_e32 v0, 0
	s_waitcnt lgkmcnt(0)
	global_store_dword v0, v4, s[0:1]
	s_endpgm
	.section	.rodata,"a",@progbits
	.p2align	6, 0x0
	.amdhsa_kernel _ZL24rocblas_dot_kernel_magsqIiLb1ELi1024ELi32ELb1EfPKPKffEviT5_lT_liPT6_PT4_
		.amdhsa_group_segment_fixed_size 256
		.amdhsa_private_segment_fixed_size 0
		.amdhsa_kernarg_size 320
		.amdhsa_user_sgpr_count 6
		.amdhsa_user_sgpr_private_segment_buffer 1
		.amdhsa_user_sgpr_dispatch_ptr 0
		.amdhsa_user_sgpr_queue_ptr 0
		.amdhsa_user_sgpr_kernarg_segment_ptr 1
		.amdhsa_user_sgpr_dispatch_id 0
		.amdhsa_user_sgpr_flat_scratch_init 0
		.amdhsa_user_sgpr_private_segment_size 0
		.amdhsa_uses_dynamic_stack 0
		.amdhsa_system_sgpr_private_segment_wavefront_offset 0
		.amdhsa_system_sgpr_workgroup_id_x 1
		.amdhsa_system_sgpr_workgroup_id_y 0
		.amdhsa_system_sgpr_workgroup_id_z 1
		.amdhsa_system_sgpr_workgroup_info 0
		.amdhsa_system_vgpr_workitem_id 0
		.amdhsa_next_free_vgpr 10
		.amdhsa_next_free_sgpr 20
		.amdhsa_reserve_vcc 1
		.amdhsa_reserve_flat_scratch 0
		.amdhsa_float_round_mode_32 0
		.amdhsa_float_round_mode_16_64 0
		.amdhsa_float_denorm_mode_32 3
		.amdhsa_float_denorm_mode_16_64 3
		.amdhsa_dx10_clamp 1
		.amdhsa_ieee_mode 1
		.amdhsa_fp16_overflow 0
		.amdhsa_exception_fp_ieee_invalid_op 0
		.amdhsa_exception_fp_denorm_src 0
		.amdhsa_exception_fp_ieee_div_zero 0
		.amdhsa_exception_fp_ieee_overflow 0
		.amdhsa_exception_fp_ieee_underflow 0
		.amdhsa_exception_fp_ieee_inexact 0
		.amdhsa_exception_int_div_zero 0
	.end_amdhsa_kernel
	.section	.text._ZL24rocblas_dot_kernel_magsqIiLb1ELi1024ELi32ELb1EfPKPKffEviT5_lT_liPT6_PT4_,"axG",@progbits,_ZL24rocblas_dot_kernel_magsqIiLb1ELi1024ELi32ELb1EfPKPKffEviT5_lT_liPT6_PT4_,comdat
.Lfunc_end227:
	.size	_ZL24rocblas_dot_kernel_magsqIiLb1ELi1024ELi32ELb1EfPKPKffEviT5_lT_liPT6_PT4_, .Lfunc_end227-_ZL24rocblas_dot_kernel_magsqIiLb1ELi1024ELi32ELb1EfPKPKffEviT5_lT_liPT6_PT4_
                                        ; -- End function
	.set _ZL24rocblas_dot_kernel_magsqIiLb1ELi1024ELi32ELb1EfPKPKffEviT5_lT_liPT6_PT4_.num_vgpr, 10
	.set _ZL24rocblas_dot_kernel_magsqIiLb1ELi1024ELi32ELb1EfPKPKffEviT5_lT_liPT6_PT4_.num_agpr, 0
	.set _ZL24rocblas_dot_kernel_magsqIiLb1ELi1024ELi32ELb1EfPKPKffEviT5_lT_liPT6_PT4_.numbered_sgpr, 20
	.set _ZL24rocblas_dot_kernel_magsqIiLb1ELi1024ELi32ELb1EfPKPKffEviT5_lT_liPT6_PT4_.num_named_barrier, 0
	.set _ZL24rocblas_dot_kernel_magsqIiLb1ELi1024ELi32ELb1EfPKPKffEviT5_lT_liPT6_PT4_.private_seg_size, 0
	.set _ZL24rocblas_dot_kernel_magsqIiLb1ELi1024ELi32ELb1EfPKPKffEviT5_lT_liPT6_PT4_.uses_vcc, 1
	.set _ZL24rocblas_dot_kernel_magsqIiLb1ELi1024ELi32ELb1EfPKPKffEviT5_lT_liPT6_PT4_.uses_flat_scratch, 0
	.set _ZL24rocblas_dot_kernel_magsqIiLb1ELi1024ELi32ELb1EfPKPKffEviT5_lT_liPT6_PT4_.has_dyn_sized_stack, 0
	.set _ZL24rocblas_dot_kernel_magsqIiLb1ELi1024ELi32ELb1EfPKPKffEviT5_lT_liPT6_PT4_.has_recursion, 0
	.set _ZL24rocblas_dot_kernel_magsqIiLb1ELi1024ELi32ELb1EfPKPKffEviT5_lT_liPT6_PT4_.has_indirect_call, 0
	.section	.AMDGPU.csdata,"",@progbits
; Kernel info:
; codeLenInByte = 772
; TotalNumSgprs: 24
; NumVgprs: 10
; ScratchSize: 0
; MemoryBound: 0
; FloatMode: 240
; IeeeMode: 1
; LDSByteSize: 256 bytes/workgroup (compile time only)
; SGPRBlocks: 2
; VGPRBlocks: 2
; NumSGPRsForWavesPerEU: 24
; NumVGPRsForWavesPerEU: 10
; Occupancy: 10
; WaveLimiterHint : 0
; COMPUTE_PGM_RSRC2:SCRATCH_EN: 0
; COMPUTE_PGM_RSRC2:USER_SGPR: 6
; COMPUTE_PGM_RSRC2:TRAP_HANDLER: 0
; COMPUTE_PGM_RSRC2:TGID_X_EN: 1
; COMPUTE_PGM_RSRC2:TGID_Y_EN: 0
; COMPUTE_PGM_RSRC2:TGID_Z_EN: 1
; COMPUTE_PGM_RSRC2:TIDIG_COMP_CNT: 0
	.section	.text._ZL38rocblas_dot_kernel_gfx942_float_doubleIiLi1024EfPKPKffEviT2_lT_lS4_lS5_lPT3_PT1_,"axG",@progbits,_ZL38rocblas_dot_kernel_gfx942_float_doubleIiLi1024EfPKPKffEviT2_lT_lS4_lS5_lPT3_PT1_,comdat
	.globl	_ZL38rocblas_dot_kernel_gfx942_float_doubleIiLi1024EfPKPKffEviT2_lT_lS4_lS5_lPT3_PT1_ ; -- Begin function _ZL38rocblas_dot_kernel_gfx942_float_doubleIiLi1024EfPKPKffEviT2_lT_lS4_lS5_lPT3_PT1_
	.p2align	8
	.type	_ZL38rocblas_dot_kernel_gfx942_float_doubleIiLi1024EfPKPKffEviT2_lT_lS4_lS5_lPT3_PT1_,@function
_ZL38rocblas_dot_kernel_gfx942_float_doubleIiLi1024EfPKPKffEviT2_lT_lS4_lS5_lPT3_PT1_: ; @_ZL38rocblas_dot_kernel_gfx942_float_doubleIiLi1024EfPKPKffEviT2_lT_lS4_lS5_lPT3_PT1_
; %bb.0:
	s_endpgm
	.section	.rodata,"a",@progbits
	.p2align	6, 0x0
	.amdhsa_kernel _ZL38rocblas_dot_kernel_gfx942_float_doubleIiLi1024EfPKPKffEviT2_lT_lS4_lS5_lPT3_PT1_
		.amdhsa_group_segment_fixed_size 0
		.amdhsa_private_segment_fixed_size 0
		.amdhsa_kernarg_size 88
		.amdhsa_user_sgpr_count 6
		.amdhsa_user_sgpr_private_segment_buffer 1
		.amdhsa_user_sgpr_dispatch_ptr 0
		.amdhsa_user_sgpr_queue_ptr 0
		.amdhsa_user_sgpr_kernarg_segment_ptr 1
		.amdhsa_user_sgpr_dispatch_id 0
		.amdhsa_user_sgpr_flat_scratch_init 0
		.amdhsa_user_sgpr_private_segment_size 0
		.amdhsa_uses_dynamic_stack 0
		.amdhsa_system_sgpr_private_segment_wavefront_offset 0
		.amdhsa_system_sgpr_workgroup_id_x 1
		.amdhsa_system_sgpr_workgroup_id_y 0
		.amdhsa_system_sgpr_workgroup_id_z 0
		.amdhsa_system_sgpr_workgroup_info 0
		.amdhsa_system_vgpr_workitem_id 0
		.amdhsa_next_free_vgpr 1
		.amdhsa_next_free_sgpr 0
		.amdhsa_reserve_vcc 0
		.amdhsa_reserve_flat_scratch 0
		.amdhsa_float_round_mode_32 0
		.amdhsa_float_round_mode_16_64 0
		.amdhsa_float_denorm_mode_32 3
		.amdhsa_float_denorm_mode_16_64 3
		.amdhsa_dx10_clamp 1
		.amdhsa_ieee_mode 1
		.amdhsa_fp16_overflow 0
		.amdhsa_exception_fp_ieee_invalid_op 0
		.amdhsa_exception_fp_denorm_src 0
		.amdhsa_exception_fp_ieee_div_zero 0
		.amdhsa_exception_fp_ieee_overflow 0
		.amdhsa_exception_fp_ieee_underflow 0
		.amdhsa_exception_fp_ieee_inexact 0
		.amdhsa_exception_int_div_zero 0
	.end_amdhsa_kernel
	.section	.text._ZL38rocblas_dot_kernel_gfx942_float_doubleIiLi1024EfPKPKffEviT2_lT_lS4_lS5_lPT3_PT1_,"axG",@progbits,_ZL38rocblas_dot_kernel_gfx942_float_doubleIiLi1024EfPKPKffEviT2_lT_lS4_lS5_lPT3_PT1_,comdat
.Lfunc_end228:
	.size	_ZL38rocblas_dot_kernel_gfx942_float_doubleIiLi1024EfPKPKffEviT2_lT_lS4_lS5_lPT3_PT1_, .Lfunc_end228-_ZL38rocblas_dot_kernel_gfx942_float_doubleIiLi1024EfPKPKffEviT2_lT_lS4_lS5_lPT3_PT1_
                                        ; -- End function
	.set _ZL38rocblas_dot_kernel_gfx942_float_doubleIiLi1024EfPKPKffEviT2_lT_lS4_lS5_lPT3_PT1_.num_vgpr, 0
	.set _ZL38rocblas_dot_kernel_gfx942_float_doubleIiLi1024EfPKPKffEviT2_lT_lS4_lS5_lPT3_PT1_.num_agpr, 0
	.set _ZL38rocblas_dot_kernel_gfx942_float_doubleIiLi1024EfPKPKffEviT2_lT_lS4_lS5_lPT3_PT1_.numbered_sgpr, 0
	.set _ZL38rocblas_dot_kernel_gfx942_float_doubleIiLi1024EfPKPKffEviT2_lT_lS4_lS5_lPT3_PT1_.num_named_barrier, 0
	.set _ZL38rocblas_dot_kernel_gfx942_float_doubleIiLi1024EfPKPKffEviT2_lT_lS4_lS5_lPT3_PT1_.private_seg_size, 0
	.set _ZL38rocblas_dot_kernel_gfx942_float_doubleIiLi1024EfPKPKffEviT2_lT_lS4_lS5_lPT3_PT1_.uses_vcc, 0
	.set _ZL38rocblas_dot_kernel_gfx942_float_doubleIiLi1024EfPKPKffEviT2_lT_lS4_lS5_lPT3_PT1_.uses_flat_scratch, 0
	.set _ZL38rocblas_dot_kernel_gfx942_float_doubleIiLi1024EfPKPKffEviT2_lT_lS4_lS5_lPT3_PT1_.has_dyn_sized_stack, 0
	.set _ZL38rocblas_dot_kernel_gfx942_float_doubleIiLi1024EfPKPKffEviT2_lT_lS4_lS5_lPT3_PT1_.has_recursion, 0
	.set _ZL38rocblas_dot_kernel_gfx942_float_doubleIiLi1024EfPKPKffEviT2_lT_lS4_lS5_lPT3_PT1_.has_indirect_call, 0
	.section	.AMDGPU.csdata,"",@progbits
; Kernel info:
; codeLenInByte = 4
; TotalNumSgprs: 4
; NumVgprs: 0
; ScratchSize: 0
; MemoryBound: 0
; FloatMode: 240
; IeeeMode: 1
; LDSByteSize: 0 bytes/workgroup (compile time only)
; SGPRBlocks: 0
; VGPRBlocks: 0
; NumSGPRsForWavesPerEU: 4
; NumVGPRsForWavesPerEU: 1
; Occupancy: 10
; WaveLimiterHint : 0
; COMPUTE_PGM_RSRC2:SCRATCH_EN: 0
; COMPUTE_PGM_RSRC2:USER_SGPR: 6
; COMPUTE_PGM_RSRC2:TRAP_HANDLER: 0
; COMPUTE_PGM_RSRC2:TGID_X_EN: 1
; COMPUTE_PGM_RSRC2:TGID_Y_EN: 0
; COMPUTE_PGM_RSRC2:TGID_Z_EN: 0
; COMPUTE_PGM_RSRC2:TIDIG_COMP_CNT: 0
	.section	.text._ZL23rocblas_dot_kernel_inc1ILb0ELi512ELi4ELb1EfPKPKffEviT4_llS4_lliPT5_PT3_,"axG",@progbits,_ZL23rocblas_dot_kernel_inc1ILb0ELi512ELi4ELb1EfPKPKffEviT4_llS4_lliPT5_PT3_,comdat
	.globl	_ZL23rocblas_dot_kernel_inc1ILb0ELi512ELi4ELb1EfPKPKffEviT4_llS4_lliPT5_PT3_ ; -- Begin function _ZL23rocblas_dot_kernel_inc1ILb0ELi512ELi4ELb1EfPKPKffEviT4_llS4_lliPT5_PT3_
	.p2align	8
	.type	_ZL23rocblas_dot_kernel_inc1ILb0ELi512ELi4ELb1EfPKPKffEviT4_llS4_lliPT5_PT3_,@function
_ZL23rocblas_dot_kernel_inc1ILb0ELi512ELi4ELb1EfPKPKffEviT4_llS4_lliPT5_PT3_: ; @_ZL23rocblas_dot_kernel_inc1ILb0ELi512ELi4ELb1EfPKPKffEviT4_llS4_lliPT5_PT3_
; %bb.0:
	s_mov_b32 s2, s7
	s_load_dword s18, s[4:5], 0x50
	s_load_dword s7, s[4:5], 0x0
	s_load_dwordx4 s[8:11], s[4:5], 0x40
	v_lshl_or_b32 v3, s6, 9, v0
	s_mov_b32 s3, 0
	v_mov_b32_e32 v5, 0
	s_waitcnt lgkmcnt(0)
	v_cmp_gt_i32_e32 vcc, s7, v3
	s_and_saveexec_b64 s[12:13], vcc
	s_cbranch_execz .LBB229_4
; %bb.1:
	s_load_dwordx4 s[20:23], s[4:5], 0x8
	s_load_dwordx4 s[24:27], s[4:5], 0x20
	s_lshl_b64 s[0:1], s[2:3], 3
	v_ashrrev_i32_e32 v4, 31, v3
	v_lshlrev_b64 v[1:2], 2, v[3:4]
	s_waitcnt lgkmcnt(0)
	s_add_u32 s4, s20, s0
	s_addc_u32 s5, s21, s1
	s_load_dwordx2 s[4:5], s[4:5], 0x0
	s_lshl_b64 s[14:15], s[22:23], 2
	v_mov_b32_e32 v5, 0
	s_waitcnt lgkmcnt(0)
	s_add_u32 s19, s4, s14
	s_addc_u32 s14, s5, s15
	s_add_u32 s0, s24, s0
	s_addc_u32 s1, s25, s1
	s_load_dwordx2 s[0:1], s[0:1], 0x0
	v_mov_b32_e32 v4, s14
	s_lshl_b64 s[14:15], s[26:27], 2
	s_mov_b64 s[4:5], 0
	s_waitcnt lgkmcnt(0)
	s_add_u32 s20, s0, s14
	s_addc_u32 s0, s1, s15
	s_lshl_b32 s14, s18, 9
	s_ashr_i32 s15, s14, 31
	s_lshl_b64 s[16:17], s[14:15], 2
	v_add_u32_e32 v3, s14, v3
	v_mov_b32_e32 v6, s0
	v_mov_b32_e32 v7, s17
	s_mov_b32 s15, s3
.LBB229_2:                              ; =>This Inner Loop Header: Depth=1
	v_add_co_u32_e32 v8, vcc, s20, v1
	v_addc_co_u32_e32 v9, vcc, v6, v2, vcc
	v_add_co_u32_e32 v10, vcc, s19, v1
	v_addc_co_u32_e32 v11, vcc, v4, v2, vcc
	flat_load_dword v12, v[8:9]
	flat_load_dword v13, v[10:11]
	s_add_i32 s17, s15, 1
	v_add_co_u32_e64 v1, s[0:1], s16, v1
	v_addc_co_u32_e64 v2, s[0:1], v2, v7, s[0:1]
	s_cmp_gt_u32 s15, 2
	v_cmp_le_i32_e32 vcc, s7, v3
	s_cselect_b64 s[0:1], -1, 0
	s_or_b64 s[0:1], s[0:1], vcc
	s_and_b64 s[0:1], exec, s[0:1]
	v_add_u32_e32 v3, s14, v3
	s_mov_b32 s15, s17
	s_or_b64 s[4:5], s[0:1], s[4:5]
	s_waitcnt vmcnt(0) lgkmcnt(0)
	v_fmac_f32_e32 v5, v12, v13
	s_andn2_b64 exec, exec, s[4:5]
	s_cbranch_execnz .LBB229_2
; %bb.3:
	s_or_b64 exec, exec, s[4:5]
.LBB229_4:
	s_or_b64 exec, exec, s[12:13]
	v_and_b32_e32 v2, 63, v0
	v_cmp_gt_u32_e32 vcc, 64, v0
	v_lshlrev_b32_e32 v1, 2, v2
	s_and_saveexec_b64 s[0:1], vcc
; %bb.5:
	v_mov_b32_e32 v3, 0
	ds_write_b32 v1, v3
; %bb.6:
	s_or_b64 exec, exec, s[0:1]
	v_mbcnt_lo_u32_b32 v3, -1, 0
	v_mbcnt_hi_u32_b32 v6, -1, v3
	v_mov_b32_e32 v3, 0x80
	v_lshl_or_b32 v3, v6, 2, v3
	ds_bpermute_b32 v3, v3, v5
	v_and_b32_e32 v7, 63, v6
	v_cmp_gt_u32_e64 s[0:1], 48, v7
	v_cndmask_b32_e64 v4, 0, 16, s[0:1]
	v_add_lshl_u32 v4, v4, v6, 2
	s_waitcnt lgkmcnt(0)
	v_add_f32_e32 v3, v5, v3
	ds_bpermute_b32 v4, v4, v3
	v_cmp_gt_u32_e64 s[0:1], 56, v7
	v_cndmask_b32_e64 v5, 0, 8, s[0:1]
	v_add_lshl_u32 v5, v5, v6, 2
	v_cmp_gt_u32_e64 s[0:1], 60, v7
	s_waitcnt lgkmcnt(0)
	v_add_f32_e32 v4, v3, v4
	ds_bpermute_b32 v5, v5, v4
	v_cndmask_b32_e64 v3, 0, 4, s[0:1]
	v_add_lshl_u32 v3, v3, v6, 2
	v_cmp_gt_u32_e64 s[0:1], 62, v7
	s_waitcnt lgkmcnt(0)
	v_add_f32_e32 v5, v4, v5
	ds_bpermute_b32 v8, v3, v5
	v_cndmask_b32_e64 v4, 0, 2, s[0:1]
	v_add_lshl_u32 v4, v4, v6, 2
	v_cmp_ne_u32_e64 s[0:1], 63, v7
	v_addc_co_u32_e64 v7, s[0:1], 0, v6, s[0:1]
	s_waitcnt lgkmcnt(0)
	v_add_f32_e32 v5, v5, v8
	ds_bpermute_b32 v8, v4, v5
	v_cmp_eq_u32_e64 s[0:1], 0, v2
	s_waitcnt lgkmcnt(0)
	s_barrier
	v_add_f32_e32 v6, v5, v8
	v_lshlrev_b32_e32 v5, 2, v7
	ds_bpermute_b32 v7, v5, v6
	s_and_saveexec_b64 s[4:5], s[0:1]
	s_cbranch_execz .LBB229_8
; %bb.7:
	s_waitcnt lgkmcnt(0)
	v_add_f32_e32 v2, v6, v7
	v_lshrrev_b32_e32 v6, 4, v0
	v_and_b32_e32 v6, 28, v6
	ds_write_b32 v6, v2
.LBB229_8:
	s_or_b64 exec, exec, s[4:5]
	v_cmp_gt_u32_e64 s[0:1], 8, v0
	v_mov_b32_e32 v2, 0
	s_waitcnt lgkmcnt(0)
	s_barrier
	s_and_saveexec_b64 s[4:5], s[0:1]
	s_cbranch_execnz .LBB229_12
; %bb.9:
	s_or_b64 exec, exec, s[4:5]
	s_and_saveexec_b64 s[0:1], vcc
	s_cbranch_execnz .LBB229_13
.LBB229_10:
	s_or_b64 exec, exec, s[0:1]
	v_cmp_eq_u32_e32 vcc, 0, v0
	s_and_saveexec_b64 s[0:1], vcc
	s_cbranch_execnz .LBB229_14
.LBB229_11:
	s_endpgm
.LBB229_12:
	ds_read_b32 v2, v1
	s_or_b64 exec, exec, s[4:5]
	s_and_saveexec_b64 s[0:1], vcc
	s_cbranch_execz .LBB229_10
.LBB229_13:
	s_waitcnt lgkmcnt(0)
	ds_bpermute_b32 v1, v3, v2
	s_waitcnt lgkmcnt(0)
	v_add_f32_e32 v1, v2, v1
	ds_bpermute_b32 v2, v4, v1
	s_waitcnt lgkmcnt(0)
	v_add_f32_e32 v1, v1, v2
	ds_bpermute_b32 v2, v5, v1
	s_waitcnt lgkmcnt(0)
	v_add_f32_e32 v2, v1, v2
	s_or_b64 exec, exec, s[0:1]
	v_cmp_eq_u32_e32 vcc, 0, v0
	s_and_saveexec_b64 s[0:1], vcc
	s_cbranch_execz .LBB229_11
.LBB229_14:
	s_cmp_lg_u32 s18, 1
	s_mov_b64 s[0:1], -1
	s_cbranch_scc0 .LBB229_16
; %bb.15:
	s_mul_hi_u32 s1, s18, s2
	s_mul_i32 s0, s18, s2
	s_lshl_b64 s[0:1], s[0:1], 2
	s_mov_b32 s7, 0
	s_add_u32 s4, s8, s0
	s_addc_u32 s5, s9, s1
	s_lshl_b64 s[0:1], s[6:7], 2
	s_add_u32 s0, s4, s0
	s_addc_u32 s1, s5, s1
	v_mov_b32_e32 v0, 0
	s_waitcnt lgkmcnt(0)
	global_store_dword v0, v2, s[0:1]
	s_mov_b64 s[0:1], 0
.LBB229_16:
	s_andn2_b64 vcc, exec, s[0:1]
	s_cbranch_vccnz .LBB229_11
; %bb.17:
	s_lshl_b64 s[0:1], s[2:3], 2
	s_add_u32 s0, s10, s0
	s_addc_u32 s1, s11, s1
	v_mov_b32_e32 v0, 0
	s_waitcnt lgkmcnt(0)
	global_store_dword v0, v2, s[0:1]
	s_endpgm
	.section	.rodata,"a",@progbits
	.p2align	6, 0x0
	.amdhsa_kernel _ZL23rocblas_dot_kernel_inc1ILb0ELi512ELi4ELb1EfPKPKffEviT4_llS4_lliPT5_PT3_
		.amdhsa_group_segment_fixed_size 256
		.amdhsa_private_segment_fixed_size 0
		.amdhsa_kernarg_size 336
		.amdhsa_user_sgpr_count 6
		.amdhsa_user_sgpr_private_segment_buffer 1
		.amdhsa_user_sgpr_dispatch_ptr 0
		.amdhsa_user_sgpr_queue_ptr 0
		.amdhsa_user_sgpr_kernarg_segment_ptr 1
		.amdhsa_user_sgpr_dispatch_id 0
		.amdhsa_user_sgpr_flat_scratch_init 0
		.amdhsa_user_sgpr_private_segment_size 0
		.amdhsa_uses_dynamic_stack 0
		.amdhsa_system_sgpr_private_segment_wavefront_offset 0
		.amdhsa_system_sgpr_workgroup_id_x 1
		.amdhsa_system_sgpr_workgroup_id_y 0
		.amdhsa_system_sgpr_workgroup_id_z 1
		.amdhsa_system_sgpr_workgroup_info 0
		.amdhsa_system_vgpr_workitem_id 0
		.amdhsa_next_free_vgpr 14
		.amdhsa_next_free_sgpr 28
		.amdhsa_reserve_vcc 1
		.amdhsa_reserve_flat_scratch 0
		.amdhsa_float_round_mode_32 0
		.amdhsa_float_round_mode_16_64 0
		.amdhsa_float_denorm_mode_32 3
		.amdhsa_float_denorm_mode_16_64 3
		.amdhsa_dx10_clamp 1
		.amdhsa_ieee_mode 1
		.amdhsa_fp16_overflow 0
		.amdhsa_exception_fp_ieee_invalid_op 0
		.amdhsa_exception_fp_denorm_src 0
		.amdhsa_exception_fp_ieee_div_zero 0
		.amdhsa_exception_fp_ieee_overflow 0
		.amdhsa_exception_fp_ieee_underflow 0
		.amdhsa_exception_fp_ieee_inexact 0
		.amdhsa_exception_int_div_zero 0
	.end_amdhsa_kernel
	.section	.text._ZL23rocblas_dot_kernel_inc1ILb0ELi512ELi4ELb1EfPKPKffEviT4_llS4_lliPT5_PT3_,"axG",@progbits,_ZL23rocblas_dot_kernel_inc1ILb0ELi512ELi4ELb1EfPKPKffEviT4_llS4_lliPT5_PT3_,comdat
.Lfunc_end229:
	.size	_ZL23rocblas_dot_kernel_inc1ILb0ELi512ELi4ELb1EfPKPKffEviT4_llS4_lliPT5_PT3_, .Lfunc_end229-_ZL23rocblas_dot_kernel_inc1ILb0ELi512ELi4ELb1EfPKPKffEviT4_llS4_lliPT5_PT3_
                                        ; -- End function
	.set _ZL23rocblas_dot_kernel_inc1ILb0ELi512ELi4ELb1EfPKPKffEviT4_llS4_lliPT5_PT3_.num_vgpr, 14
	.set _ZL23rocblas_dot_kernel_inc1ILb0ELi512ELi4ELb1EfPKPKffEviT4_llS4_lliPT5_PT3_.num_agpr, 0
	.set _ZL23rocblas_dot_kernel_inc1ILb0ELi512ELi4ELb1EfPKPKffEviT4_llS4_lliPT5_PT3_.numbered_sgpr, 28
	.set _ZL23rocblas_dot_kernel_inc1ILb0ELi512ELi4ELb1EfPKPKffEviT4_llS4_lliPT5_PT3_.num_named_barrier, 0
	.set _ZL23rocblas_dot_kernel_inc1ILb0ELi512ELi4ELb1EfPKPKffEviT4_llS4_lliPT5_PT3_.private_seg_size, 0
	.set _ZL23rocblas_dot_kernel_inc1ILb0ELi512ELi4ELb1EfPKPKffEviT4_llS4_lliPT5_PT3_.uses_vcc, 1
	.set _ZL23rocblas_dot_kernel_inc1ILb0ELi512ELi4ELb1EfPKPKffEviT4_llS4_lliPT5_PT3_.uses_flat_scratch, 0
	.set _ZL23rocblas_dot_kernel_inc1ILb0ELi512ELi4ELb1EfPKPKffEviT4_llS4_lliPT5_PT3_.has_dyn_sized_stack, 0
	.set _ZL23rocblas_dot_kernel_inc1ILb0ELi512ELi4ELb1EfPKPKffEviT4_llS4_lliPT5_PT3_.has_recursion, 0
	.set _ZL23rocblas_dot_kernel_inc1ILb0ELi512ELi4ELb1EfPKPKffEviT4_llS4_lliPT5_PT3_.has_indirect_call, 0
	.section	.AMDGPU.csdata,"",@progbits
; Kernel info:
; codeLenInByte = 884
; TotalNumSgprs: 32
; NumVgprs: 14
; ScratchSize: 0
; MemoryBound: 0
; FloatMode: 240
; IeeeMode: 1
; LDSByteSize: 256 bytes/workgroup (compile time only)
; SGPRBlocks: 3
; VGPRBlocks: 3
; NumSGPRsForWavesPerEU: 32
; NumVGPRsForWavesPerEU: 14
; Occupancy: 10
; WaveLimiterHint : 1
; COMPUTE_PGM_RSRC2:SCRATCH_EN: 0
; COMPUTE_PGM_RSRC2:USER_SGPR: 6
; COMPUTE_PGM_RSRC2:TRAP_HANDLER: 0
; COMPUTE_PGM_RSRC2:TGID_X_EN: 1
; COMPUTE_PGM_RSRC2:TGID_Y_EN: 0
; COMPUTE_PGM_RSRC2:TGID_Z_EN: 1
; COMPUTE_PGM_RSRC2:TIDIG_COMP_CNT: 0
	.section	.text._ZL18rocblas_dot_kernelIiLb0ELi512ELi4ELb1EfPKPKffEviT5_lT_lS4_lS5_liPT6_PT4_,"axG",@progbits,_ZL18rocblas_dot_kernelIiLb0ELi512ELi4ELb1EfPKPKffEviT5_lT_lS4_lS5_liPT6_PT4_,comdat
	.globl	_ZL18rocblas_dot_kernelIiLb0ELi512ELi4ELb1EfPKPKffEviT5_lT_lS4_lS5_liPT6_PT4_ ; -- Begin function _ZL18rocblas_dot_kernelIiLb0ELi512ELi4ELb1EfPKPKffEviT5_lT_lS4_lS5_liPT6_PT4_
	.p2align	8
	.type	_ZL18rocblas_dot_kernelIiLb0ELi512ELi4ELb1EfPKPKffEviT5_lT_lS4_lS5_liPT6_PT4_,@function
_ZL18rocblas_dot_kernelIiLb0ELi512ELi4ELb1EfPKPKffEviT5_lT_lS4_lS5_liPT6_PT4_: ; @_ZL18rocblas_dot_kernelIiLb0ELi512ELi4ELb1EfPKPKffEviT5_lT_lS4_lS5_liPT6_PT4_
; %bb.0:
	s_mov_b32 s2, s7
	s_load_dword s18, s[4:5], 0x60
	s_load_dword s7, s[4:5], 0x0
	s_load_dwordx4 s[8:11], s[4:5], 0x50
	v_lshl_or_b32 v3, s6, 9, v0
	s_mov_b32 s3, 0
	v_mov_b32_e32 v5, 0
	s_waitcnt lgkmcnt(0)
	v_cmp_gt_i32_e32 vcc, s7, v3
	s_and_saveexec_b64 s[12:13], vcc
	s_cbranch_execz .LBB230_4
; %bb.1:
	s_load_dwordx4 s[20:23], s[4:5], 0x8
	s_load_dword s16, s[4:5], 0x18
	s_load_dwordx4 s[24:27], s[4:5], 0x28
	s_load_dword s17, s[4:5], 0x38
	s_lshl_b64 s[0:1], s[2:3], 3
	s_waitcnt lgkmcnt(0)
	s_add_u32 s4, s20, s0
	s_addc_u32 s5, s21, s1
	s_load_dwordx2 s[4:5], s[4:5], 0x0
	v_mad_i64_i32 v[1:2], s[14:15], s16, v3, 0
	s_add_u32 s0, s24, s0
	s_addc_u32 s1, s25, s1
	s_lshl_b32 s19, s18, 9
	s_lshl_b64 s[14:15], s[22:23], 2
	v_lshlrev_b64 v[1:2], 2, v[1:2]
	s_waitcnt lgkmcnt(0)
	s_add_u32 s4, s4, s14
	s_addc_u32 s5, s5, s15
	s_load_dwordx2 s[0:1], s[0:1], 0x0
	v_mov_b32_e32 v4, s5
	v_add_co_u32_e32 v1, vcc, s4, v1
	v_add_u32_e32 v6, s19, v3
	v_addc_co_u32_e32 v2, vcc, v4, v2, vcc
	v_mad_i64_i32 v[3:4], s[4:5], s17, v3, 0
	s_mul_hi_i32 s5, s16, s19
	s_mul_i32 s4, s16, s19
	s_lshl_b64 s[4:5], s[4:5], 2
	s_lshl_b64 s[14:15], s[26:27], 2
	v_lshlrev_b64 v[3:4], 2, v[3:4]
	s_waitcnt lgkmcnt(0)
	s_add_u32 s0, s0, s14
	s_addc_u32 s1, s1, s15
	v_mov_b32_e32 v5, s1
	v_add_co_u32_e32 v3, vcc, s0, v3
	s_mul_hi_i32 s1, s17, s19
	s_mul_i32 s0, s17, s19
	s_lshl_b64 s[14:15], s[0:1], 2
	v_addc_co_u32_e32 v4, vcc, v5, v4, vcc
	v_mov_b32_e32 v5, 0
	s_mov_b64 s[16:17], 0
	v_mov_b32_e32 v7, s5
	v_mov_b32_e32 v8, s15
	s_mov_b32 s5, s3
.LBB230_2:                              ; =>This Inner Loop Header: Depth=1
	flat_load_dword v9, v[3:4]
	flat_load_dword v10, v[1:2]
	v_add_co_u32_e64 v1, s[0:1], s4, v1
	v_addc_co_u32_e64 v2, s[0:1], v2, v7, s[0:1]
	s_add_i32 s15, s5, 1
	v_add_co_u32_e64 v3, s[0:1], s14, v3
	v_addc_co_u32_e64 v4, s[0:1], v4, v8, s[0:1]
	s_cmp_gt_u32 s5, 2
	v_cmp_le_i32_e32 vcc, s7, v6
	s_cselect_b64 s[0:1], -1, 0
	s_or_b64 s[0:1], s[0:1], vcc
	s_and_b64 s[0:1], exec, s[0:1]
	v_add_u32_e32 v6, s19, v6
	s_mov_b32 s5, s15
	s_or_b64 s[16:17], s[0:1], s[16:17]
	s_waitcnt vmcnt(0) lgkmcnt(0)
	v_fmac_f32_e32 v5, v9, v10
	s_andn2_b64 exec, exec, s[16:17]
	s_cbranch_execnz .LBB230_2
; %bb.3:
	s_or_b64 exec, exec, s[16:17]
.LBB230_4:
	s_or_b64 exec, exec, s[12:13]
	v_and_b32_e32 v2, 63, v0
	v_cmp_gt_u32_e32 vcc, 64, v0
	v_lshlrev_b32_e32 v1, 2, v2
	s_and_saveexec_b64 s[0:1], vcc
; %bb.5:
	v_mov_b32_e32 v3, 0
	ds_write_b32 v1, v3
; %bb.6:
	s_or_b64 exec, exec, s[0:1]
	v_mbcnt_lo_u32_b32 v3, -1, 0
	v_mbcnt_hi_u32_b32 v6, -1, v3
	v_mov_b32_e32 v3, 0x80
	v_lshl_or_b32 v3, v6, 2, v3
	ds_bpermute_b32 v3, v3, v5
	v_and_b32_e32 v7, 63, v6
	v_cmp_gt_u32_e64 s[0:1], 48, v7
	v_cndmask_b32_e64 v4, 0, 16, s[0:1]
	v_add_lshl_u32 v4, v4, v6, 2
	s_waitcnt lgkmcnt(0)
	v_add_f32_e32 v3, v5, v3
	ds_bpermute_b32 v4, v4, v3
	v_cmp_gt_u32_e64 s[0:1], 56, v7
	v_cndmask_b32_e64 v5, 0, 8, s[0:1]
	v_add_lshl_u32 v5, v5, v6, 2
	v_cmp_gt_u32_e64 s[0:1], 60, v7
	s_waitcnt lgkmcnt(0)
	v_add_f32_e32 v4, v3, v4
	ds_bpermute_b32 v5, v5, v4
	v_cndmask_b32_e64 v3, 0, 4, s[0:1]
	v_add_lshl_u32 v3, v3, v6, 2
	v_cmp_gt_u32_e64 s[0:1], 62, v7
	s_waitcnt lgkmcnt(0)
	v_add_f32_e32 v5, v4, v5
	ds_bpermute_b32 v8, v3, v5
	v_cndmask_b32_e64 v4, 0, 2, s[0:1]
	v_add_lshl_u32 v4, v4, v6, 2
	v_cmp_ne_u32_e64 s[0:1], 63, v7
	v_addc_co_u32_e64 v7, s[0:1], 0, v6, s[0:1]
	s_waitcnt lgkmcnt(0)
	v_add_f32_e32 v5, v5, v8
	ds_bpermute_b32 v8, v4, v5
	v_cmp_eq_u32_e64 s[0:1], 0, v2
	s_waitcnt lgkmcnt(0)
	s_barrier
	v_add_f32_e32 v6, v5, v8
	v_lshlrev_b32_e32 v5, 2, v7
	ds_bpermute_b32 v7, v5, v6
	s_and_saveexec_b64 s[4:5], s[0:1]
	s_cbranch_execz .LBB230_8
; %bb.7:
	s_waitcnt lgkmcnt(0)
	v_add_f32_e32 v2, v6, v7
	v_lshrrev_b32_e32 v6, 4, v0
	v_and_b32_e32 v6, 28, v6
	ds_write_b32 v6, v2
.LBB230_8:
	s_or_b64 exec, exec, s[4:5]
	v_cmp_gt_u32_e64 s[0:1], 8, v0
	v_mov_b32_e32 v2, 0
	s_waitcnt lgkmcnt(0)
	s_barrier
	s_and_saveexec_b64 s[4:5], s[0:1]
	s_cbranch_execnz .LBB230_12
; %bb.9:
	s_or_b64 exec, exec, s[4:5]
	s_and_saveexec_b64 s[0:1], vcc
	s_cbranch_execnz .LBB230_13
.LBB230_10:
	s_or_b64 exec, exec, s[0:1]
	v_cmp_eq_u32_e32 vcc, 0, v0
	s_and_saveexec_b64 s[0:1], vcc
	s_cbranch_execnz .LBB230_14
.LBB230_11:
	s_endpgm
.LBB230_12:
	ds_read_b32 v2, v1
	s_or_b64 exec, exec, s[4:5]
	s_and_saveexec_b64 s[0:1], vcc
	s_cbranch_execz .LBB230_10
.LBB230_13:
	s_waitcnt lgkmcnt(0)
	ds_bpermute_b32 v1, v3, v2
	s_waitcnt lgkmcnt(0)
	v_add_f32_e32 v1, v2, v1
	ds_bpermute_b32 v2, v4, v1
	s_waitcnt lgkmcnt(0)
	v_add_f32_e32 v1, v1, v2
	;; [unrolled: 3-line block ×3, first 2 shown]
	s_or_b64 exec, exec, s[0:1]
	v_cmp_eq_u32_e32 vcc, 0, v0
	s_and_saveexec_b64 s[0:1], vcc
	s_cbranch_execz .LBB230_11
.LBB230_14:
	s_cmp_lg_u32 s18, 1
	s_mov_b64 s[0:1], -1
	s_cbranch_scc0 .LBB230_16
; %bb.15:
	s_mul_hi_u32 s1, s18, s2
	s_mul_i32 s0, s18, s2
	s_lshl_b64 s[0:1], s[0:1], 2
	s_mov_b32 s7, 0
	s_add_u32 s4, s8, s0
	s_addc_u32 s5, s9, s1
	s_lshl_b64 s[0:1], s[6:7], 2
	s_add_u32 s0, s4, s0
	s_addc_u32 s1, s5, s1
	v_mov_b32_e32 v0, 0
	s_waitcnt lgkmcnt(0)
	global_store_dword v0, v2, s[0:1]
	s_mov_b64 s[0:1], 0
.LBB230_16:
	s_andn2_b64 vcc, exec, s[0:1]
	s_cbranch_vccnz .LBB230_11
; %bb.17:
	s_lshl_b64 s[0:1], s[2:3], 2
	s_add_u32 s0, s10, s0
	s_addc_u32 s1, s11, s1
	v_mov_b32_e32 v0, 0
	s_waitcnt lgkmcnt(0)
	global_store_dword v0, v2, s[0:1]
	s_endpgm
	.section	.rodata,"a",@progbits
	.p2align	6, 0x0
	.amdhsa_kernel _ZL18rocblas_dot_kernelIiLb0ELi512ELi4ELb1EfPKPKffEviT5_lT_lS4_lS5_liPT6_PT4_
		.amdhsa_group_segment_fixed_size 256
		.amdhsa_private_segment_fixed_size 0
		.amdhsa_kernarg_size 352
		.amdhsa_user_sgpr_count 6
		.amdhsa_user_sgpr_private_segment_buffer 1
		.amdhsa_user_sgpr_dispatch_ptr 0
		.amdhsa_user_sgpr_queue_ptr 0
		.amdhsa_user_sgpr_kernarg_segment_ptr 1
		.amdhsa_user_sgpr_dispatch_id 0
		.amdhsa_user_sgpr_flat_scratch_init 0
		.amdhsa_user_sgpr_private_segment_size 0
		.amdhsa_uses_dynamic_stack 0
		.amdhsa_system_sgpr_private_segment_wavefront_offset 0
		.amdhsa_system_sgpr_workgroup_id_x 1
		.amdhsa_system_sgpr_workgroup_id_y 0
		.amdhsa_system_sgpr_workgroup_id_z 1
		.amdhsa_system_sgpr_workgroup_info 0
		.amdhsa_system_vgpr_workitem_id 0
		.amdhsa_next_free_vgpr 11
		.amdhsa_next_free_sgpr 28
		.amdhsa_reserve_vcc 1
		.amdhsa_reserve_flat_scratch 0
		.amdhsa_float_round_mode_32 0
		.amdhsa_float_round_mode_16_64 0
		.amdhsa_float_denorm_mode_32 3
		.amdhsa_float_denorm_mode_16_64 3
		.amdhsa_dx10_clamp 1
		.amdhsa_ieee_mode 1
		.amdhsa_fp16_overflow 0
		.amdhsa_exception_fp_ieee_invalid_op 0
		.amdhsa_exception_fp_denorm_src 0
		.amdhsa_exception_fp_ieee_div_zero 0
		.amdhsa_exception_fp_ieee_overflow 0
		.amdhsa_exception_fp_ieee_underflow 0
		.amdhsa_exception_fp_ieee_inexact 0
		.amdhsa_exception_int_div_zero 0
	.end_amdhsa_kernel
	.section	.text._ZL18rocblas_dot_kernelIiLb0ELi512ELi4ELb1EfPKPKffEviT5_lT_lS4_lS5_liPT6_PT4_,"axG",@progbits,_ZL18rocblas_dot_kernelIiLb0ELi512ELi4ELb1EfPKPKffEviT5_lT_lS4_lS5_liPT6_PT4_,comdat
.Lfunc_end230:
	.size	_ZL18rocblas_dot_kernelIiLb0ELi512ELi4ELb1EfPKPKffEviT5_lT_lS4_lS5_liPT6_PT4_, .Lfunc_end230-_ZL18rocblas_dot_kernelIiLb0ELi512ELi4ELb1EfPKPKffEviT5_lT_lS4_lS5_liPT6_PT4_
                                        ; -- End function
	.set _ZL18rocblas_dot_kernelIiLb0ELi512ELi4ELb1EfPKPKffEviT5_lT_lS4_lS5_liPT6_PT4_.num_vgpr, 11
	.set _ZL18rocblas_dot_kernelIiLb0ELi512ELi4ELb1EfPKPKffEviT5_lT_lS4_lS5_liPT6_PT4_.num_agpr, 0
	.set _ZL18rocblas_dot_kernelIiLb0ELi512ELi4ELb1EfPKPKffEviT5_lT_lS4_lS5_liPT6_PT4_.numbered_sgpr, 28
	.set _ZL18rocblas_dot_kernelIiLb0ELi512ELi4ELb1EfPKPKffEviT5_lT_lS4_lS5_liPT6_PT4_.num_named_barrier, 0
	.set _ZL18rocblas_dot_kernelIiLb0ELi512ELi4ELb1EfPKPKffEviT5_lT_lS4_lS5_liPT6_PT4_.private_seg_size, 0
	.set _ZL18rocblas_dot_kernelIiLb0ELi512ELi4ELb1EfPKPKffEviT5_lT_lS4_lS5_liPT6_PT4_.uses_vcc, 1
	.set _ZL18rocblas_dot_kernelIiLb0ELi512ELi4ELb1EfPKPKffEviT5_lT_lS4_lS5_liPT6_PT4_.uses_flat_scratch, 0
	.set _ZL18rocblas_dot_kernelIiLb0ELi512ELi4ELb1EfPKPKffEviT5_lT_lS4_lS5_liPT6_PT4_.has_dyn_sized_stack, 0
	.set _ZL18rocblas_dot_kernelIiLb0ELi512ELi4ELb1EfPKPKffEviT5_lT_lS4_lS5_liPT6_PT4_.has_recursion, 0
	.set _ZL18rocblas_dot_kernelIiLb0ELi512ELi4ELb1EfPKPKffEviT5_lT_lS4_lS5_liPT6_PT4_.has_indirect_call, 0
	.section	.AMDGPU.csdata,"",@progbits
; Kernel info:
; codeLenInByte = 956
; TotalNumSgprs: 32
; NumVgprs: 11
; ScratchSize: 0
; MemoryBound: 0
; FloatMode: 240
; IeeeMode: 1
; LDSByteSize: 256 bytes/workgroup (compile time only)
; SGPRBlocks: 3
; VGPRBlocks: 2
; NumSGPRsForWavesPerEU: 32
; NumVGPRsForWavesPerEU: 11
; Occupancy: 10
; WaveLimiterHint : 0
; COMPUTE_PGM_RSRC2:SCRATCH_EN: 0
; COMPUTE_PGM_RSRC2:USER_SGPR: 6
; COMPUTE_PGM_RSRC2:TRAP_HANDLER: 0
; COMPUTE_PGM_RSRC2:TGID_X_EN: 1
; COMPUTE_PGM_RSRC2:TGID_Y_EN: 0
; COMPUTE_PGM_RSRC2:TGID_Z_EN: 1
; COMPUTE_PGM_RSRC2:TIDIG_COMP_CNT: 0
	.section	.text._ZL24rocblas_dot_kernel_magsqIiLb0ELi512ELi4ELb1EfPKPKffEviT5_lT_liPT6_PT4_,"axG",@progbits,_ZL24rocblas_dot_kernel_magsqIiLb0ELi512ELi4ELb1EfPKPKffEviT5_lT_liPT6_PT4_,comdat
	.globl	_ZL24rocblas_dot_kernel_magsqIiLb0ELi512ELi4ELb1EfPKPKffEviT5_lT_liPT6_PT4_ ; -- Begin function _ZL24rocblas_dot_kernel_magsqIiLb0ELi512ELi4ELb1EfPKPKffEviT5_lT_liPT6_PT4_
	.p2align	8
	.type	_ZL24rocblas_dot_kernel_magsqIiLb0ELi512ELi4ELb1EfPKPKffEviT5_lT_liPT6_PT4_,@function
_ZL24rocblas_dot_kernel_magsqIiLb0ELi512ELi4ELb1EfPKPKffEviT5_lT_liPT6_PT4_: ; @_ZL24rocblas_dot_kernel_magsqIiLb0ELi512ELi4ELb1EfPKPKffEviT5_lT_liPT6_PT4_
; %bb.0:
	s_mov_b32 s2, s7
	s_load_dword s7, s[4:5], 0x0
	s_load_dwordx4 s[8:11], s[4:5], 0x30
	s_load_dword s16, s[4:5], 0x40
	v_lshl_or_b32 v1, s6, 9, v0
	s_mov_b32 s3, 0
	s_waitcnt lgkmcnt(0)
	v_cmp_gt_i32_e32 vcc, s7, v1
	v_mov_b32_e32 v3, 0
	s_and_saveexec_b64 s[12:13], vcc
	s_cbranch_execz .LBB231_4
; %bb.1:
	s_load_dwordx4 s[20:23], s[4:5], 0x8
	s_load_dword s14, s[4:5], 0x18
	s_lshl_b64 s[0:1], s[2:3], 3
	s_waitcnt lgkmcnt(0)
	s_add_u32 s0, s20, s0
	s_addc_u32 s1, s21, s1
	s_load_dwordx2 s[0:1], s[0:1], 0x0
	v_mad_i64_i32 v[2:3], s[4:5], s14, v1, 0
	s_lshl_b32 s17, s16, 9
	s_lshl_b64 s[4:5], s[22:23], 2
	v_add_u32_e32 v4, s17, v1
	v_lshlrev_b64 v[1:2], 2, v[2:3]
	s_waitcnt lgkmcnt(0)
	s_add_u32 s0, s0, s4
	s_addc_u32 s1, s1, s5
	v_mov_b32_e32 v3, s1
	v_add_co_u32_e32 v1, vcc, s0, v1
	s_mul_hi_i32 s1, s14, s17
	s_mul_i32 s0, s14, s17
	s_lshl_b64 s[4:5], s[0:1], 2
	v_addc_co_u32_e32 v2, vcc, v3, v2, vcc
	v_mov_b32_e32 v3, 0
	s_mov_b64 s[14:15], 0
	v_mov_b32_e32 v5, s5
	s_mov_b32 s5, s3
.LBB231_2:                              ; =>This Inner Loop Header: Depth=1
	flat_load_dword v6, v[1:2]
	s_add_i32 s18, s5, 1
	v_add_co_u32_e64 v1, s[0:1], s4, v1
	v_addc_co_u32_e64 v2, s[0:1], v2, v5, s[0:1]
	s_cmp_gt_u32 s5, 2
	v_cmp_le_i32_e32 vcc, s7, v4
	s_cselect_b64 s[0:1], -1, 0
	s_or_b64 s[0:1], s[0:1], vcc
	s_and_b64 s[0:1], exec, s[0:1]
	v_add_u32_e32 v4, s17, v4
	s_mov_b32 s5, s18
	s_or_b64 s[14:15], s[0:1], s[14:15]
	s_waitcnt vmcnt(0) lgkmcnt(0)
	v_fmac_f32_e32 v3, v6, v6
	s_andn2_b64 exec, exec, s[14:15]
	s_cbranch_execnz .LBB231_2
; %bb.3:
	s_or_b64 exec, exec, s[14:15]
.LBB231_4:
	s_or_b64 exec, exec, s[12:13]
	v_and_b32_e32 v2, 63, v0
	v_cmp_gt_u32_e32 vcc, 64, v0
	v_lshlrev_b32_e32 v1, 2, v2
	s_and_saveexec_b64 s[0:1], vcc
; %bb.5:
	v_mov_b32_e32 v4, 0
	ds_write_b32 v1, v4
; %bb.6:
	s_or_b64 exec, exec, s[0:1]
	v_mbcnt_lo_u32_b32 v4, -1, 0
	v_mbcnt_hi_u32_b32 v5, -1, v4
	v_mov_b32_e32 v4, 0x80
	v_lshl_or_b32 v4, v5, 2, v4
	ds_bpermute_b32 v4, v4, v3
	v_and_b32_e32 v6, 63, v5
	v_cmp_gt_u32_e64 s[0:1], 48, v6
	v_cndmask_b32_e64 v7, 0, 16, s[0:1]
	v_cmp_gt_u32_e64 s[0:1], 56, v6
	s_waitcnt lgkmcnt(0)
	v_add_f32_e32 v3, v3, v4
	v_add_lshl_u32 v4, v7, v5, 2
	ds_bpermute_b32 v4, v4, v3
	v_cndmask_b32_e64 v7, 0, 8, s[0:1]
	v_add_lshl_u32 v7, v7, v5, 2
	v_cmp_gt_u32_e64 s[0:1], 60, v6
	s_waitcnt lgkmcnt(0)
	v_add_f32_e32 v4, v3, v4
	ds_bpermute_b32 v7, v7, v4
	v_cndmask_b32_e64 v3, 0, 4, s[0:1]
	v_add_lshl_u32 v3, v3, v5, 2
	v_cmp_gt_u32_e64 s[0:1], 62, v6
	s_waitcnt lgkmcnt(0)
	s_barrier
	v_add_f32_e32 v7, v4, v7
	ds_bpermute_b32 v8, v3, v7
	v_cndmask_b32_e64 v4, 0, 2, s[0:1]
	v_add_lshl_u32 v4, v4, v5, 2
	v_cmp_ne_u32_e64 s[0:1], 63, v6
	v_addc_co_u32_e64 v5, s[0:1], 0, v5, s[0:1]
	s_waitcnt lgkmcnt(0)
	v_add_f32_e32 v7, v7, v8
	ds_bpermute_b32 v8, v4, v7
	v_lshlrev_b32_e32 v5, 2, v5
	v_cmp_eq_u32_e64 s[0:1], 0, v2
	s_waitcnt lgkmcnt(0)
	v_add_f32_e32 v6, v7, v8
	ds_bpermute_b32 v7, v5, v6
	s_and_saveexec_b64 s[4:5], s[0:1]
	s_cbranch_execz .LBB231_8
; %bb.7:
	s_waitcnt lgkmcnt(0)
	v_add_f32_e32 v2, v6, v7
	v_lshrrev_b32_e32 v6, 4, v0
	v_and_b32_e32 v6, 28, v6
	ds_write_b32 v6, v2
.LBB231_8:
	s_or_b64 exec, exec, s[4:5]
	v_cmp_gt_u32_e64 s[0:1], 8, v0
	v_mov_b32_e32 v2, 0
	s_waitcnt lgkmcnt(0)
	s_barrier
	s_and_saveexec_b64 s[4:5], s[0:1]
	s_cbranch_execnz .LBB231_12
; %bb.9:
	s_or_b64 exec, exec, s[4:5]
	s_and_saveexec_b64 s[0:1], vcc
	s_cbranch_execnz .LBB231_13
.LBB231_10:
	s_or_b64 exec, exec, s[0:1]
	v_cmp_eq_u32_e32 vcc, 0, v0
	s_and_saveexec_b64 s[0:1], vcc
	s_cbranch_execnz .LBB231_14
.LBB231_11:
	s_endpgm
.LBB231_12:
	ds_read_b32 v2, v1
	s_or_b64 exec, exec, s[4:5]
	s_and_saveexec_b64 s[0:1], vcc
	s_cbranch_execz .LBB231_10
.LBB231_13:
	s_waitcnt lgkmcnt(0)
	ds_bpermute_b32 v1, v3, v2
	s_waitcnt lgkmcnt(0)
	v_add_f32_e32 v1, v2, v1
	ds_bpermute_b32 v2, v4, v1
	s_waitcnt lgkmcnt(0)
	v_add_f32_e32 v1, v1, v2
	;; [unrolled: 3-line block ×3, first 2 shown]
	s_or_b64 exec, exec, s[0:1]
	v_cmp_eq_u32_e32 vcc, 0, v0
	s_and_saveexec_b64 s[0:1], vcc
	s_cbranch_execz .LBB231_11
.LBB231_14:
	s_cmp_lg_u32 s16, 1
	s_mov_b64 s[0:1], -1
	s_cbranch_scc0 .LBB231_16
; %bb.15:
	s_mul_hi_u32 s1, s16, s2
	s_mul_i32 s0, s16, s2
	s_lshl_b64 s[0:1], s[0:1], 2
	s_mov_b32 s7, 0
	s_add_u32 s4, s8, s0
	s_addc_u32 s5, s9, s1
	s_lshl_b64 s[0:1], s[6:7], 2
	s_add_u32 s0, s4, s0
	s_addc_u32 s1, s5, s1
	v_mov_b32_e32 v0, 0
	s_waitcnt lgkmcnt(0)
	global_store_dword v0, v2, s[0:1]
	s_mov_b64 s[0:1], 0
.LBB231_16:
	s_andn2_b64 vcc, exec, s[0:1]
	s_cbranch_vccnz .LBB231_11
; %bb.17:
	s_lshl_b64 s[0:1], s[2:3], 2
	s_add_u32 s0, s10, s0
	s_addc_u32 s1, s11, s1
	v_mov_b32_e32 v0, 0
	s_waitcnt lgkmcnt(0)
	global_store_dword v0, v2, s[0:1]
	s_endpgm
	.section	.rodata,"a",@progbits
	.p2align	6, 0x0
	.amdhsa_kernel _ZL24rocblas_dot_kernel_magsqIiLb0ELi512ELi4ELb1EfPKPKffEviT5_lT_liPT6_PT4_
		.amdhsa_group_segment_fixed_size 256
		.amdhsa_private_segment_fixed_size 0
		.amdhsa_kernarg_size 320
		.amdhsa_user_sgpr_count 6
		.amdhsa_user_sgpr_private_segment_buffer 1
		.amdhsa_user_sgpr_dispatch_ptr 0
		.amdhsa_user_sgpr_queue_ptr 0
		.amdhsa_user_sgpr_kernarg_segment_ptr 1
		.amdhsa_user_sgpr_dispatch_id 0
		.amdhsa_user_sgpr_flat_scratch_init 0
		.amdhsa_user_sgpr_private_segment_size 0
		.amdhsa_uses_dynamic_stack 0
		.amdhsa_system_sgpr_private_segment_wavefront_offset 0
		.amdhsa_system_sgpr_workgroup_id_x 1
		.amdhsa_system_sgpr_workgroup_id_y 0
		.amdhsa_system_sgpr_workgroup_id_z 1
		.amdhsa_system_sgpr_workgroup_info 0
		.amdhsa_system_vgpr_workitem_id 0
		.amdhsa_next_free_vgpr 9
		.amdhsa_next_free_sgpr 24
		.amdhsa_reserve_vcc 1
		.amdhsa_reserve_flat_scratch 0
		.amdhsa_float_round_mode_32 0
		.amdhsa_float_round_mode_16_64 0
		.amdhsa_float_denorm_mode_32 3
		.amdhsa_float_denorm_mode_16_64 3
		.amdhsa_dx10_clamp 1
		.amdhsa_ieee_mode 1
		.amdhsa_fp16_overflow 0
		.amdhsa_exception_fp_ieee_invalid_op 0
		.amdhsa_exception_fp_denorm_src 0
		.amdhsa_exception_fp_ieee_div_zero 0
		.amdhsa_exception_fp_ieee_overflow 0
		.amdhsa_exception_fp_ieee_underflow 0
		.amdhsa_exception_fp_ieee_inexact 0
		.amdhsa_exception_int_div_zero 0
	.end_amdhsa_kernel
	.section	.text._ZL24rocblas_dot_kernel_magsqIiLb0ELi512ELi4ELb1EfPKPKffEviT5_lT_liPT6_PT4_,"axG",@progbits,_ZL24rocblas_dot_kernel_magsqIiLb0ELi512ELi4ELb1EfPKPKffEviT5_lT_liPT6_PT4_,comdat
.Lfunc_end231:
	.size	_ZL24rocblas_dot_kernel_magsqIiLb0ELi512ELi4ELb1EfPKPKffEviT5_lT_liPT6_PT4_, .Lfunc_end231-_ZL24rocblas_dot_kernel_magsqIiLb0ELi512ELi4ELb1EfPKPKffEviT5_lT_liPT6_PT4_
                                        ; -- End function
	.set _ZL24rocblas_dot_kernel_magsqIiLb0ELi512ELi4ELb1EfPKPKffEviT5_lT_liPT6_PT4_.num_vgpr, 9
	.set _ZL24rocblas_dot_kernel_magsqIiLb0ELi512ELi4ELb1EfPKPKffEviT5_lT_liPT6_PT4_.num_agpr, 0
	.set _ZL24rocblas_dot_kernel_magsqIiLb0ELi512ELi4ELb1EfPKPKffEviT5_lT_liPT6_PT4_.numbered_sgpr, 24
	.set _ZL24rocblas_dot_kernel_magsqIiLb0ELi512ELi4ELb1EfPKPKffEviT5_lT_liPT6_PT4_.num_named_barrier, 0
	.set _ZL24rocblas_dot_kernel_magsqIiLb0ELi512ELi4ELb1EfPKPKffEviT5_lT_liPT6_PT4_.private_seg_size, 0
	.set _ZL24rocblas_dot_kernel_magsqIiLb0ELi512ELi4ELb1EfPKPKffEviT5_lT_liPT6_PT4_.uses_vcc, 1
	.set _ZL24rocblas_dot_kernel_magsqIiLb0ELi512ELi4ELb1EfPKPKffEviT5_lT_liPT6_PT4_.uses_flat_scratch, 0
	.set _ZL24rocblas_dot_kernel_magsqIiLb0ELi512ELi4ELb1EfPKPKffEviT5_lT_liPT6_PT4_.has_dyn_sized_stack, 0
	.set _ZL24rocblas_dot_kernel_magsqIiLb0ELi512ELi4ELb1EfPKPKffEviT5_lT_liPT6_PT4_.has_recursion, 0
	.set _ZL24rocblas_dot_kernel_magsqIiLb0ELi512ELi4ELb1EfPKPKffEviT5_lT_liPT6_PT4_.has_indirect_call, 0
	.section	.AMDGPU.csdata,"",@progbits
; Kernel info:
; codeLenInByte = 840
; TotalNumSgprs: 28
; NumVgprs: 9
; ScratchSize: 0
; MemoryBound: 0
; FloatMode: 240
; IeeeMode: 1
; LDSByteSize: 256 bytes/workgroup (compile time only)
; SGPRBlocks: 3
; VGPRBlocks: 2
; NumSGPRsForWavesPerEU: 28
; NumVGPRsForWavesPerEU: 9
; Occupancy: 10
; WaveLimiterHint : 0
; COMPUTE_PGM_RSRC2:SCRATCH_EN: 0
; COMPUTE_PGM_RSRC2:USER_SGPR: 6
; COMPUTE_PGM_RSRC2:TRAP_HANDLER: 0
; COMPUTE_PGM_RSRC2:TGID_X_EN: 1
; COMPUTE_PGM_RSRC2:TGID_Y_EN: 0
; COMPUTE_PGM_RSRC2:TGID_Z_EN: 1
; COMPUTE_PGM_RSRC2:TIDIG_COMP_CNT: 0
	.section	.text._ZL28rocblas_dot_batched_4_kernelIiLi32ELi4ELb1EdfPKdEviT5_lT_lS2_lS3_liPT4_,"axG",@progbits,_ZL28rocblas_dot_batched_4_kernelIiLi32ELi4ELb1EdfPKdEviT5_lT_lS2_lS3_liPT4_,comdat
	.globl	_ZL28rocblas_dot_batched_4_kernelIiLi32ELi4ELb1EdfPKdEviT5_lT_lS2_lS3_liPT4_ ; -- Begin function _ZL28rocblas_dot_batched_4_kernelIiLi32ELi4ELb1EdfPKdEviT5_lT_lS2_lS3_liPT4_
	.p2align	8
	.type	_ZL28rocblas_dot_batched_4_kernelIiLi32ELi4ELb1EdfPKdEviT5_lT_lS2_lS3_liPT4_,@function
_ZL28rocblas_dot_batched_4_kernelIiLi32ELi4ELb1EdfPKdEviT5_lT_lS2_lS3_liPT4_: ; @_ZL28rocblas_dot_batched_4_kernelIiLi32ELi4ELb1EdfPKdEviT5_lT_lS2_lS3_liPT4_
; %bb.0:
	s_load_dword s0, s[4:5], 0x48
	v_lshl_add_u32 v1, s6, 2, v1
	s_waitcnt lgkmcnt(0)
	v_cmp_gt_u32_e32 vcc, s0, v1
	s_and_saveexec_b64 s[0:1], vcc
	s_cbranch_execz .LBB232_7
; %bb.1:
	s_load_dword s12, s[4:5], 0x0
	s_load_dwordx2 s[6:7], s[4:5], 0x50
	v_mov_b32_e32 v3, 0
	v_mov_b32_e32 v2, 0
	;; [unrolled: 1-line block ×3, first 2 shown]
	s_waitcnt lgkmcnt(0)
	v_cmp_gt_i32_e32 vcc, s12, v0
	s_and_saveexec_b64 s[8:9], vcc
	s_cbranch_execz .LBB232_5
; %bb.2:
	s_load_dwordx4 s[0:3], s[4:5], 0x20
	s_load_dwordx4 s[16:19], s[4:5], 0x8
	s_load_dword s10, s[4:5], 0x18
	s_load_dwordx2 s[14:15], s[4:5], 0x30
	s_waitcnt lgkmcnt(0)
	v_mad_u64_u32 v[3:4], s[20:21], s0, v1, 0
	s_load_dword s0, s[4:5], 0x38
	s_load_dwordx2 s[20:21], s[4:5], 0x40
	v_mad_i64_i32 v[5:6], s[4:5], s10, v0, 0
	s_ashr_i32 s11, s10, 31
	v_mad_u64_u32 v[7:8], s[4:5], s1, v1, v[4:5]
	v_lshlrev_b64 v[5:6], 3, v[5:6]
	s_waitcnt lgkmcnt(0)
	s_ashr_i32 s1, s0, 31
	v_mov_b32_e32 v4, v7
	v_lshlrev_b64 v[3:4], 3, v[3:4]
	s_lshl_b64 s[4:5], s[18:19], 3
	v_add_co_u32_e32 v9, vcc, v5, v3
	s_add_u32 s13, s16, s4
	v_addc_co_u32_e32 v6, vcc, v6, v4, vcc
	s_addc_u32 s16, s17, s5
	v_mad_u64_u32 v[3:4], s[4:5], s20, v1, 0
	v_mad_i64_i32 v[7:8], s[4:5], s0, v0, 0
	v_mad_u64_u32 v[4:5], s[4:5], s21, v1, v[4:5]
	v_mov_b32_e32 v10, s16
	v_add_co_u32_e32 v5, vcc, s13, v9
	v_lshlrev_b64 v[7:8], 3, v[7:8]
	v_lshlrev_b64 v[3:4], 3, v[3:4]
	v_addc_co_u32_e32 v6, vcc, v10, v6, vcc
	s_lshl_b64 s[4:5], s[10:11], 8
	s_lshl_b64 s[10:11], s[14:15], 3
	v_add_co_u32_e32 v3, vcc, v7, v3
	s_add_u32 s2, s2, s10
	v_addc_co_u32_e32 v4, vcc, v8, v4, vcc
	s_addc_u32 s3, s3, s11
	v_mov_b32_e32 v8, s3
	v_add_co_u32_e32 v7, vcc, s2, v3
	v_addc_co_u32_e32 v8, vcc, v8, v4, vcc
	v_mov_b32_e32 v3, 0
	s_lshl_b64 s[2:3], s[0:1], 8
	v_mov_b32_e32 v4, 0
	s_mov_b64 s[10:11], 0
	v_mov_b32_e32 v9, v0
.LBB232_3:                              ; =>This Inner Loop Header: Depth=1
	global_load_dwordx2 v[10:11], v[5:6], off
	global_load_dwordx2 v[12:13], v[7:8], off
	v_mov_b32_e32 v14, s5
	v_add_co_u32_e64 v5, s[0:1], s4, v5
	v_add_u32_e32 v9, 32, v9
	v_addc_co_u32_e64 v6, s[0:1], v6, v14, s[0:1]
	v_mov_b32_e32 v15, s3
	v_add_co_u32_e32 v7, vcc, s2, v7
	v_cmp_le_i32_e64 s[0:1], s12, v9
	s_or_b64 s[10:11], s[0:1], s[10:11]
	v_addc_co_u32_e32 v8, vcc, v8, v15, vcc
	s_waitcnt vmcnt(0)
	v_fma_f64 v[3:4], v[10:11], v[12:13], v[3:4]
	s_andn2_b64 exec, exec, s[10:11]
	s_cbranch_execnz .LBB232_3
; %bb.4:
	s_or_b64 exec, exec, s[10:11]
.LBB232_5:
	s_or_b64 exec, exec, s[8:9]
	v_mbcnt_lo_u32_b32 v5, -1, 0
	v_mbcnt_hi_u32_b32 v7, -1, v5
	v_and_b32_e32 v8, 63, v7
	v_cmp_gt_u32_e32 vcc, 48, v8
	v_cndmask_b32_e64 v5, 0, 16, vcc
	v_add_lshl_u32 v6, v5, v7, 2
	ds_bpermute_b32 v5, v6, v3
	ds_bpermute_b32 v6, v6, v4
	v_cmp_gt_u32_e32 vcc, 56, v8
	s_waitcnt lgkmcnt(0)
	s_barrier
	v_add_f64 v[3:4], v[3:4], v[5:6]
	v_cndmask_b32_e64 v5, 0, 8, vcc
	v_add_lshl_u32 v6, v5, v7, 2
	v_cmp_gt_u32_e32 vcc, 60, v8
	ds_bpermute_b32 v5, v6, v3
	ds_bpermute_b32 v6, v6, v4
	s_waitcnt lgkmcnt(0)
	v_add_f64 v[3:4], v[3:4], v[5:6]
	v_cndmask_b32_e64 v5, 0, 4, vcc
	v_add_lshl_u32 v6, v5, v7, 2
	v_cmp_gt_u32_e32 vcc, 62, v8
	ds_bpermute_b32 v5, v6, v3
	ds_bpermute_b32 v6, v6, v4
	s_waitcnt lgkmcnt(0)
	v_add_f64 v[3:4], v[3:4], v[5:6]
	v_cndmask_b32_e64 v5, 0, 2, vcc
	v_add_lshl_u32 v6, v5, v7, 2
	v_cmp_ne_u32_e32 vcc, 63, v8
	ds_bpermute_b32 v5, v6, v3
	ds_bpermute_b32 v6, v6, v4
	s_waitcnt lgkmcnt(0)
	v_add_f64 v[3:4], v[3:4], v[5:6]
	v_addc_co_u32_e32 v5, vcc, 0, v7, vcc
	v_lshlrev_b32_e32 v6, 2, v5
	v_cmp_eq_u32_e32 vcc, 0, v0
	ds_bpermute_b32 v5, v6, v3
	ds_bpermute_b32 v6, v6, v4
	s_and_b64 exec, exec, vcc
	s_cbranch_execz .LBB232_7
; %bb.6:
	s_waitcnt lgkmcnt(0)
	v_add_f64 v[3:4], v[3:4], v[5:6]
	v_lshlrev_b64 v[0:1], 2, v[1:2]
	v_mov_b32_e32 v2, s7
	v_add_co_u32_e32 v0, vcc, s6, v0
	v_addc_co_u32_e32 v1, vcc, v2, v1, vcc
	v_cvt_f32_f64_e32 v3, v[3:4]
	global_store_dword v[0:1], v3, off
.LBB232_7:
	s_endpgm
	.section	.rodata,"a",@progbits
	.p2align	6, 0x0
	.amdhsa_kernel _ZL28rocblas_dot_batched_4_kernelIiLi32ELi4ELb1EdfPKdEviT5_lT_lS2_lS3_liPT4_
		.amdhsa_group_segment_fixed_size 0
		.amdhsa_private_segment_fixed_size 0
		.amdhsa_kernarg_size 88
		.amdhsa_user_sgpr_count 6
		.amdhsa_user_sgpr_private_segment_buffer 1
		.amdhsa_user_sgpr_dispatch_ptr 0
		.amdhsa_user_sgpr_queue_ptr 0
		.amdhsa_user_sgpr_kernarg_segment_ptr 1
		.amdhsa_user_sgpr_dispatch_id 0
		.amdhsa_user_sgpr_flat_scratch_init 0
		.amdhsa_user_sgpr_private_segment_size 0
		.amdhsa_uses_dynamic_stack 0
		.amdhsa_system_sgpr_private_segment_wavefront_offset 0
		.amdhsa_system_sgpr_workgroup_id_x 1
		.amdhsa_system_sgpr_workgroup_id_y 0
		.amdhsa_system_sgpr_workgroup_id_z 0
		.amdhsa_system_sgpr_workgroup_info 0
		.amdhsa_system_vgpr_workitem_id 1
		.amdhsa_next_free_vgpr 16
		.amdhsa_next_free_sgpr 22
		.amdhsa_reserve_vcc 1
		.amdhsa_reserve_flat_scratch 0
		.amdhsa_float_round_mode_32 0
		.amdhsa_float_round_mode_16_64 0
		.amdhsa_float_denorm_mode_32 3
		.amdhsa_float_denorm_mode_16_64 3
		.amdhsa_dx10_clamp 1
		.amdhsa_ieee_mode 1
		.amdhsa_fp16_overflow 0
		.amdhsa_exception_fp_ieee_invalid_op 0
		.amdhsa_exception_fp_denorm_src 0
		.amdhsa_exception_fp_ieee_div_zero 0
		.amdhsa_exception_fp_ieee_overflow 0
		.amdhsa_exception_fp_ieee_underflow 0
		.amdhsa_exception_fp_ieee_inexact 0
		.amdhsa_exception_int_div_zero 0
	.end_amdhsa_kernel
	.section	.text._ZL28rocblas_dot_batched_4_kernelIiLi32ELi4ELb1EdfPKdEviT5_lT_lS2_lS3_liPT4_,"axG",@progbits,_ZL28rocblas_dot_batched_4_kernelIiLi32ELi4ELb1EdfPKdEviT5_lT_lS2_lS3_liPT4_,comdat
.Lfunc_end232:
	.size	_ZL28rocblas_dot_batched_4_kernelIiLi32ELi4ELb1EdfPKdEviT5_lT_lS2_lS3_liPT4_, .Lfunc_end232-_ZL28rocblas_dot_batched_4_kernelIiLi32ELi4ELb1EdfPKdEviT5_lT_lS2_lS3_liPT4_
                                        ; -- End function
	.set _ZL28rocblas_dot_batched_4_kernelIiLi32ELi4ELb1EdfPKdEviT5_lT_lS2_lS3_liPT4_.num_vgpr, 16
	.set _ZL28rocblas_dot_batched_4_kernelIiLi32ELi4ELb1EdfPKdEviT5_lT_lS2_lS3_liPT4_.num_agpr, 0
	.set _ZL28rocblas_dot_batched_4_kernelIiLi32ELi4ELb1EdfPKdEviT5_lT_lS2_lS3_liPT4_.numbered_sgpr, 22
	.set _ZL28rocblas_dot_batched_4_kernelIiLi32ELi4ELb1EdfPKdEviT5_lT_lS2_lS3_liPT4_.num_named_barrier, 0
	.set _ZL28rocblas_dot_batched_4_kernelIiLi32ELi4ELb1EdfPKdEviT5_lT_lS2_lS3_liPT4_.private_seg_size, 0
	.set _ZL28rocblas_dot_batched_4_kernelIiLi32ELi4ELb1EdfPKdEviT5_lT_lS2_lS3_liPT4_.uses_vcc, 1
	.set _ZL28rocblas_dot_batched_4_kernelIiLi32ELi4ELb1EdfPKdEviT5_lT_lS2_lS3_liPT4_.uses_flat_scratch, 0
	.set _ZL28rocblas_dot_batched_4_kernelIiLi32ELi4ELb1EdfPKdEviT5_lT_lS2_lS3_liPT4_.has_dyn_sized_stack, 0
	.set _ZL28rocblas_dot_batched_4_kernelIiLi32ELi4ELb1EdfPKdEviT5_lT_lS2_lS3_liPT4_.has_recursion, 0
	.set _ZL28rocblas_dot_batched_4_kernelIiLi32ELi4ELb1EdfPKdEviT5_lT_lS2_lS3_liPT4_.has_indirect_call, 0
	.section	.AMDGPU.csdata,"",@progbits
; Kernel info:
; codeLenInByte = 708
; TotalNumSgprs: 26
; NumVgprs: 16
; ScratchSize: 0
; MemoryBound: 0
; FloatMode: 240
; IeeeMode: 1
; LDSByteSize: 0 bytes/workgroup (compile time only)
; SGPRBlocks: 3
; VGPRBlocks: 3
; NumSGPRsForWavesPerEU: 26
; NumVGPRsForWavesPerEU: 16
; Occupancy: 10
; WaveLimiterHint : 0
; COMPUTE_PGM_RSRC2:SCRATCH_EN: 0
; COMPUTE_PGM_RSRC2:USER_SGPR: 6
; COMPUTE_PGM_RSRC2:TRAP_HANDLER: 0
; COMPUTE_PGM_RSRC2:TGID_X_EN: 1
; COMPUTE_PGM_RSRC2:TGID_Y_EN: 0
; COMPUTE_PGM_RSRC2:TGID_Z_EN: 0
; COMPUTE_PGM_RSRC2:TIDIG_COMP_CNT: 1
	.section	.text._ZL28rocblas_dot_batched_4_kernelIiLi64ELi4ELb1EdfPKdEviT5_lT_lS2_lS3_liPT4_,"axG",@progbits,_ZL28rocblas_dot_batched_4_kernelIiLi64ELi4ELb1EdfPKdEviT5_lT_lS2_lS3_liPT4_,comdat
	.globl	_ZL28rocblas_dot_batched_4_kernelIiLi64ELi4ELb1EdfPKdEviT5_lT_lS2_lS3_liPT4_ ; -- Begin function _ZL28rocblas_dot_batched_4_kernelIiLi64ELi4ELb1EdfPKdEviT5_lT_lS2_lS3_liPT4_
	.p2align	8
	.type	_ZL28rocblas_dot_batched_4_kernelIiLi64ELi4ELb1EdfPKdEviT5_lT_lS2_lS3_liPT4_,@function
_ZL28rocblas_dot_batched_4_kernelIiLi64ELi4ELb1EdfPKdEviT5_lT_lS2_lS3_liPT4_: ; @_ZL28rocblas_dot_batched_4_kernelIiLi64ELi4ELb1EdfPKdEviT5_lT_lS2_lS3_liPT4_
; %bb.0:
	s_load_dword s0, s[4:5], 0x48
	v_lshl_add_u32 v1, s6, 2, v1
	s_waitcnt lgkmcnt(0)
	v_cmp_gt_u32_e32 vcc, s0, v1
	s_and_saveexec_b64 s[0:1], vcc
	s_cbranch_execz .LBB233_7
; %bb.1:
	s_load_dword s12, s[4:5], 0x0
	s_load_dwordx2 s[6:7], s[4:5], 0x50
	v_mov_b32_e32 v3, 0
	v_mov_b32_e32 v2, 0
	;; [unrolled: 1-line block ×3, first 2 shown]
	s_waitcnt lgkmcnt(0)
	v_cmp_gt_i32_e32 vcc, s12, v0
	s_and_saveexec_b64 s[8:9], vcc
	s_cbranch_execz .LBB233_5
; %bb.2:
	s_load_dwordx4 s[0:3], s[4:5], 0x20
	s_load_dwordx4 s[16:19], s[4:5], 0x8
	s_load_dword s10, s[4:5], 0x18
	s_load_dwordx2 s[14:15], s[4:5], 0x30
	s_waitcnt lgkmcnt(0)
	v_mad_u64_u32 v[3:4], s[20:21], s0, v1, 0
	s_load_dword s0, s[4:5], 0x38
	s_load_dwordx2 s[20:21], s[4:5], 0x40
	v_mad_i64_i32 v[5:6], s[4:5], s10, v0, 0
	s_ashr_i32 s11, s10, 31
	v_mad_u64_u32 v[7:8], s[4:5], s1, v1, v[4:5]
	v_lshlrev_b64 v[5:6], 3, v[5:6]
	s_waitcnt lgkmcnt(0)
	s_ashr_i32 s1, s0, 31
	v_mov_b32_e32 v4, v7
	v_lshlrev_b64 v[3:4], 3, v[3:4]
	s_lshl_b64 s[4:5], s[18:19], 3
	v_add_co_u32_e32 v9, vcc, v5, v3
	s_add_u32 s13, s16, s4
	v_addc_co_u32_e32 v6, vcc, v6, v4, vcc
	s_addc_u32 s16, s17, s5
	v_mad_u64_u32 v[3:4], s[4:5], s20, v1, 0
	v_mad_i64_i32 v[7:8], s[4:5], s0, v0, 0
	v_mad_u64_u32 v[4:5], s[4:5], s21, v1, v[4:5]
	v_mov_b32_e32 v10, s16
	v_add_co_u32_e32 v5, vcc, s13, v9
	v_lshlrev_b64 v[7:8], 3, v[7:8]
	v_lshlrev_b64 v[3:4], 3, v[3:4]
	v_addc_co_u32_e32 v6, vcc, v10, v6, vcc
	s_lshl_b64 s[4:5], s[10:11], 9
	s_lshl_b64 s[10:11], s[14:15], 3
	v_add_co_u32_e32 v3, vcc, v7, v3
	s_add_u32 s2, s2, s10
	v_addc_co_u32_e32 v4, vcc, v8, v4, vcc
	s_addc_u32 s3, s3, s11
	v_mov_b32_e32 v8, s3
	v_add_co_u32_e32 v7, vcc, s2, v3
	v_addc_co_u32_e32 v8, vcc, v8, v4, vcc
	v_mov_b32_e32 v3, 0
	s_lshl_b64 s[2:3], s[0:1], 9
	v_mov_b32_e32 v4, 0
	s_mov_b64 s[10:11], 0
	v_mov_b32_e32 v9, v0
.LBB233_3:                              ; =>This Inner Loop Header: Depth=1
	global_load_dwordx2 v[10:11], v[5:6], off
	global_load_dwordx2 v[12:13], v[7:8], off
	v_mov_b32_e32 v14, s5
	v_add_co_u32_e64 v5, s[0:1], s4, v5
	v_add_u32_e32 v9, 64, v9
	v_addc_co_u32_e64 v6, s[0:1], v6, v14, s[0:1]
	v_mov_b32_e32 v15, s3
	v_add_co_u32_e32 v7, vcc, s2, v7
	v_cmp_le_i32_e64 s[0:1], s12, v9
	s_or_b64 s[10:11], s[0:1], s[10:11]
	v_addc_co_u32_e32 v8, vcc, v8, v15, vcc
	s_waitcnt vmcnt(0)
	v_fma_f64 v[3:4], v[10:11], v[12:13], v[3:4]
	s_andn2_b64 exec, exec, s[10:11]
	s_cbranch_execnz .LBB233_3
; %bb.4:
	s_or_b64 exec, exec, s[10:11]
.LBB233_5:
	s_or_b64 exec, exec, s[8:9]
	v_mbcnt_lo_u32_b32 v5, -1, 0
	v_mbcnt_hi_u32_b32 v7, -1, v5
	v_mov_b32_e32 v5, 0x80
	v_lshl_or_b32 v6, v7, 2, v5
	ds_bpermute_b32 v5, v6, v3
	ds_bpermute_b32 v6, v6, v4
	v_and_b32_e32 v8, 63, v7
	v_cmp_gt_u32_e32 vcc, 48, v8
	s_waitcnt lgkmcnt(0)
	s_barrier
	v_add_f64 v[3:4], v[3:4], v[5:6]
	v_cndmask_b32_e64 v5, 0, 16, vcc
	v_add_lshl_u32 v6, v5, v7, 2
	v_cmp_gt_u32_e32 vcc, 56, v8
	ds_bpermute_b32 v5, v6, v3
	ds_bpermute_b32 v6, v6, v4
	s_waitcnt lgkmcnt(0)
	v_add_f64 v[3:4], v[3:4], v[5:6]
	v_cndmask_b32_e64 v5, 0, 8, vcc
	v_add_lshl_u32 v6, v5, v7, 2
	v_cmp_gt_u32_e32 vcc, 60, v8
	ds_bpermute_b32 v5, v6, v3
	ds_bpermute_b32 v6, v6, v4
	s_waitcnt lgkmcnt(0)
	;; [unrolled: 7-line block ×3, first 2 shown]
	v_add_f64 v[3:4], v[3:4], v[5:6]
	v_cndmask_b32_e64 v5, 0, 2, vcc
	v_add_lshl_u32 v6, v5, v7, 2
	v_cmp_ne_u32_e32 vcc, 63, v8
	ds_bpermute_b32 v5, v6, v3
	ds_bpermute_b32 v6, v6, v4
	s_waitcnt lgkmcnt(0)
	v_add_f64 v[3:4], v[3:4], v[5:6]
	v_addc_co_u32_e32 v5, vcc, 0, v7, vcc
	v_lshlrev_b32_e32 v6, 2, v5
	v_cmp_eq_u32_e32 vcc, 0, v0
	ds_bpermute_b32 v5, v6, v3
	ds_bpermute_b32 v6, v6, v4
	s_and_b64 exec, exec, vcc
	s_cbranch_execz .LBB233_7
; %bb.6:
	s_waitcnt lgkmcnt(0)
	v_add_f64 v[3:4], v[3:4], v[5:6]
	v_lshlrev_b64 v[0:1], 2, v[1:2]
	v_mov_b32_e32 v2, s7
	v_add_co_u32_e32 v0, vcc, s6, v0
	v_addc_co_u32_e32 v1, vcc, v2, v1, vcc
	v_cvt_f32_f64_e32 v3, v[3:4]
	global_store_dword v[0:1], v3, off
.LBB233_7:
	s_endpgm
	.section	.rodata,"a",@progbits
	.p2align	6, 0x0
	.amdhsa_kernel _ZL28rocblas_dot_batched_4_kernelIiLi64ELi4ELb1EdfPKdEviT5_lT_lS2_lS3_liPT4_
		.amdhsa_group_segment_fixed_size 0
		.amdhsa_private_segment_fixed_size 0
		.amdhsa_kernarg_size 88
		.amdhsa_user_sgpr_count 6
		.amdhsa_user_sgpr_private_segment_buffer 1
		.amdhsa_user_sgpr_dispatch_ptr 0
		.amdhsa_user_sgpr_queue_ptr 0
		.amdhsa_user_sgpr_kernarg_segment_ptr 1
		.amdhsa_user_sgpr_dispatch_id 0
		.amdhsa_user_sgpr_flat_scratch_init 0
		.amdhsa_user_sgpr_private_segment_size 0
		.amdhsa_uses_dynamic_stack 0
		.amdhsa_system_sgpr_private_segment_wavefront_offset 0
		.amdhsa_system_sgpr_workgroup_id_x 1
		.amdhsa_system_sgpr_workgroup_id_y 0
		.amdhsa_system_sgpr_workgroup_id_z 0
		.amdhsa_system_sgpr_workgroup_info 0
		.amdhsa_system_vgpr_workitem_id 1
		.amdhsa_next_free_vgpr 16
		.amdhsa_next_free_sgpr 22
		.amdhsa_reserve_vcc 1
		.amdhsa_reserve_flat_scratch 0
		.amdhsa_float_round_mode_32 0
		.amdhsa_float_round_mode_16_64 0
		.amdhsa_float_denorm_mode_32 3
		.amdhsa_float_denorm_mode_16_64 3
		.amdhsa_dx10_clamp 1
		.amdhsa_ieee_mode 1
		.amdhsa_fp16_overflow 0
		.amdhsa_exception_fp_ieee_invalid_op 0
		.amdhsa_exception_fp_denorm_src 0
		.amdhsa_exception_fp_ieee_div_zero 0
		.amdhsa_exception_fp_ieee_overflow 0
		.amdhsa_exception_fp_ieee_underflow 0
		.amdhsa_exception_fp_ieee_inexact 0
		.amdhsa_exception_int_div_zero 0
	.end_amdhsa_kernel
	.section	.text._ZL28rocblas_dot_batched_4_kernelIiLi64ELi4ELb1EdfPKdEviT5_lT_lS2_lS3_liPT4_,"axG",@progbits,_ZL28rocblas_dot_batched_4_kernelIiLi64ELi4ELb1EdfPKdEviT5_lT_lS2_lS3_liPT4_,comdat
.Lfunc_end233:
	.size	_ZL28rocblas_dot_batched_4_kernelIiLi64ELi4ELb1EdfPKdEviT5_lT_lS2_lS3_liPT4_, .Lfunc_end233-_ZL28rocblas_dot_batched_4_kernelIiLi64ELi4ELb1EdfPKdEviT5_lT_lS2_lS3_liPT4_
                                        ; -- End function
	.set _ZL28rocblas_dot_batched_4_kernelIiLi64ELi4ELb1EdfPKdEviT5_lT_lS2_lS3_liPT4_.num_vgpr, 16
	.set _ZL28rocblas_dot_batched_4_kernelIiLi64ELi4ELb1EdfPKdEviT5_lT_lS2_lS3_liPT4_.num_agpr, 0
	.set _ZL28rocblas_dot_batched_4_kernelIiLi64ELi4ELb1EdfPKdEviT5_lT_lS2_lS3_liPT4_.numbered_sgpr, 22
	.set _ZL28rocblas_dot_batched_4_kernelIiLi64ELi4ELb1EdfPKdEviT5_lT_lS2_lS3_liPT4_.num_named_barrier, 0
	.set _ZL28rocblas_dot_batched_4_kernelIiLi64ELi4ELb1EdfPKdEviT5_lT_lS2_lS3_liPT4_.private_seg_size, 0
	.set _ZL28rocblas_dot_batched_4_kernelIiLi64ELi4ELb1EdfPKdEviT5_lT_lS2_lS3_liPT4_.uses_vcc, 1
	.set _ZL28rocblas_dot_batched_4_kernelIiLi64ELi4ELb1EdfPKdEviT5_lT_lS2_lS3_liPT4_.uses_flat_scratch, 0
	.set _ZL28rocblas_dot_batched_4_kernelIiLi64ELi4ELb1EdfPKdEviT5_lT_lS2_lS3_liPT4_.has_dyn_sized_stack, 0
	.set _ZL28rocblas_dot_batched_4_kernelIiLi64ELi4ELb1EdfPKdEviT5_lT_lS2_lS3_liPT4_.has_recursion, 0
	.set _ZL28rocblas_dot_batched_4_kernelIiLi64ELi4ELb1EdfPKdEviT5_lT_lS2_lS3_liPT4_.has_indirect_call, 0
	.section	.AMDGPU.csdata,"",@progbits
; Kernel info:
; codeLenInByte = 752
; TotalNumSgprs: 26
; NumVgprs: 16
; ScratchSize: 0
; MemoryBound: 0
; FloatMode: 240
; IeeeMode: 1
; LDSByteSize: 0 bytes/workgroup (compile time only)
; SGPRBlocks: 3
; VGPRBlocks: 3
; NumSGPRsForWavesPerEU: 26
; NumVGPRsForWavesPerEU: 16
; Occupancy: 10
; WaveLimiterHint : 0
; COMPUTE_PGM_RSRC2:SCRATCH_EN: 0
; COMPUTE_PGM_RSRC2:USER_SGPR: 6
; COMPUTE_PGM_RSRC2:TRAP_HANDLER: 0
; COMPUTE_PGM_RSRC2:TGID_X_EN: 1
; COMPUTE_PGM_RSRC2:TGID_Y_EN: 0
; COMPUTE_PGM_RSRC2:TGID_Z_EN: 0
; COMPUTE_PGM_RSRC2:TIDIG_COMP_CNT: 1
	.section	.text._ZL26rocblas_dot_kernel_inc1by2ILb1ELi1024ELi32ELb1EfPKddEviT4_llS2_lliPT5_PT3_,"axG",@progbits,_ZL26rocblas_dot_kernel_inc1by2ILb1ELi1024ELi32ELb1EfPKddEviT4_llS2_lliPT5_PT3_,comdat
	.globl	_ZL26rocblas_dot_kernel_inc1by2ILb1ELi1024ELi32ELb1EfPKddEviT4_llS2_lliPT5_PT3_ ; -- Begin function _ZL26rocblas_dot_kernel_inc1by2ILb1ELi1024ELi32ELb1EfPKddEviT4_llS2_lliPT5_PT3_
	.p2align	8
	.type	_ZL26rocblas_dot_kernel_inc1by2ILb1ELi1024ELi32ELb1EfPKddEviT4_llS2_lliPT5_PT3_,@function
_ZL26rocblas_dot_kernel_inc1by2ILb1ELi1024ELi32ELb1EfPKddEviT4_llS2_lliPT5_PT3_: ; @_ZL26rocblas_dot_kernel_inc1by2ILb1ELi1024ELi32ELb1EfPKddEviT4_llS2_lliPT5_PT3_
; %bb.0:
	s_mov_b32 s2, s7
	s_load_dword s24, s[4:5], 0x0
	s_load_dwordx2 s[18:19], s[4:5], 0x8
	s_load_dwordx4 s[12:15], s[4:5], 0x10
	s_load_dwordx2 s[16:17], s[4:5], 0x20
	s_load_dwordx2 s[6:7], s[4:5], 0x48
	s_load_dwordx4 s[8:11], s[4:5], 0x28
	v_lshlrev_b32_e32 v7, 1, v0
	s_waitcnt lgkmcnt(0)
	s_mul_i32 s0, s15, s2
	s_mul_hi_u32 s1, s14, s2
	s_add_i32 s15, s1, s0
	s_mul_i32 s0, s11, s2
	s_mul_hi_u32 s1, s10, s2
	s_add_i32 s4, s24, -1
	v_mov_b32_e32 v1, 0
	s_mov_b32 s3, 0
	s_mul_i32 s14, s14, s2
	s_add_i32 s11, s1, s0
	s_mul_i32 s10, s10, s2
	v_mov_b32_e32 v2, 0
	v_cmp_gt_i32_e32 vcc, s4, v7
	s_and_saveexec_b64 s[20:21], vcc
	s_cbranch_execz .LBB234_4
; %bb.1:
	s_lshl_b64 s[0:1], s[10:11], 3
	s_lshl_b64 s[22:23], s[8:9], 3
	s_add_u32 s5, s16, s22
	s_addc_u32 s22, s17, s23
	s_add_u32 s0, s5, s0
	v_lshlrev_b32_e32 v1, 4, v0
	s_addc_u32 s1, s22, s1
	v_mov_b32_e32 v2, s1
	v_add_co_u32_e32 v3, vcc, s0, v1
	s_lshl_b64 s[0:1], s[14:15], 3
	s_lshl_b64 s[22:23], s[12:13], 3
	s_add_u32 s5, s18, s22
	v_addc_co_u32_e32 v2, vcc, 0, v2, vcc
	s_addc_u32 s22, s19, s23
	v_add_co_u32_e32 v3, vcc, 8, v3
	s_add_u32 s0, s5, s0
	v_addc_co_u32_e32 v4, vcc, 0, v2, vcc
	s_addc_u32 s1, s22, s1
	v_mov_b32_e32 v2, s1
	v_add_co_u32_e32 v1, vcc, s0, v1
	v_addc_co_u32_e32 v2, vcc, 0, v2, vcc
	v_add_co_u32_e32 v5, vcc, 8, v1
	v_addc_co_u32_e32 v6, vcc, 0, v2, vcc
	v_mov_b32_e32 v1, 0
	v_mov_b32_e32 v2, 0
	s_mov_b64 s[22:23], 0
	s_mov_b32 s5, s3
.LBB234_2:                              ; =>This Inner Loop Header: Depth=1
	global_load_dwordx4 v[8:11], v[3:4], off offset:-8
	global_load_dwordx4 v[12:15], v[5:6], off offset:-8
	s_add_i32 s25, s5, 1
	v_add_u32_e32 v7, 0x800, v7
	s_cmp_gt_u32 s5, 30
	v_add_co_u32_e32 v3, vcc, 0x4000, v3
	v_cmp_le_i32_e64 s[0:1], s4, v7
	s_cselect_b64 s[26:27], -1, 0
	v_addc_co_u32_e32 v4, vcc, 0, v4, vcc
	s_or_b64 s[0:1], s[26:27], s[0:1]
	v_add_co_u32_e32 v5, vcc, 0x4000, v5
	s_and_b64 s[0:1], exec, s[0:1]
	s_mov_b32 s5, s25
	s_or_b64 s[22:23], s[0:1], s[22:23]
	v_addc_co_u32_e32 v6, vcc, 0, v6, vcc
	s_waitcnt vmcnt(0)
	v_fma_f64 v[1:2], v[8:9], v[12:13], v[1:2]
	v_fma_f64 v[1:2], v[10:11], v[14:15], v[1:2]
	s_andn2_b64 exec, exec, s[22:23]
	s_cbranch_execnz .LBB234_2
; %bb.3:
	s_or_b64 exec, exec, s[22:23]
.LBB234_4:
	s_or_b64 exec, exec, s[20:21]
	s_bitcmp1_b32 s24, 0
	s_cselect_b64 s[0:1], -1, 0
	v_cmp_eq_u32_e32 vcc, s4, v7
	s_and_b64 s[20:21], s[0:1], vcc
	s_and_saveexec_b64 s[0:1], s[20:21]
	s_cbranch_execz .LBB234_6
; %bb.5:
	s_lshl_b64 s[14:15], s[14:15], 3
	s_add_u32 s5, s18, s14
	s_addc_u32 s14, s19, s15
	s_lshl_b64 s[12:13], s[12:13], 3
	s_add_u32 s12, s5, s12
	s_addc_u32 s13, s14, s13
	;; [unrolled: 3-line block ×3, first 2 shown]
	s_lshl_b64 s[8:9], s[8:9], 3
	s_add_u32 s11, s5, s8
	s_mov_b32 s5, 0
	s_addc_u32 s10, s10, s9
	s_lshl_b64 s[4:5], s[4:5], 3
	s_add_u32 s8, s12, s4
	s_addc_u32 s9, s13, s5
	s_add_u32 s4, s11, s4
	s_addc_u32 s5, s10, s5
	s_load_dwordx2 s[10:11], s[8:9], 0x0
	s_load_dwordx2 s[12:13], s[4:5], 0x0
	s_waitcnt lgkmcnt(0)
	v_mov_b32_e32 v3, s10
	v_mov_b32_e32 v4, s11
	v_fma_f64 v[1:2], s[12:13], v[3:4], v[1:2]
.LBB234_6:
	s_or_b64 exec, exec, s[0:1]
	v_and_b32_e32 v8, 63, v0
	v_cmp_gt_u32_e32 vcc, 64, v0
	v_lshlrev_b32_e32 v5, 3, v8
	s_and_saveexec_b64 s[0:1], vcc
; %bb.7:
	v_mov_b32_e32 v3, 0
	v_mov_b32_e32 v4, v3
	ds_write_b64 v5, v[3:4]
; %bb.8:
	s_or_b64 exec, exec, s[0:1]
	v_mbcnt_lo_u32_b32 v3, -1, 0
	v_mbcnt_hi_u32_b32 v10, -1, v3
	v_mov_b32_e32 v3, 0x80
	v_lshl_or_b32 v4, v10, 2, v3
	ds_bpermute_b32 v3, v4, v1
	ds_bpermute_b32 v4, v4, v2
	v_and_b32_e32 v11, 63, v10
	v_cmp_gt_u32_e64 s[0:1], 48, v11
	s_waitcnt lgkmcnt(0)
	s_barrier
	v_add_f64 v[1:2], v[1:2], v[3:4]
	v_cndmask_b32_e64 v3, 0, 16, s[0:1]
	v_add_lshl_u32 v4, v3, v10, 2
	v_cmp_gt_u32_e64 s[0:1], 56, v11
	ds_bpermute_b32 v3, v4, v1
	ds_bpermute_b32 v4, v4, v2
	s_waitcnt lgkmcnt(0)
	v_add_f64 v[1:2], v[1:2], v[3:4]
	v_cndmask_b32_e64 v3, 0, 8, s[0:1]
	v_add_lshl_u32 v6, v3, v10, 2
	v_cmp_gt_u32_e64 s[0:1], 60, v11
	ds_bpermute_b32 v3, v6, v1
	ds_bpermute_b32 v4, v6, v2
	s_waitcnt lgkmcnt(0)
	;; [unrolled: 7-line block ×3, first 2 shown]
	v_add_f64 v[1:2], v[1:2], v[3:4]
	v_cndmask_b32_e64 v3, 0, 2, s[0:1]
	v_add_lshl_u32 v9, v3, v10, 2
	v_cmp_ne_u32_e64 s[0:1], 63, v11
	ds_bpermute_b32 v3, v9, v1
	ds_bpermute_b32 v4, v9, v2
	s_waitcnt lgkmcnt(0)
	v_add_f64 v[1:2], v[1:2], v[3:4]
	v_addc_co_u32_e64 v3, s[0:1], 0, v10, s[0:1]
	v_lshlrev_b32_e32 v10, 2, v3
	v_cmp_eq_u32_e64 s[0:1], 0, v8
	ds_bpermute_b32 v3, v10, v1
	ds_bpermute_b32 v4, v10, v2
	s_and_saveexec_b64 s[4:5], s[0:1]
	s_cbranch_execz .LBB234_10
; %bb.9:
	s_waitcnt lgkmcnt(0)
	v_add_f64 v[1:2], v[1:2], v[3:4]
	v_lshrrev_b32_e32 v3, 3, v0
	v_and_b32_e32 v3, 0x78, v3
	ds_write_b64 v3, v[1:2]
.LBB234_10:
	s_or_b64 exec, exec, s[4:5]
	v_mov_b32_e32 v1, 0
	v_mov_b32_e32 v2, 0
	v_cmp_gt_u32_e64 s[0:1], 16, v0
	s_waitcnt lgkmcnt(0)
	s_barrier
	s_and_saveexec_b64 s[4:5], s[0:1]
	s_cbranch_execnz .LBB234_14
; %bb.11:
	s_or_b64 exec, exec, s[4:5]
	s_and_saveexec_b64 s[0:1], vcc
	s_cbranch_execnz .LBB234_15
.LBB234_12:
	s_or_b64 exec, exec, s[0:1]
	v_cmp_eq_u32_e32 vcc, 0, v0
	s_and_saveexec_b64 s[0:1], vcc
	s_cbranch_execnz .LBB234_16
.LBB234_13:
	s_endpgm
.LBB234_14:
	ds_read_b64 v[1:2], v5
	s_or_b64 exec, exec, s[4:5]
	s_and_saveexec_b64 s[0:1], vcc
	s_cbranch_execz .LBB234_12
.LBB234_15:
	s_waitcnt lgkmcnt(0)
	ds_bpermute_b32 v3, v6, v1
	ds_bpermute_b32 v4, v6, v2
	s_waitcnt lgkmcnt(0)
	v_add_f64 v[1:2], v[1:2], v[3:4]
	ds_bpermute_b32 v3, v7, v1
	ds_bpermute_b32 v4, v7, v2
	s_waitcnt lgkmcnt(0)
	v_add_f64 v[1:2], v[1:2], v[3:4]
	;; [unrolled: 4-line block ×4, first 2 shown]
	s_or_b64 exec, exec, s[0:1]
	v_cmp_eq_u32_e32 vcc, 0, v0
	s_and_saveexec_b64 s[0:1], vcc
	s_cbranch_execz .LBB234_13
.LBB234_16:
	s_waitcnt lgkmcnt(0)
	v_cvt_f32_f64_e32 v0, v[1:2]
	s_lshl_b64 s[0:1], s[2:3], 2
	s_add_u32 s0, s6, s0
	s_addc_u32 s1, s7, s1
	v_mov_b32_e32 v1, 0
	global_store_dword v1, v0, s[0:1]
	s_endpgm
	.section	.rodata,"a",@progbits
	.p2align	6, 0x0
	.amdhsa_kernel _ZL26rocblas_dot_kernel_inc1by2ILb1ELi1024ELi32ELb1EfPKddEviT4_llS2_lliPT5_PT3_
		.amdhsa_group_segment_fixed_size 512
		.amdhsa_private_segment_fixed_size 0
		.amdhsa_kernarg_size 80
		.amdhsa_user_sgpr_count 6
		.amdhsa_user_sgpr_private_segment_buffer 1
		.amdhsa_user_sgpr_dispatch_ptr 0
		.amdhsa_user_sgpr_queue_ptr 0
		.amdhsa_user_sgpr_kernarg_segment_ptr 1
		.amdhsa_user_sgpr_dispatch_id 0
		.amdhsa_user_sgpr_flat_scratch_init 0
		.amdhsa_user_sgpr_private_segment_size 0
		.amdhsa_uses_dynamic_stack 0
		.amdhsa_system_sgpr_private_segment_wavefront_offset 0
		.amdhsa_system_sgpr_workgroup_id_x 1
		.amdhsa_system_sgpr_workgroup_id_y 0
		.amdhsa_system_sgpr_workgroup_id_z 1
		.amdhsa_system_sgpr_workgroup_info 0
		.amdhsa_system_vgpr_workitem_id 0
		.amdhsa_next_free_vgpr 16
		.amdhsa_next_free_sgpr 28
		.amdhsa_reserve_vcc 1
		.amdhsa_reserve_flat_scratch 0
		.amdhsa_float_round_mode_32 0
		.amdhsa_float_round_mode_16_64 0
		.amdhsa_float_denorm_mode_32 3
		.amdhsa_float_denorm_mode_16_64 3
		.amdhsa_dx10_clamp 1
		.amdhsa_ieee_mode 1
		.amdhsa_fp16_overflow 0
		.amdhsa_exception_fp_ieee_invalid_op 0
		.amdhsa_exception_fp_denorm_src 0
		.amdhsa_exception_fp_ieee_div_zero 0
		.amdhsa_exception_fp_ieee_overflow 0
		.amdhsa_exception_fp_ieee_underflow 0
		.amdhsa_exception_fp_ieee_inexact 0
		.amdhsa_exception_int_div_zero 0
	.end_amdhsa_kernel
	.section	.text._ZL26rocblas_dot_kernel_inc1by2ILb1ELi1024ELi32ELb1EfPKddEviT4_llS2_lliPT5_PT3_,"axG",@progbits,_ZL26rocblas_dot_kernel_inc1by2ILb1ELi1024ELi32ELb1EfPKddEviT4_llS2_lliPT5_PT3_,comdat
.Lfunc_end234:
	.size	_ZL26rocblas_dot_kernel_inc1by2ILb1ELi1024ELi32ELb1EfPKddEviT4_llS2_lliPT5_PT3_, .Lfunc_end234-_ZL26rocblas_dot_kernel_inc1by2ILb1ELi1024ELi32ELb1EfPKddEviT4_llS2_lliPT5_PT3_
                                        ; -- End function
	.set _ZL26rocblas_dot_kernel_inc1by2ILb1ELi1024ELi32ELb1EfPKddEviT4_llS2_lliPT5_PT3_.num_vgpr, 16
	.set _ZL26rocblas_dot_kernel_inc1by2ILb1ELi1024ELi32ELb1EfPKddEviT4_llS2_lliPT5_PT3_.num_agpr, 0
	.set _ZL26rocblas_dot_kernel_inc1by2ILb1ELi1024ELi32ELb1EfPKddEviT4_llS2_lliPT5_PT3_.numbered_sgpr, 28
	.set _ZL26rocblas_dot_kernel_inc1by2ILb1ELi1024ELi32ELb1EfPKddEviT4_llS2_lliPT5_PT3_.num_named_barrier, 0
	.set _ZL26rocblas_dot_kernel_inc1by2ILb1ELi1024ELi32ELb1EfPKddEviT4_llS2_lliPT5_PT3_.private_seg_size, 0
	.set _ZL26rocblas_dot_kernel_inc1by2ILb1ELi1024ELi32ELb1EfPKddEviT4_llS2_lliPT5_PT3_.uses_vcc, 1
	.set _ZL26rocblas_dot_kernel_inc1by2ILb1ELi1024ELi32ELb1EfPKddEviT4_llS2_lliPT5_PT3_.uses_flat_scratch, 0
	.set _ZL26rocblas_dot_kernel_inc1by2ILb1ELi1024ELi32ELb1EfPKddEviT4_llS2_lliPT5_PT3_.has_dyn_sized_stack, 0
	.set _ZL26rocblas_dot_kernel_inc1by2ILb1ELi1024ELi32ELb1EfPKddEviT4_llS2_lliPT5_PT3_.has_recursion, 0
	.set _ZL26rocblas_dot_kernel_inc1by2ILb1ELi1024ELi32ELb1EfPKddEviT4_llS2_lliPT5_PT3_.has_indirect_call, 0
	.section	.AMDGPU.csdata,"",@progbits
; Kernel info:
; codeLenInByte = 1136
; TotalNumSgprs: 32
; NumVgprs: 16
; ScratchSize: 0
; MemoryBound: 0
; FloatMode: 240
; IeeeMode: 1
; LDSByteSize: 512 bytes/workgroup (compile time only)
; SGPRBlocks: 3
; VGPRBlocks: 3
; NumSGPRsForWavesPerEU: 32
; NumVGPRsForWavesPerEU: 16
; Occupancy: 10
; WaveLimiterHint : 0
; COMPUTE_PGM_RSRC2:SCRATCH_EN: 0
; COMPUTE_PGM_RSRC2:USER_SGPR: 6
; COMPUTE_PGM_RSRC2:TRAP_HANDLER: 0
; COMPUTE_PGM_RSRC2:TGID_X_EN: 1
; COMPUTE_PGM_RSRC2:TGID_Y_EN: 0
; COMPUTE_PGM_RSRC2:TGID_Z_EN: 1
; COMPUTE_PGM_RSRC2:TIDIG_COMP_CNT: 0
	.section	.text._ZL18rocblas_dot_kernelIiLb1ELi1024ELi32ELb1EfPKddEviT5_lT_lS2_lS3_liPT6_PT4_,"axG",@progbits,_ZL18rocblas_dot_kernelIiLb1ELi1024ELi32ELb1EfPKddEviT5_lT_lS2_lS3_liPT6_PT4_,comdat
	.globl	_ZL18rocblas_dot_kernelIiLb1ELi1024ELi32ELb1EfPKddEviT5_lT_lS2_lS3_liPT6_PT4_ ; -- Begin function _ZL18rocblas_dot_kernelIiLb1ELi1024ELi32ELb1EfPKddEviT5_lT_lS2_lS3_liPT6_PT4_
	.p2align	8
	.type	_ZL18rocblas_dot_kernelIiLb1ELi1024ELi32ELb1EfPKddEviT5_lT_lS2_lS3_liPT6_PT4_,@function
_ZL18rocblas_dot_kernelIiLb1ELi1024ELi32ELb1EfPKddEviT5_lT_lS2_lS3_liPT6_PT4_: ; @_ZL18rocblas_dot_kernelIiLb1ELi1024ELi32ELb1EfPKddEviT5_lT_lS2_lS3_liPT6_PT4_
; %bb.0:
	s_load_dword s14, s[4:5], 0x0
	s_load_dwordx2 s[8:9], s[4:5], 0x58
	v_mov_b32_e32 v1, 0
	s_mov_b32 s6, s7
	s_mov_b32 s7, 0
	v_mov_b32_e32 v2, 0
	s_waitcnt lgkmcnt(0)
	v_cmp_gt_i32_e32 vcc, s14, v0
	s_and_saveexec_b64 s[10:11], vcc
	s_cbranch_execz .LBB235_4
; %bb.1:
	s_load_dword s22, s[4:5], 0x38
	s_load_dwordx2 s[12:13], s[4:5], 0x40
	s_load_dword s15, s[4:5], 0x60
	s_load_dwordx4 s[0:3], s[4:5], 0x20
	s_load_dwordx4 s[16:19], s[4:5], 0x8
	s_load_dword s23, s[4:5], 0x18
	s_load_dwordx2 s[20:21], s[4:5], 0x30
	s_waitcnt lgkmcnt(0)
	s_lshl_b32 s15, s15, 10
	s_mul_i32 s1, s1, s6
	s_mul_hi_u32 s24, s0, s6
	v_mad_i64_i32 v[1:2], s[4:5], s23, v0, 0
	s_add_i32 s1, s24, s1
	s_mul_i32 s0, s0, s6
	s_lshl_b64 s[0:1], s[0:1], 3
	s_lshl_b64 s[4:5], s[18:19], 3
	s_add_u32 s4, s16, s4
	s_addc_u32 s5, s17, s5
	v_lshlrev_b64 v[1:2], 3, v[1:2]
	s_add_u32 s0, s4, s0
	s_addc_u32 s1, s5, s1
	v_mov_b32_e32 v4, s1
	v_add_co_u32_e32 v3, vcc, s0, v1
	s_mul_hi_i32 s1, s23, s15
	s_mul_i32 s0, s23, s15
	v_addc_co_u32_e32 v4, vcc, v4, v2, vcc
	s_lshl_b64 s[4:5], s[0:1], 3
	s_mul_i32 s13, s13, s6
	s_mul_hi_u32 s16, s12, s6
	v_mad_i64_i32 v[1:2], s[0:1], s22, v0, 0
	s_add_i32 s1, s16, s13
	s_mul_i32 s0, s12, s6
	s_lshl_b64 s[0:1], s[0:1], 3
	s_lshl_b64 s[12:13], s[20:21], 3
	s_add_u32 s2, s2, s12
	s_addc_u32 s3, s3, s13
	v_lshlrev_b64 v[1:2], 3, v[1:2]
	s_add_u32 s0, s2, s0
	s_addc_u32 s1, s3, s1
	v_mov_b32_e32 v6, s1
	v_add_co_u32_e32 v5, vcc, s0, v1
	s_mul_hi_i32 s1, s22, s15
	s_mul_i32 s0, s22, s15
	v_addc_co_u32_e32 v6, vcc, v6, v2, vcc
	s_lshl_b64 s[2:3], s[0:1], 3
	v_mov_b32_e32 v1, 0
	v_or_b32_e32 v7, s15, v0
	v_mov_b32_e32 v2, 0
	s_mov_b64 s[12:13], 0
	v_mov_b32_e32 v8, s5
	v_mov_b32_e32 v9, s3
	s_mov_b32 s3, s7
.LBB235_2:                              ; =>This Inner Loop Header: Depth=1
	global_load_dwordx2 v[10:11], v[5:6], off
	global_load_dwordx2 v[12:13], v[3:4], off
	v_add_co_u32_e64 v3, s[0:1], s4, v3
	v_addc_co_u32_e64 v4, s[0:1], v4, v8, s[0:1]
	s_add_i32 s5, s3, 1
	v_add_co_u32_e64 v5, s[0:1], s2, v5
	v_addc_co_u32_e64 v6, s[0:1], v6, v9, s[0:1]
	s_cmp_gt_u32 s3, 30
	v_cmp_le_i32_e32 vcc, s14, v7
	s_cselect_b64 s[0:1], -1, 0
	s_or_b64 s[0:1], s[0:1], vcc
	s_and_b64 s[0:1], exec, s[0:1]
	v_add_u32_e32 v7, s15, v7
	s_or_b64 s[12:13], s[0:1], s[12:13]
	s_mov_b32 s3, s5
	s_waitcnt vmcnt(0)
	v_fma_f64 v[1:2], v[10:11], v[12:13], v[1:2]
	s_andn2_b64 exec, exec, s[12:13]
	s_cbranch_execnz .LBB235_2
; %bb.3:
	s_or_b64 exec, exec, s[12:13]
.LBB235_4:
	s_or_b64 exec, exec, s[10:11]
	v_and_b32_e32 v8, 63, v0
	v_cmp_gt_u32_e32 vcc, 64, v0
	v_lshlrev_b32_e32 v5, 3, v8
	s_and_saveexec_b64 s[0:1], vcc
; %bb.5:
	v_mov_b32_e32 v3, 0
	v_mov_b32_e32 v4, v3
	ds_write_b64 v5, v[3:4]
; %bb.6:
	s_or_b64 exec, exec, s[0:1]
	v_mbcnt_lo_u32_b32 v3, -1, 0
	v_mbcnt_hi_u32_b32 v10, -1, v3
	v_mov_b32_e32 v3, 0x80
	v_lshl_or_b32 v4, v10, 2, v3
	ds_bpermute_b32 v3, v4, v1
	ds_bpermute_b32 v4, v4, v2
	v_and_b32_e32 v11, 63, v10
	v_cmp_gt_u32_e64 s[0:1], 48, v11
	s_waitcnt lgkmcnt(0)
	s_barrier
	v_add_f64 v[1:2], v[1:2], v[3:4]
	v_cndmask_b32_e64 v3, 0, 16, s[0:1]
	v_add_lshl_u32 v4, v3, v10, 2
	v_cmp_gt_u32_e64 s[0:1], 56, v11
	ds_bpermute_b32 v3, v4, v1
	ds_bpermute_b32 v4, v4, v2
	s_waitcnt lgkmcnt(0)
	v_add_f64 v[1:2], v[1:2], v[3:4]
	v_cndmask_b32_e64 v3, 0, 8, s[0:1]
	v_add_lshl_u32 v6, v3, v10, 2
	v_cmp_gt_u32_e64 s[0:1], 60, v11
	ds_bpermute_b32 v3, v6, v1
	ds_bpermute_b32 v4, v6, v2
	s_waitcnt lgkmcnt(0)
	;; [unrolled: 7-line block ×3, first 2 shown]
	v_add_f64 v[1:2], v[1:2], v[3:4]
	v_cndmask_b32_e64 v3, 0, 2, s[0:1]
	v_add_lshl_u32 v9, v3, v10, 2
	v_cmp_ne_u32_e64 s[0:1], 63, v11
	ds_bpermute_b32 v3, v9, v1
	ds_bpermute_b32 v4, v9, v2
	s_waitcnt lgkmcnt(0)
	v_add_f64 v[1:2], v[1:2], v[3:4]
	v_addc_co_u32_e64 v3, s[0:1], 0, v10, s[0:1]
	v_lshlrev_b32_e32 v10, 2, v3
	v_cmp_eq_u32_e64 s[0:1], 0, v8
	ds_bpermute_b32 v3, v10, v1
	ds_bpermute_b32 v4, v10, v2
	s_and_saveexec_b64 s[2:3], s[0:1]
	s_cbranch_execz .LBB235_8
; %bb.7:
	s_waitcnt lgkmcnt(0)
	v_add_f64 v[1:2], v[1:2], v[3:4]
	v_lshrrev_b32_e32 v3, 3, v0
	v_and_b32_e32 v3, 0x78, v3
	ds_write_b64 v3, v[1:2]
.LBB235_8:
	s_or_b64 exec, exec, s[2:3]
	v_mov_b32_e32 v1, 0
	v_mov_b32_e32 v2, 0
	v_cmp_gt_u32_e64 s[0:1], 16, v0
	s_waitcnt lgkmcnt(0)
	s_barrier
	s_and_saveexec_b64 s[2:3], s[0:1]
	s_cbranch_execnz .LBB235_12
; %bb.9:
	s_or_b64 exec, exec, s[2:3]
	s_and_saveexec_b64 s[0:1], vcc
	s_cbranch_execnz .LBB235_13
.LBB235_10:
	s_or_b64 exec, exec, s[0:1]
	v_cmp_eq_u32_e32 vcc, 0, v0
	s_and_saveexec_b64 s[0:1], vcc
	s_cbranch_execnz .LBB235_14
.LBB235_11:
	s_endpgm
.LBB235_12:
	ds_read_b64 v[1:2], v5
	s_or_b64 exec, exec, s[2:3]
	s_and_saveexec_b64 s[0:1], vcc
	s_cbranch_execz .LBB235_10
.LBB235_13:
	s_waitcnt lgkmcnt(0)
	ds_bpermute_b32 v3, v6, v1
	ds_bpermute_b32 v4, v6, v2
	s_waitcnt lgkmcnt(0)
	v_add_f64 v[1:2], v[1:2], v[3:4]
	ds_bpermute_b32 v3, v7, v1
	ds_bpermute_b32 v4, v7, v2
	s_waitcnt lgkmcnt(0)
	v_add_f64 v[1:2], v[1:2], v[3:4]
	;; [unrolled: 4-line block ×4, first 2 shown]
	s_or_b64 exec, exec, s[0:1]
	v_cmp_eq_u32_e32 vcc, 0, v0
	s_and_saveexec_b64 s[0:1], vcc
	s_cbranch_execz .LBB235_11
.LBB235_14:
	s_waitcnt lgkmcnt(0)
	v_cvt_f32_f64_e32 v0, v[1:2]
	s_lshl_b64 s[0:1], s[6:7], 2
	s_add_u32 s0, s8, s0
	s_addc_u32 s1, s9, s1
	v_mov_b32_e32 v1, 0
	global_store_dword v1, v0, s[0:1]
	s_endpgm
	.section	.rodata,"a",@progbits
	.p2align	6, 0x0
	.amdhsa_kernel _ZL18rocblas_dot_kernelIiLb1ELi1024ELi32ELb1EfPKddEviT5_lT_lS2_lS3_liPT6_PT4_
		.amdhsa_group_segment_fixed_size 512
		.amdhsa_private_segment_fixed_size 0
		.amdhsa_kernarg_size 352
		.amdhsa_user_sgpr_count 6
		.amdhsa_user_sgpr_private_segment_buffer 1
		.amdhsa_user_sgpr_dispatch_ptr 0
		.amdhsa_user_sgpr_queue_ptr 0
		.amdhsa_user_sgpr_kernarg_segment_ptr 1
		.amdhsa_user_sgpr_dispatch_id 0
		.amdhsa_user_sgpr_flat_scratch_init 0
		.amdhsa_user_sgpr_private_segment_size 0
		.amdhsa_uses_dynamic_stack 0
		.amdhsa_system_sgpr_private_segment_wavefront_offset 0
		.amdhsa_system_sgpr_workgroup_id_x 1
		.amdhsa_system_sgpr_workgroup_id_y 0
		.amdhsa_system_sgpr_workgroup_id_z 1
		.amdhsa_system_sgpr_workgroup_info 0
		.amdhsa_system_vgpr_workitem_id 0
		.amdhsa_next_free_vgpr 14
		.amdhsa_next_free_sgpr 25
		.amdhsa_reserve_vcc 1
		.amdhsa_reserve_flat_scratch 0
		.amdhsa_float_round_mode_32 0
		.amdhsa_float_round_mode_16_64 0
		.amdhsa_float_denorm_mode_32 3
		.amdhsa_float_denorm_mode_16_64 3
		.amdhsa_dx10_clamp 1
		.amdhsa_ieee_mode 1
		.amdhsa_fp16_overflow 0
		.amdhsa_exception_fp_ieee_invalid_op 0
		.amdhsa_exception_fp_denorm_src 0
		.amdhsa_exception_fp_ieee_div_zero 0
		.amdhsa_exception_fp_ieee_overflow 0
		.amdhsa_exception_fp_ieee_underflow 0
		.amdhsa_exception_fp_ieee_inexact 0
		.amdhsa_exception_int_div_zero 0
	.end_amdhsa_kernel
	.section	.text._ZL18rocblas_dot_kernelIiLb1ELi1024ELi32ELb1EfPKddEviT5_lT_lS2_lS3_liPT6_PT4_,"axG",@progbits,_ZL18rocblas_dot_kernelIiLb1ELi1024ELi32ELb1EfPKddEviT5_lT_lS2_lS3_liPT6_PT4_,comdat
.Lfunc_end235:
	.size	_ZL18rocblas_dot_kernelIiLb1ELi1024ELi32ELb1EfPKddEviT5_lT_lS2_lS3_liPT6_PT4_, .Lfunc_end235-_ZL18rocblas_dot_kernelIiLb1ELi1024ELi32ELb1EfPKddEviT5_lT_lS2_lS3_liPT6_PT4_
                                        ; -- End function
	.set _ZL18rocblas_dot_kernelIiLb1ELi1024ELi32ELb1EfPKddEviT5_lT_lS2_lS3_liPT6_PT4_.num_vgpr, 14
	.set _ZL18rocblas_dot_kernelIiLb1ELi1024ELi32ELb1EfPKddEviT5_lT_lS2_lS3_liPT6_PT4_.num_agpr, 0
	.set _ZL18rocblas_dot_kernelIiLb1ELi1024ELi32ELb1EfPKddEviT5_lT_lS2_lS3_liPT6_PT4_.numbered_sgpr, 25
	.set _ZL18rocblas_dot_kernelIiLb1ELi1024ELi32ELb1EfPKddEviT5_lT_lS2_lS3_liPT6_PT4_.num_named_barrier, 0
	.set _ZL18rocblas_dot_kernelIiLb1ELi1024ELi32ELb1EfPKddEviT5_lT_lS2_lS3_liPT6_PT4_.private_seg_size, 0
	.set _ZL18rocblas_dot_kernelIiLb1ELi1024ELi32ELb1EfPKddEviT5_lT_lS2_lS3_liPT6_PT4_.uses_vcc, 1
	.set _ZL18rocblas_dot_kernelIiLb1ELi1024ELi32ELb1EfPKddEviT5_lT_lS2_lS3_liPT6_PT4_.uses_flat_scratch, 0
	.set _ZL18rocblas_dot_kernelIiLb1ELi1024ELi32ELb1EfPKddEviT5_lT_lS2_lS3_liPT6_PT4_.has_dyn_sized_stack, 0
	.set _ZL18rocblas_dot_kernelIiLb1ELi1024ELi32ELb1EfPKddEviT5_lT_lS2_lS3_liPT6_PT4_.has_recursion, 0
	.set _ZL18rocblas_dot_kernelIiLb1ELi1024ELi32ELb1EfPKddEviT5_lT_lS2_lS3_liPT6_PT4_.has_indirect_call, 0
	.section	.AMDGPU.csdata,"",@progbits
; Kernel info:
; codeLenInByte = 1064
; TotalNumSgprs: 29
; NumVgprs: 14
; ScratchSize: 0
; MemoryBound: 0
; FloatMode: 240
; IeeeMode: 1
; LDSByteSize: 512 bytes/workgroup (compile time only)
; SGPRBlocks: 3
; VGPRBlocks: 3
; NumSGPRsForWavesPerEU: 29
; NumVGPRsForWavesPerEU: 14
; Occupancy: 10
; WaveLimiterHint : 0
; COMPUTE_PGM_RSRC2:SCRATCH_EN: 0
; COMPUTE_PGM_RSRC2:USER_SGPR: 6
; COMPUTE_PGM_RSRC2:TRAP_HANDLER: 0
; COMPUTE_PGM_RSRC2:TGID_X_EN: 1
; COMPUTE_PGM_RSRC2:TGID_Y_EN: 0
; COMPUTE_PGM_RSRC2:TGID_Z_EN: 1
; COMPUTE_PGM_RSRC2:TIDIG_COMP_CNT: 0
	.section	.text._ZL24rocblas_dot_kernel_magsqIiLb1ELi1024ELi32ELb1EfPKddEviT5_lT_liPT6_PT4_,"axG",@progbits,_ZL24rocblas_dot_kernel_magsqIiLb1ELi1024ELi32ELb1EfPKddEviT5_lT_liPT6_PT4_,comdat
	.globl	_ZL24rocblas_dot_kernel_magsqIiLb1ELi1024ELi32ELb1EfPKddEviT5_lT_liPT6_PT4_ ; -- Begin function _ZL24rocblas_dot_kernel_magsqIiLb1ELi1024ELi32ELb1EfPKddEviT5_lT_liPT6_PT4_
	.p2align	8
	.type	_ZL24rocblas_dot_kernel_magsqIiLb1ELi1024ELi32ELb1EfPKddEviT5_lT_liPT6_PT4_,@function
_ZL24rocblas_dot_kernel_magsqIiLb1ELi1024ELi32ELb1EfPKddEviT5_lT_liPT6_PT4_: ; @_ZL24rocblas_dot_kernel_magsqIiLb1ELi1024ELi32ELb1EfPKddEviT5_lT_liPT6_PT4_
; %bb.0:
	s_mov_b32 s2, s7
	s_load_dword s12, s[4:5], 0x0
	s_load_dwordx2 s[6:7], s[4:5], 0x38
	v_mov_b32_e32 v1, 0
	s_mov_b32 s3, 0
	v_mov_b32_e32 v2, 0
	s_waitcnt lgkmcnt(0)
	v_cmp_gt_i32_e32 vcc, s12, v0
	s_and_saveexec_b64 s[8:9], vcc
	s_cbranch_execz .LBB236_4
; %bb.1:
	s_load_dword s10, s[4:5], 0x40
	s_load_dwordx2 s[0:1], s[4:5], 0x20
	s_load_dwordx4 s[16:19], s[4:5], 0x8
	s_load_dword s11, s[4:5], 0x18
	s_waitcnt lgkmcnt(0)
	s_lshl_b32 s13, s10, 10
	s_mul_i32 s1, s1, s2
	s_mul_hi_u32 s10, s0, s2
	v_mad_i64_i32 v[1:2], s[4:5], s11, v0, 0
	s_add_i32 s1, s10, s1
	s_mul_i32 s0, s0, s2
	s_lshl_b64 s[0:1], s[0:1], 3
	s_lshl_b64 s[4:5], s[18:19], 3
	s_add_u32 s4, s16, s4
	s_addc_u32 s5, s17, s5
	v_lshlrev_b64 v[1:2], 3, v[1:2]
	s_add_u32 s0, s4, s0
	s_addc_u32 s1, s5, s1
	v_mov_b32_e32 v4, s1
	v_add_co_u32_e32 v3, vcc, s0, v1
	s_mul_hi_i32 s1, s11, s13
	s_mul_i32 s0, s11, s13
	v_addc_co_u32_e32 v4, vcc, v4, v2, vcc
	s_lshl_b64 s[4:5], s[0:1], 3
	v_mov_b32_e32 v1, 0
	v_or_b32_e32 v5, s13, v0
	v_mov_b32_e32 v2, 0
	s_mov_b64 s[10:11], 0
	v_mov_b32_e32 v6, s5
	s_mov_b32 s5, s3
.LBB236_2:                              ; =>This Inner Loop Header: Depth=1
	global_load_dwordx2 v[7:8], v[3:4], off
	s_add_i32 s14, s5, 1
	v_add_co_u32_e64 v3, s[0:1], s4, v3
	v_addc_co_u32_e64 v4, s[0:1], v4, v6, s[0:1]
	s_cmp_gt_u32 s5, 30
	v_cmp_le_i32_e32 vcc, s12, v5
	s_cselect_b64 s[0:1], -1, 0
	s_or_b64 s[0:1], s[0:1], vcc
	s_and_b64 s[0:1], exec, s[0:1]
	v_add_u32_e32 v5, s13, v5
	s_or_b64 s[10:11], s[0:1], s[10:11]
	s_mov_b32 s5, s14
	s_waitcnt vmcnt(0)
	v_fma_f64 v[1:2], v[7:8], v[7:8], v[1:2]
	s_andn2_b64 exec, exec, s[10:11]
	s_cbranch_execnz .LBB236_2
; %bb.3:
	s_or_b64 exec, exec, s[10:11]
.LBB236_4:
	s_or_b64 exec, exec, s[8:9]
	v_and_b32_e32 v8, 63, v0
	v_cmp_gt_u32_e32 vcc, 64, v0
	v_lshlrev_b32_e32 v5, 3, v8
	s_and_saveexec_b64 s[0:1], vcc
; %bb.5:
	v_mov_b32_e32 v3, 0
	v_mov_b32_e32 v4, v3
	ds_write_b64 v5, v[3:4]
; %bb.6:
	s_or_b64 exec, exec, s[0:1]
	v_mbcnt_lo_u32_b32 v3, -1, 0
	v_mbcnt_hi_u32_b32 v10, -1, v3
	v_mov_b32_e32 v3, 0x80
	v_lshl_or_b32 v4, v10, 2, v3
	ds_bpermute_b32 v3, v4, v1
	ds_bpermute_b32 v4, v4, v2
	v_and_b32_e32 v11, 63, v10
	v_cmp_gt_u32_e64 s[0:1], 48, v11
	s_waitcnt lgkmcnt(0)
	s_barrier
	v_add_f64 v[1:2], v[1:2], v[3:4]
	v_cndmask_b32_e64 v3, 0, 16, s[0:1]
	v_add_lshl_u32 v4, v3, v10, 2
	v_cmp_gt_u32_e64 s[0:1], 56, v11
	ds_bpermute_b32 v3, v4, v1
	ds_bpermute_b32 v4, v4, v2
	s_waitcnt lgkmcnt(0)
	v_add_f64 v[1:2], v[1:2], v[3:4]
	v_cndmask_b32_e64 v3, 0, 8, s[0:1]
	v_add_lshl_u32 v6, v3, v10, 2
	v_cmp_gt_u32_e64 s[0:1], 60, v11
	ds_bpermute_b32 v3, v6, v1
	ds_bpermute_b32 v4, v6, v2
	s_waitcnt lgkmcnt(0)
	;; [unrolled: 7-line block ×3, first 2 shown]
	v_add_f64 v[1:2], v[1:2], v[3:4]
	v_cndmask_b32_e64 v3, 0, 2, s[0:1]
	v_add_lshl_u32 v9, v3, v10, 2
	v_cmp_ne_u32_e64 s[0:1], 63, v11
	ds_bpermute_b32 v3, v9, v1
	ds_bpermute_b32 v4, v9, v2
	s_waitcnt lgkmcnt(0)
	v_add_f64 v[1:2], v[1:2], v[3:4]
	v_addc_co_u32_e64 v3, s[0:1], 0, v10, s[0:1]
	v_lshlrev_b32_e32 v10, 2, v3
	v_cmp_eq_u32_e64 s[0:1], 0, v8
	ds_bpermute_b32 v3, v10, v1
	ds_bpermute_b32 v4, v10, v2
	s_and_saveexec_b64 s[4:5], s[0:1]
	s_cbranch_execz .LBB236_8
; %bb.7:
	s_waitcnt lgkmcnt(0)
	v_add_f64 v[1:2], v[1:2], v[3:4]
	v_lshrrev_b32_e32 v3, 3, v0
	v_and_b32_e32 v3, 0x78, v3
	ds_write_b64 v3, v[1:2]
.LBB236_8:
	s_or_b64 exec, exec, s[4:5]
	v_mov_b32_e32 v1, 0
	v_mov_b32_e32 v2, 0
	v_cmp_gt_u32_e64 s[0:1], 16, v0
	s_waitcnt lgkmcnt(0)
	s_barrier
	s_and_saveexec_b64 s[4:5], s[0:1]
	s_cbranch_execnz .LBB236_12
; %bb.9:
	s_or_b64 exec, exec, s[4:5]
	s_and_saveexec_b64 s[0:1], vcc
	s_cbranch_execnz .LBB236_13
.LBB236_10:
	s_or_b64 exec, exec, s[0:1]
	v_cmp_eq_u32_e32 vcc, 0, v0
	s_and_saveexec_b64 s[0:1], vcc
	s_cbranch_execnz .LBB236_14
.LBB236_11:
	s_endpgm
.LBB236_12:
	ds_read_b64 v[1:2], v5
	s_or_b64 exec, exec, s[4:5]
	s_and_saveexec_b64 s[0:1], vcc
	s_cbranch_execz .LBB236_10
.LBB236_13:
	s_waitcnt lgkmcnt(0)
	ds_bpermute_b32 v3, v6, v1
	ds_bpermute_b32 v4, v6, v2
	s_waitcnt lgkmcnt(0)
	v_add_f64 v[1:2], v[1:2], v[3:4]
	ds_bpermute_b32 v3, v7, v1
	ds_bpermute_b32 v4, v7, v2
	s_waitcnt lgkmcnt(0)
	v_add_f64 v[1:2], v[1:2], v[3:4]
	;; [unrolled: 4-line block ×4, first 2 shown]
	s_or_b64 exec, exec, s[0:1]
	v_cmp_eq_u32_e32 vcc, 0, v0
	s_and_saveexec_b64 s[0:1], vcc
	s_cbranch_execz .LBB236_11
.LBB236_14:
	s_waitcnt lgkmcnt(0)
	v_cvt_f32_f64_e32 v0, v[1:2]
	s_lshl_b64 s[0:1], s[2:3], 2
	s_add_u32 s0, s6, s0
	s_addc_u32 s1, s7, s1
	v_mov_b32_e32 v1, 0
	global_store_dword v1, v0, s[0:1]
	s_endpgm
	.section	.rodata,"a",@progbits
	.p2align	6, 0x0
	.amdhsa_kernel _ZL24rocblas_dot_kernel_magsqIiLb1ELi1024ELi32ELb1EfPKddEviT5_lT_liPT6_PT4_
		.amdhsa_group_segment_fixed_size 512
		.amdhsa_private_segment_fixed_size 0
		.amdhsa_kernarg_size 320
		.amdhsa_user_sgpr_count 6
		.amdhsa_user_sgpr_private_segment_buffer 1
		.amdhsa_user_sgpr_dispatch_ptr 0
		.amdhsa_user_sgpr_queue_ptr 0
		.amdhsa_user_sgpr_kernarg_segment_ptr 1
		.amdhsa_user_sgpr_dispatch_id 0
		.amdhsa_user_sgpr_flat_scratch_init 0
		.amdhsa_user_sgpr_private_segment_size 0
		.amdhsa_uses_dynamic_stack 0
		.amdhsa_system_sgpr_private_segment_wavefront_offset 0
		.amdhsa_system_sgpr_workgroup_id_x 1
		.amdhsa_system_sgpr_workgroup_id_y 0
		.amdhsa_system_sgpr_workgroup_id_z 1
		.amdhsa_system_sgpr_workgroup_info 0
		.amdhsa_system_vgpr_workitem_id 0
		.amdhsa_next_free_vgpr 12
		.amdhsa_next_free_sgpr 20
		.amdhsa_reserve_vcc 1
		.amdhsa_reserve_flat_scratch 0
		.amdhsa_float_round_mode_32 0
		.amdhsa_float_round_mode_16_64 0
		.amdhsa_float_denorm_mode_32 3
		.amdhsa_float_denorm_mode_16_64 3
		.amdhsa_dx10_clamp 1
		.amdhsa_ieee_mode 1
		.amdhsa_fp16_overflow 0
		.amdhsa_exception_fp_ieee_invalid_op 0
		.amdhsa_exception_fp_denorm_src 0
		.amdhsa_exception_fp_ieee_div_zero 0
		.amdhsa_exception_fp_ieee_overflow 0
		.amdhsa_exception_fp_ieee_underflow 0
		.amdhsa_exception_fp_ieee_inexact 0
		.amdhsa_exception_int_div_zero 0
	.end_amdhsa_kernel
	.section	.text._ZL24rocblas_dot_kernel_magsqIiLb1ELi1024ELi32ELb1EfPKddEviT5_lT_liPT6_PT4_,"axG",@progbits,_ZL24rocblas_dot_kernel_magsqIiLb1ELi1024ELi32ELb1EfPKddEviT5_lT_liPT6_PT4_,comdat
.Lfunc_end236:
	.size	_ZL24rocblas_dot_kernel_magsqIiLb1ELi1024ELi32ELb1EfPKddEviT5_lT_liPT6_PT4_, .Lfunc_end236-_ZL24rocblas_dot_kernel_magsqIiLb1ELi1024ELi32ELb1EfPKddEviT5_lT_liPT6_PT4_
                                        ; -- End function
	.set _ZL24rocblas_dot_kernel_magsqIiLb1ELi1024ELi32ELb1EfPKddEviT5_lT_liPT6_PT4_.num_vgpr, 12
	.set _ZL24rocblas_dot_kernel_magsqIiLb1ELi1024ELi32ELb1EfPKddEviT5_lT_liPT6_PT4_.num_agpr, 0
	.set _ZL24rocblas_dot_kernel_magsqIiLb1ELi1024ELi32ELb1EfPKddEviT5_lT_liPT6_PT4_.numbered_sgpr, 20
	.set _ZL24rocblas_dot_kernel_magsqIiLb1ELi1024ELi32ELb1EfPKddEviT5_lT_liPT6_PT4_.num_named_barrier, 0
	.set _ZL24rocblas_dot_kernel_magsqIiLb1ELi1024ELi32ELb1EfPKddEviT5_lT_liPT6_PT4_.private_seg_size, 0
	.set _ZL24rocblas_dot_kernel_magsqIiLb1ELi1024ELi32ELb1EfPKddEviT5_lT_liPT6_PT4_.uses_vcc, 1
	.set _ZL24rocblas_dot_kernel_magsqIiLb1ELi1024ELi32ELb1EfPKddEviT5_lT_liPT6_PT4_.uses_flat_scratch, 0
	.set _ZL24rocblas_dot_kernel_magsqIiLb1ELi1024ELi32ELb1EfPKddEviT5_lT_liPT6_PT4_.has_dyn_sized_stack, 0
	.set _ZL24rocblas_dot_kernel_magsqIiLb1ELi1024ELi32ELb1EfPKddEviT5_lT_liPT6_PT4_.has_recursion, 0
	.set _ZL24rocblas_dot_kernel_magsqIiLb1ELi1024ELi32ELb1EfPKddEviT5_lT_liPT6_PT4_.has_indirect_call, 0
	.section	.AMDGPU.csdata,"",@progbits
; Kernel info:
; codeLenInByte = 932
; TotalNumSgprs: 24
; NumVgprs: 12
; ScratchSize: 0
; MemoryBound: 0
; FloatMode: 240
; IeeeMode: 1
; LDSByteSize: 512 bytes/workgroup (compile time only)
; SGPRBlocks: 2
; VGPRBlocks: 2
; NumSGPRsForWavesPerEU: 24
; NumVGPRsForWavesPerEU: 12
; Occupancy: 10
; WaveLimiterHint : 0
; COMPUTE_PGM_RSRC2:SCRATCH_EN: 0
; COMPUTE_PGM_RSRC2:USER_SGPR: 6
; COMPUTE_PGM_RSRC2:TRAP_HANDLER: 0
; COMPUTE_PGM_RSRC2:TGID_X_EN: 1
; COMPUTE_PGM_RSRC2:TGID_Y_EN: 0
; COMPUTE_PGM_RSRC2:TGID_Z_EN: 1
; COMPUTE_PGM_RSRC2:TIDIG_COMP_CNT: 0
	.section	.text._ZL38rocblas_dot_kernel_gfx942_float_doubleIiLi1024EfPKddEviT2_lT_lS2_lS3_lPT3_PT1_,"axG",@progbits,_ZL38rocblas_dot_kernel_gfx942_float_doubleIiLi1024EfPKddEviT2_lT_lS2_lS3_lPT3_PT1_,comdat
	.globl	_ZL38rocblas_dot_kernel_gfx942_float_doubleIiLi1024EfPKddEviT2_lT_lS2_lS3_lPT3_PT1_ ; -- Begin function _ZL38rocblas_dot_kernel_gfx942_float_doubleIiLi1024EfPKddEviT2_lT_lS2_lS3_lPT3_PT1_
	.p2align	8
	.type	_ZL38rocblas_dot_kernel_gfx942_float_doubleIiLi1024EfPKddEviT2_lT_lS2_lS3_lPT3_PT1_,@function
_ZL38rocblas_dot_kernel_gfx942_float_doubleIiLi1024EfPKddEviT2_lT_lS2_lS3_lPT3_PT1_: ; @_ZL38rocblas_dot_kernel_gfx942_float_doubleIiLi1024EfPKddEviT2_lT_lS2_lS3_lPT3_PT1_
; %bb.0:
	s_endpgm
	.section	.rodata,"a",@progbits
	.p2align	6, 0x0
	.amdhsa_kernel _ZL38rocblas_dot_kernel_gfx942_float_doubleIiLi1024EfPKddEviT2_lT_lS2_lS3_lPT3_PT1_
		.amdhsa_group_segment_fixed_size 0
		.amdhsa_private_segment_fixed_size 0
		.amdhsa_kernarg_size 88
		.amdhsa_user_sgpr_count 6
		.amdhsa_user_sgpr_private_segment_buffer 1
		.amdhsa_user_sgpr_dispatch_ptr 0
		.amdhsa_user_sgpr_queue_ptr 0
		.amdhsa_user_sgpr_kernarg_segment_ptr 1
		.amdhsa_user_sgpr_dispatch_id 0
		.amdhsa_user_sgpr_flat_scratch_init 0
		.amdhsa_user_sgpr_private_segment_size 0
		.amdhsa_uses_dynamic_stack 0
		.amdhsa_system_sgpr_private_segment_wavefront_offset 0
		.amdhsa_system_sgpr_workgroup_id_x 1
		.amdhsa_system_sgpr_workgroup_id_y 0
		.amdhsa_system_sgpr_workgroup_id_z 0
		.amdhsa_system_sgpr_workgroup_info 0
		.amdhsa_system_vgpr_workitem_id 0
		.amdhsa_next_free_vgpr 1
		.amdhsa_next_free_sgpr 0
		.amdhsa_reserve_vcc 0
		.amdhsa_reserve_flat_scratch 0
		.amdhsa_float_round_mode_32 0
		.amdhsa_float_round_mode_16_64 0
		.amdhsa_float_denorm_mode_32 3
		.amdhsa_float_denorm_mode_16_64 3
		.amdhsa_dx10_clamp 1
		.amdhsa_ieee_mode 1
		.amdhsa_fp16_overflow 0
		.amdhsa_exception_fp_ieee_invalid_op 0
		.amdhsa_exception_fp_denorm_src 0
		.amdhsa_exception_fp_ieee_div_zero 0
		.amdhsa_exception_fp_ieee_overflow 0
		.amdhsa_exception_fp_ieee_underflow 0
		.amdhsa_exception_fp_ieee_inexact 0
		.amdhsa_exception_int_div_zero 0
	.end_amdhsa_kernel
	.section	.text._ZL38rocblas_dot_kernel_gfx942_float_doubleIiLi1024EfPKddEviT2_lT_lS2_lS3_lPT3_PT1_,"axG",@progbits,_ZL38rocblas_dot_kernel_gfx942_float_doubleIiLi1024EfPKddEviT2_lT_lS2_lS3_lPT3_PT1_,comdat
.Lfunc_end237:
	.size	_ZL38rocblas_dot_kernel_gfx942_float_doubleIiLi1024EfPKddEviT2_lT_lS2_lS3_lPT3_PT1_, .Lfunc_end237-_ZL38rocblas_dot_kernel_gfx942_float_doubleIiLi1024EfPKddEviT2_lT_lS2_lS3_lPT3_PT1_
                                        ; -- End function
	.set _ZL38rocblas_dot_kernel_gfx942_float_doubleIiLi1024EfPKddEviT2_lT_lS2_lS3_lPT3_PT1_.num_vgpr, 0
	.set _ZL38rocblas_dot_kernel_gfx942_float_doubleIiLi1024EfPKddEviT2_lT_lS2_lS3_lPT3_PT1_.num_agpr, 0
	.set _ZL38rocblas_dot_kernel_gfx942_float_doubleIiLi1024EfPKddEviT2_lT_lS2_lS3_lPT3_PT1_.numbered_sgpr, 0
	.set _ZL38rocblas_dot_kernel_gfx942_float_doubleIiLi1024EfPKddEviT2_lT_lS2_lS3_lPT3_PT1_.num_named_barrier, 0
	.set _ZL38rocblas_dot_kernel_gfx942_float_doubleIiLi1024EfPKddEviT2_lT_lS2_lS3_lPT3_PT1_.private_seg_size, 0
	.set _ZL38rocblas_dot_kernel_gfx942_float_doubleIiLi1024EfPKddEviT2_lT_lS2_lS3_lPT3_PT1_.uses_vcc, 0
	.set _ZL38rocblas_dot_kernel_gfx942_float_doubleIiLi1024EfPKddEviT2_lT_lS2_lS3_lPT3_PT1_.uses_flat_scratch, 0
	.set _ZL38rocblas_dot_kernel_gfx942_float_doubleIiLi1024EfPKddEviT2_lT_lS2_lS3_lPT3_PT1_.has_dyn_sized_stack, 0
	.set _ZL38rocblas_dot_kernel_gfx942_float_doubleIiLi1024EfPKddEviT2_lT_lS2_lS3_lPT3_PT1_.has_recursion, 0
	.set _ZL38rocblas_dot_kernel_gfx942_float_doubleIiLi1024EfPKddEviT2_lT_lS2_lS3_lPT3_PT1_.has_indirect_call, 0
	.section	.AMDGPU.csdata,"",@progbits
; Kernel info:
; codeLenInByte = 4
; TotalNumSgprs: 4
; NumVgprs: 0
; ScratchSize: 0
; MemoryBound: 0
; FloatMode: 240
; IeeeMode: 1
; LDSByteSize: 0 bytes/workgroup (compile time only)
; SGPRBlocks: 0
; VGPRBlocks: 0
; NumSGPRsForWavesPerEU: 4
; NumVGPRsForWavesPerEU: 1
; Occupancy: 10
; WaveLimiterHint : 0
; COMPUTE_PGM_RSRC2:SCRATCH_EN: 0
; COMPUTE_PGM_RSRC2:USER_SGPR: 6
; COMPUTE_PGM_RSRC2:TRAP_HANDLER: 0
; COMPUTE_PGM_RSRC2:TGID_X_EN: 1
; COMPUTE_PGM_RSRC2:TGID_Y_EN: 0
; COMPUTE_PGM_RSRC2:TGID_Z_EN: 0
; COMPUTE_PGM_RSRC2:TIDIG_COMP_CNT: 0
	.section	.text._ZL30rocblas_reduction_kernel_part2ILi1024ELi4E25rocblas_finalize_identitydfEviPT2_PT3_,"axG",@progbits,_ZL30rocblas_reduction_kernel_part2ILi1024ELi4E25rocblas_finalize_identitydfEviPT2_PT3_,comdat
	.globl	_ZL30rocblas_reduction_kernel_part2ILi1024ELi4E25rocblas_finalize_identitydfEviPT2_PT3_ ; -- Begin function _ZL30rocblas_reduction_kernel_part2ILi1024ELi4E25rocblas_finalize_identitydfEviPT2_PT3_
	.p2align	8
	.type	_ZL30rocblas_reduction_kernel_part2ILi1024ELi4E25rocblas_finalize_identitydfEviPT2_PT3_,@function
_ZL30rocblas_reduction_kernel_part2ILi1024ELi4E25rocblas_finalize_identitydfEviPT2_PT3_: ; @_ZL30rocblas_reduction_kernel_part2ILi1024ELi4E25rocblas_finalize_identitydfEviPT2_PT3_
; %bb.0:
	s_load_dword s14, s[4:5], 0x0
	s_load_dwordx4 s[8:11], s[4:5], 0x8
	v_lshlrev_b32_e32 v5, 2, v0
	v_mov_b32_e32 v1, 0
	s_mov_b32 s7, 0
	s_waitcnt lgkmcnt(0)
	s_ashr_i32 s0, s14, 31
	s_mul_i32 s2, s0, s6
	s_lshr_b32 s0, s0, 30
	s_add_i32 s0, s14, s0
	s_mul_hi_u32 s1, s14, s6
	s_and_b32 s15, s0, -4
	s_add_i32 s3, s1, s2
	s_mul_i32 s2, s14, s6
	v_mov_b32_e32 v2, 0
	v_cmp_gt_i32_e32 vcc, s15, v5
	s_and_saveexec_b64 s[4:5], vcc
	s_cbranch_execz .LBB238_4
; %bb.1:
	s_lshl_b64 s[0:1], s[2:3], 3
	s_add_u32 s0, s8, s0
	v_lshlrev_b32_e32 v1, 5, v0
	s_addc_u32 s1, s9, s1
	v_mov_b32_e32 v2, s1
	v_add_co_u32_e32 v1, vcc, s0, v1
	v_addc_co_u32_e32 v2, vcc, 0, v2, vcc
	v_add_co_u32_e32 v3, vcc, 16, v1
	v_addc_co_u32_e32 v4, vcc, 0, v2, vcc
	v_mov_b32_e32 v1, 0
	v_mov_b32_e32 v2, 0
	s_mov_b64 s[12:13], 0
.LBB238_2:                              ; =>This Inner Loop Header: Depth=1
	global_load_dwordx4 v[6:9], v[3:4], off offset:-16
	global_load_dwordx4 v[10:13], v[3:4], off
	v_add_u32_e32 v5, 0x1000, v5
	v_add_co_u32_e32 v3, vcc, 0x8000, v3
	v_cmp_le_i32_e64 s[0:1], s15, v5
	s_or_b64 s[12:13], s[0:1], s[12:13]
	v_addc_co_u32_e32 v4, vcc, 0, v4, vcc
	s_waitcnt vmcnt(1)
	v_add_f64 v[1:2], v[1:2], v[6:7]
	v_add_f64 v[1:2], v[1:2], v[8:9]
	s_waitcnt vmcnt(0)
	v_add_f64 v[1:2], v[1:2], v[10:11]
	v_add_f64 v[1:2], v[1:2], v[12:13]
	s_andn2_b64 exec, exec, s[12:13]
	s_cbranch_execnz .LBB238_2
; %bb.3:
	s_or_b64 exec, exec, s[12:13]
.LBB238_4:
	s_or_b64 exec, exec, s[4:5]
	s_sub_i32 s0, s14, s15
	v_cmp_gt_u32_e32 vcc, s0, v0
	s_and_saveexec_b64 s[0:1], vcc
	s_cbranch_execz .LBB238_6
; %bb.5:
	s_lshl_b64 s[2:3], s[2:3], 3
	v_xad_u32 v3, v0, -1, s14
	v_mov_b32_e32 v4, 0
	s_add_u32 s2, s8, s2
	v_lshlrev_b64 v[3:4], 3, v[3:4]
	s_addc_u32 s3, s9, s3
	v_mov_b32_e32 v5, s3
	v_add_co_u32_e32 v3, vcc, s2, v3
	v_addc_co_u32_e32 v4, vcc, v5, v4, vcc
	global_load_dwordx2 v[3:4], v[3:4], off
	s_waitcnt vmcnt(0)
	v_add_f64 v[1:2], v[1:2], v[3:4]
.LBB238_6:
	s_or_b64 exec, exec, s[0:1]
	v_and_b32_e32 v8, 63, v0
	v_cmp_gt_u32_e32 vcc, 64, v0
	v_lshlrev_b32_e32 v5, 3, v8
	s_and_saveexec_b64 s[0:1], vcc
; %bb.7:
	v_mov_b32_e32 v3, 0
	v_mov_b32_e32 v4, v3
	ds_write_b64 v5, v[3:4]
; %bb.8:
	s_or_b64 exec, exec, s[0:1]
	v_mbcnt_lo_u32_b32 v3, -1, 0
	v_mbcnt_hi_u32_b32 v10, -1, v3
	v_mov_b32_e32 v3, 0x80
	v_lshl_or_b32 v4, v10, 2, v3
	ds_bpermute_b32 v3, v4, v1
	ds_bpermute_b32 v4, v4, v2
	v_and_b32_e32 v11, 63, v10
	v_cmp_gt_u32_e64 s[0:1], 48, v11
	s_waitcnt lgkmcnt(0)
	s_barrier
	v_add_f64 v[1:2], v[1:2], v[3:4]
	v_cndmask_b32_e64 v3, 0, 16, s[0:1]
	v_add_lshl_u32 v4, v3, v10, 2
	v_cmp_gt_u32_e64 s[0:1], 56, v11
	ds_bpermute_b32 v3, v4, v1
	ds_bpermute_b32 v4, v4, v2
	s_waitcnt lgkmcnt(0)
	v_add_f64 v[1:2], v[1:2], v[3:4]
	v_cndmask_b32_e64 v3, 0, 8, s[0:1]
	v_add_lshl_u32 v6, v3, v10, 2
	v_cmp_gt_u32_e64 s[0:1], 60, v11
	ds_bpermute_b32 v3, v6, v1
	ds_bpermute_b32 v4, v6, v2
	s_waitcnt lgkmcnt(0)
	;; [unrolled: 7-line block ×3, first 2 shown]
	v_add_f64 v[1:2], v[1:2], v[3:4]
	v_cndmask_b32_e64 v3, 0, 2, s[0:1]
	v_add_lshl_u32 v9, v3, v10, 2
	v_cmp_ne_u32_e64 s[0:1], 63, v11
	ds_bpermute_b32 v3, v9, v1
	ds_bpermute_b32 v4, v9, v2
	s_waitcnt lgkmcnt(0)
	v_add_f64 v[1:2], v[1:2], v[3:4]
	v_addc_co_u32_e64 v3, s[0:1], 0, v10, s[0:1]
	v_lshlrev_b32_e32 v10, 2, v3
	v_cmp_eq_u32_e64 s[0:1], 0, v8
	ds_bpermute_b32 v3, v10, v1
	ds_bpermute_b32 v4, v10, v2
	s_and_saveexec_b64 s[2:3], s[0:1]
	s_cbranch_execz .LBB238_10
; %bb.9:
	s_waitcnt lgkmcnt(0)
	v_add_f64 v[1:2], v[1:2], v[3:4]
	v_lshrrev_b32_e32 v3, 3, v0
	v_and_b32_e32 v3, 0x78, v3
	ds_write_b64 v3, v[1:2]
.LBB238_10:
	s_or_b64 exec, exec, s[2:3]
	v_mov_b32_e32 v1, 0
	v_mov_b32_e32 v2, 0
	v_cmp_gt_u32_e64 s[0:1], 16, v0
	s_waitcnt lgkmcnt(0)
	s_barrier
	s_and_saveexec_b64 s[2:3], s[0:1]
	s_cbranch_execnz .LBB238_14
; %bb.11:
	s_or_b64 exec, exec, s[2:3]
	s_and_saveexec_b64 s[0:1], vcc
	s_cbranch_execnz .LBB238_15
.LBB238_12:
	s_or_b64 exec, exec, s[0:1]
	v_cmp_eq_u32_e32 vcc, 0, v0
	s_and_saveexec_b64 s[0:1], vcc
	s_cbranch_execnz .LBB238_16
.LBB238_13:
	s_endpgm
.LBB238_14:
	ds_read_b64 v[1:2], v5
	s_or_b64 exec, exec, s[2:3]
	s_and_saveexec_b64 s[0:1], vcc
	s_cbranch_execz .LBB238_12
.LBB238_15:
	s_waitcnt lgkmcnt(0)
	ds_bpermute_b32 v3, v6, v1
	ds_bpermute_b32 v4, v6, v2
	s_waitcnt lgkmcnt(0)
	v_add_f64 v[1:2], v[1:2], v[3:4]
	ds_bpermute_b32 v3, v7, v1
	ds_bpermute_b32 v4, v7, v2
	s_waitcnt lgkmcnt(0)
	v_add_f64 v[1:2], v[1:2], v[3:4]
	;; [unrolled: 4-line block ×4, first 2 shown]
	s_or_b64 exec, exec, s[0:1]
	v_cmp_eq_u32_e32 vcc, 0, v0
	s_and_saveexec_b64 s[0:1], vcc
	s_cbranch_execz .LBB238_13
.LBB238_16:
	s_waitcnt lgkmcnt(0)
	v_cvt_f32_f64_e32 v0, v[1:2]
	s_lshl_b64 s[0:1], s[6:7], 2
	s_add_u32 s0, s10, s0
	s_addc_u32 s1, s11, s1
	v_mov_b32_e32 v1, 0
	global_store_dword v1, v0, s[0:1]
	s_endpgm
	.section	.rodata,"a",@progbits
	.p2align	6, 0x0
	.amdhsa_kernel _ZL30rocblas_reduction_kernel_part2ILi1024ELi4E25rocblas_finalize_identitydfEviPT2_PT3_
		.amdhsa_group_segment_fixed_size 512
		.amdhsa_private_segment_fixed_size 0
		.amdhsa_kernarg_size 24
		.amdhsa_user_sgpr_count 6
		.amdhsa_user_sgpr_private_segment_buffer 1
		.amdhsa_user_sgpr_dispatch_ptr 0
		.amdhsa_user_sgpr_queue_ptr 0
		.amdhsa_user_sgpr_kernarg_segment_ptr 1
		.amdhsa_user_sgpr_dispatch_id 0
		.amdhsa_user_sgpr_flat_scratch_init 0
		.amdhsa_user_sgpr_private_segment_size 0
		.amdhsa_uses_dynamic_stack 0
		.amdhsa_system_sgpr_private_segment_wavefront_offset 0
		.amdhsa_system_sgpr_workgroup_id_x 1
		.amdhsa_system_sgpr_workgroup_id_y 0
		.amdhsa_system_sgpr_workgroup_id_z 0
		.amdhsa_system_sgpr_workgroup_info 0
		.amdhsa_system_vgpr_workitem_id 0
		.amdhsa_next_free_vgpr 14
		.amdhsa_next_free_sgpr 16
		.amdhsa_reserve_vcc 1
		.amdhsa_reserve_flat_scratch 0
		.amdhsa_float_round_mode_32 0
		.amdhsa_float_round_mode_16_64 0
		.amdhsa_float_denorm_mode_32 3
		.amdhsa_float_denorm_mode_16_64 3
		.amdhsa_dx10_clamp 1
		.amdhsa_ieee_mode 1
		.amdhsa_fp16_overflow 0
		.amdhsa_exception_fp_ieee_invalid_op 0
		.amdhsa_exception_fp_denorm_src 0
		.amdhsa_exception_fp_ieee_div_zero 0
		.amdhsa_exception_fp_ieee_overflow 0
		.amdhsa_exception_fp_ieee_underflow 0
		.amdhsa_exception_fp_ieee_inexact 0
		.amdhsa_exception_int_div_zero 0
	.end_amdhsa_kernel
	.section	.text._ZL30rocblas_reduction_kernel_part2ILi1024ELi4E25rocblas_finalize_identitydfEviPT2_PT3_,"axG",@progbits,_ZL30rocblas_reduction_kernel_part2ILi1024ELi4E25rocblas_finalize_identitydfEviPT2_PT3_,comdat
.Lfunc_end238:
	.size	_ZL30rocblas_reduction_kernel_part2ILi1024ELi4E25rocblas_finalize_identitydfEviPT2_PT3_, .Lfunc_end238-_ZL30rocblas_reduction_kernel_part2ILi1024ELi4E25rocblas_finalize_identitydfEviPT2_PT3_
                                        ; -- End function
	.set _ZL30rocblas_reduction_kernel_part2ILi1024ELi4E25rocblas_finalize_identitydfEviPT2_PT3_.num_vgpr, 14
	.set _ZL30rocblas_reduction_kernel_part2ILi1024ELi4E25rocblas_finalize_identitydfEviPT2_PT3_.num_agpr, 0
	.set _ZL30rocblas_reduction_kernel_part2ILi1024ELi4E25rocblas_finalize_identitydfEviPT2_PT3_.numbered_sgpr, 16
	.set _ZL30rocblas_reduction_kernel_part2ILi1024ELi4E25rocblas_finalize_identitydfEviPT2_PT3_.num_named_barrier, 0
	.set _ZL30rocblas_reduction_kernel_part2ILi1024ELi4E25rocblas_finalize_identitydfEviPT2_PT3_.private_seg_size, 0
	.set _ZL30rocblas_reduction_kernel_part2ILi1024ELi4E25rocblas_finalize_identitydfEviPT2_PT3_.uses_vcc, 1
	.set _ZL30rocblas_reduction_kernel_part2ILi1024ELi4E25rocblas_finalize_identitydfEviPT2_PT3_.uses_flat_scratch, 0
	.set _ZL30rocblas_reduction_kernel_part2ILi1024ELi4E25rocblas_finalize_identitydfEviPT2_PT3_.has_dyn_sized_stack, 0
	.set _ZL30rocblas_reduction_kernel_part2ILi1024ELi4E25rocblas_finalize_identitydfEviPT2_PT3_.has_recursion, 0
	.set _ZL30rocblas_reduction_kernel_part2ILi1024ELi4E25rocblas_finalize_identitydfEviPT2_PT3_.has_indirect_call, 0
	.section	.AMDGPU.csdata,"",@progbits
; Kernel info:
; codeLenInByte = 968
; TotalNumSgprs: 20
; NumVgprs: 14
; ScratchSize: 0
; MemoryBound: 0
; FloatMode: 240
; IeeeMode: 1
; LDSByteSize: 512 bytes/workgroup (compile time only)
; SGPRBlocks: 2
; VGPRBlocks: 3
; NumSGPRsForWavesPerEU: 20
; NumVGPRsForWavesPerEU: 14
; Occupancy: 10
; WaveLimiterHint : 0
; COMPUTE_PGM_RSRC2:SCRATCH_EN: 0
; COMPUTE_PGM_RSRC2:USER_SGPR: 6
; COMPUTE_PGM_RSRC2:TRAP_HANDLER: 0
; COMPUTE_PGM_RSRC2:TGID_X_EN: 1
; COMPUTE_PGM_RSRC2:TGID_Y_EN: 0
; COMPUTE_PGM_RSRC2:TGID_Z_EN: 0
; COMPUTE_PGM_RSRC2:TIDIG_COMP_CNT: 0
	.section	.text._ZL23rocblas_dot_kernel_inc1ILb0ELi512ELi4ELb1EfPKddEviT4_llS2_lliPT5_PT3_,"axG",@progbits,_ZL23rocblas_dot_kernel_inc1ILb0ELi512ELi4ELb1EfPKddEviT4_llS2_lliPT5_PT3_,comdat
	.globl	_ZL23rocblas_dot_kernel_inc1ILb0ELi512ELi4ELb1EfPKddEviT4_llS2_lliPT5_PT3_ ; -- Begin function _ZL23rocblas_dot_kernel_inc1ILb0ELi512ELi4ELb1EfPKddEviT4_llS2_lliPT5_PT3_
	.p2align	8
	.type	_ZL23rocblas_dot_kernel_inc1ILb0ELi512ELi4ELb1EfPKddEviT4_llS2_lliPT5_PT3_,@function
_ZL23rocblas_dot_kernel_inc1ILb0ELi512ELi4ELb1EfPKddEviT4_llS2_lliPT5_PT3_: ; @_ZL23rocblas_dot_kernel_inc1ILb0ELi512ELi4ELb1EfPKddEviT4_llS2_lliPT5_PT3_
; %bb.0:
	s_mov_b32 s2, s7
	s_load_dword s18, s[4:5], 0x50
	s_load_dword s7, s[4:5], 0x0
	s_load_dwordx4 s[8:11], s[4:5], 0x40
	v_lshl_or_b32 v3, s6, 9, v0
	v_mov_b32_e32 v1, 0
	s_mov_b32 s3, 0
	v_mov_b32_e32 v2, 0
	s_waitcnt lgkmcnt(0)
	v_cmp_gt_i32_e32 vcc, s7, v3
	s_and_saveexec_b64 s[12:13], vcc
	s_cbranch_execz .LBB239_4
; %bb.1:
	s_load_dwordx4 s[20:23], s[4:5], 0x10
	s_load_dwordx2 s[0:1], s[4:5], 0x8
	s_load_dwordx2 s[14:15], s[4:5], 0x20
	s_load_dwordx4 s[24:27], s[4:5], 0x28
	v_ashrrev_i32_e32 v4, 31, v3
	s_waitcnt lgkmcnt(0)
	s_mul_i32 s4, s23, s2
	s_mul_hi_u32 s5, s22, s2
	s_add_i32 s5, s5, s4
	s_mul_i32 s4, s22, s2
	s_lshl_b64 s[4:5], s[4:5], 3
	s_add_u32 s4, s0, s4
	s_addc_u32 s5, s1, s5
	s_lshl_b64 s[0:1], s[20:21], 3
	s_add_u32 s19, s4, s0
	s_addc_u32 s21, s5, s1
	s_mul_i32 s0, s27, s2
	s_mul_hi_u32 s1, s26, s2
	s_add_i32 s1, s1, s0
	s_mul_i32 s0, s26, s2
	s_lshl_b64 s[0:1], s[0:1], 3
	s_add_u32 s4, s14, s0
	s_addc_u32 s5, s15, s1
	s_lshl_b64 s[0:1], s[24:25], 3
	s_add_u32 s20, s4, s0
	s_addc_u32 s0, s5, s1
	s_lshl_b32 s4, s18, 9
	s_ashr_i32 s5, s4, 31
	v_add_u32_e32 v5, s4, v3
	v_lshlrev_b64 v[3:4], 3, v[3:4]
	s_lshl_b64 s[14:15], s[4:5], 3
	v_mov_b32_e32 v1, 0
	v_mov_b32_e32 v2, 0
	s_mov_b64 s[16:17], 0
	v_mov_b32_e32 v6, s0
	v_mov_b32_e32 v7, s21
	;; [unrolled: 1-line block ×3, first 2 shown]
	s_mov_b32 s5, s3
.LBB239_2:                              ; =>This Inner Loop Header: Depth=1
	v_add_co_u32_e32 v9, vcc, s20, v3
	v_addc_co_u32_e32 v10, vcc, v6, v4, vcc
	v_add_co_u32_e32 v11, vcc, s19, v3
	v_addc_co_u32_e32 v12, vcc, v7, v4, vcc
	global_load_dwordx2 v[13:14], v[9:10], off
	global_load_dwordx2 v[15:16], v[11:12], off
	s_add_i32 s15, s5, 1
	v_add_co_u32_e64 v3, s[0:1], s14, v3
	v_addc_co_u32_e64 v4, s[0:1], v4, v8, s[0:1]
	s_cmp_gt_u32 s5, 2
	v_cmp_le_i32_e32 vcc, s7, v5
	s_cselect_b64 s[0:1], -1, 0
	s_or_b64 s[0:1], s[0:1], vcc
	s_and_b64 s[0:1], exec, s[0:1]
	v_add_u32_e32 v5, s4, v5
	s_or_b64 s[16:17], s[0:1], s[16:17]
	s_mov_b32 s5, s15
	s_waitcnt vmcnt(0)
	v_fma_f64 v[1:2], v[13:14], v[15:16], v[1:2]
	s_andn2_b64 exec, exec, s[16:17]
	s_cbranch_execnz .LBB239_2
; %bb.3:
	s_or_b64 exec, exec, s[16:17]
.LBB239_4:
	s_or_b64 exec, exec, s[12:13]
	v_and_b32_e32 v6, 63, v0
	v_cmp_gt_u32_e32 vcc, 64, v0
	v_lshlrev_b32_e32 v5, 3, v6
	s_and_saveexec_b64 s[0:1], vcc
; %bb.5:
	v_mov_b32_e32 v3, 0
	v_mov_b32_e32 v4, v3
	ds_write_b64 v5, v[3:4]
; %bb.6:
	s_or_b64 exec, exec, s[0:1]
	v_mbcnt_lo_u32_b32 v3, -1, 0
	v_mbcnt_hi_u32_b32 v9, -1, v3
	v_mov_b32_e32 v3, 0x80
	v_lshl_or_b32 v4, v9, 2, v3
	ds_bpermute_b32 v3, v4, v1
	ds_bpermute_b32 v4, v4, v2
	v_and_b32_e32 v10, 63, v9
	v_cmp_gt_u32_e64 s[0:1], 48, v10
	s_waitcnt lgkmcnt(0)
	s_barrier
	v_add_f64 v[1:2], v[1:2], v[3:4]
	v_cndmask_b32_e64 v3, 0, 16, s[0:1]
	v_add_lshl_u32 v4, v3, v9, 2
	v_cmp_gt_u32_e64 s[0:1], 56, v10
	ds_bpermute_b32 v3, v4, v1
	ds_bpermute_b32 v4, v4, v2
	s_waitcnt lgkmcnt(0)
	v_add_f64 v[1:2], v[1:2], v[3:4]
	v_cndmask_b32_e64 v3, 0, 8, s[0:1]
	v_add_lshl_u32 v4, v3, v9, 2
	v_cmp_gt_u32_e64 s[0:1], 60, v10
	ds_bpermute_b32 v3, v4, v1
	ds_bpermute_b32 v4, v4, v2
	s_waitcnt lgkmcnt(0)
	;; [unrolled: 7-line block ×3, first 2 shown]
	v_add_f64 v[1:2], v[1:2], v[3:4]
	v_cndmask_b32_e64 v3, 0, 2, s[0:1]
	v_add_lshl_u32 v8, v3, v9, 2
	v_cmp_ne_u32_e64 s[0:1], 63, v10
	ds_bpermute_b32 v3, v8, v1
	ds_bpermute_b32 v4, v8, v2
	s_waitcnt lgkmcnt(0)
	v_add_f64 v[1:2], v[1:2], v[3:4]
	v_addc_co_u32_e64 v3, s[0:1], 0, v9, s[0:1]
	v_lshlrev_b32_e32 v9, 2, v3
	v_cmp_eq_u32_e64 s[0:1], 0, v6
	ds_bpermute_b32 v3, v9, v1
	ds_bpermute_b32 v4, v9, v2
	s_and_saveexec_b64 s[4:5], s[0:1]
	s_cbranch_execz .LBB239_8
; %bb.7:
	s_waitcnt lgkmcnt(0)
	v_add_f64 v[1:2], v[1:2], v[3:4]
	v_lshrrev_b32_e32 v3, 3, v0
	v_and_b32_e32 v3, 56, v3
	ds_write_b64 v3, v[1:2]
.LBB239_8:
	s_or_b64 exec, exec, s[4:5]
	v_mov_b32_e32 v1, 0
	v_mov_b32_e32 v2, 0
	v_cmp_gt_u32_e64 s[0:1], 8, v0
	s_waitcnt lgkmcnt(0)
	s_barrier
	s_and_saveexec_b64 s[4:5], s[0:1]
	s_cbranch_execnz .LBB239_12
; %bb.9:
	s_or_b64 exec, exec, s[4:5]
	s_and_saveexec_b64 s[0:1], vcc
	s_cbranch_execnz .LBB239_13
.LBB239_10:
	s_or_b64 exec, exec, s[0:1]
	v_cmp_eq_u32_e32 vcc, 0, v0
	s_and_saveexec_b64 s[0:1], vcc
	s_cbranch_execnz .LBB239_14
.LBB239_11:
	s_endpgm
.LBB239_12:
	ds_read_b64 v[1:2], v5
	s_or_b64 exec, exec, s[4:5]
	s_and_saveexec_b64 s[0:1], vcc
	s_cbranch_execz .LBB239_10
.LBB239_13:
	s_waitcnt lgkmcnt(0)
	ds_bpermute_b32 v3, v7, v1
	ds_bpermute_b32 v4, v7, v2
	s_waitcnt lgkmcnt(0)
	v_add_f64 v[1:2], v[1:2], v[3:4]
	ds_bpermute_b32 v3, v8, v1
	ds_bpermute_b32 v4, v8, v2
	s_waitcnt lgkmcnt(0)
	v_add_f64 v[1:2], v[1:2], v[3:4]
	;; [unrolled: 4-line block ×3, first 2 shown]
	s_or_b64 exec, exec, s[0:1]
	v_cmp_eq_u32_e32 vcc, 0, v0
	s_and_saveexec_b64 s[0:1], vcc
	s_cbranch_execz .LBB239_11
.LBB239_14:
	s_cmp_lg_u32 s18, 1
	s_mov_b64 s[0:1], -1
	s_cbranch_scc0 .LBB239_16
; %bb.15:
	s_mul_hi_u32 s1, s18, s2
	s_mul_i32 s0, s18, s2
	s_lshl_b64 s[0:1], s[0:1], 3
	s_mov_b32 s7, 0
	s_add_u32 s4, s8, s0
	s_addc_u32 s5, s9, s1
	s_lshl_b64 s[0:1], s[6:7], 3
	s_add_u32 s0, s4, s0
	s_addc_u32 s1, s5, s1
	v_mov_b32_e32 v0, 0
	s_waitcnt lgkmcnt(0)
	global_store_dwordx2 v0, v[1:2], s[0:1]
	s_mov_b64 s[0:1], 0
.LBB239_16:
	s_andn2_b64 vcc, exec, s[0:1]
	s_cbranch_vccnz .LBB239_11
; %bb.17:
	s_waitcnt lgkmcnt(0)
	v_cvt_f32_f64_e32 v0, v[1:2]
	s_lshl_b64 s[0:1], s[2:3], 2
	s_add_u32 s0, s10, s0
	s_addc_u32 s1, s11, s1
	v_mov_b32_e32 v1, 0
	global_store_dword v1, v0, s[0:1]
	s_endpgm
	.section	.rodata,"a",@progbits
	.p2align	6, 0x0
	.amdhsa_kernel _ZL23rocblas_dot_kernel_inc1ILb0ELi512ELi4ELb1EfPKddEviT4_llS2_lliPT5_PT3_
		.amdhsa_group_segment_fixed_size 512
		.amdhsa_private_segment_fixed_size 0
		.amdhsa_kernarg_size 336
		.amdhsa_user_sgpr_count 6
		.amdhsa_user_sgpr_private_segment_buffer 1
		.amdhsa_user_sgpr_dispatch_ptr 0
		.amdhsa_user_sgpr_queue_ptr 0
		.amdhsa_user_sgpr_kernarg_segment_ptr 1
		.amdhsa_user_sgpr_dispatch_id 0
		.amdhsa_user_sgpr_flat_scratch_init 0
		.amdhsa_user_sgpr_private_segment_size 0
		.amdhsa_uses_dynamic_stack 0
		.amdhsa_system_sgpr_private_segment_wavefront_offset 0
		.amdhsa_system_sgpr_workgroup_id_x 1
		.amdhsa_system_sgpr_workgroup_id_y 0
		.amdhsa_system_sgpr_workgroup_id_z 1
		.amdhsa_system_sgpr_workgroup_info 0
		.amdhsa_system_vgpr_workitem_id 0
		.amdhsa_next_free_vgpr 17
		.amdhsa_next_free_sgpr 28
		.amdhsa_reserve_vcc 1
		.amdhsa_reserve_flat_scratch 0
		.amdhsa_float_round_mode_32 0
		.amdhsa_float_round_mode_16_64 0
		.amdhsa_float_denorm_mode_32 3
		.amdhsa_float_denorm_mode_16_64 3
		.amdhsa_dx10_clamp 1
		.amdhsa_ieee_mode 1
		.amdhsa_fp16_overflow 0
		.amdhsa_exception_fp_ieee_invalid_op 0
		.amdhsa_exception_fp_denorm_src 0
		.amdhsa_exception_fp_ieee_div_zero 0
		.amdhsa_exception_fp_ieee_overflow 0
		.amdhsa_exception_fp_ieee_underflow 0
		.amdhsa_exception_fp_ieee_inexact 0
		.amdhsa_exception_int_div_zero 0
	.end_amdhsa_kernel
	.section	.text._ZL23rocblas_dot_kernel_inc1ILb0ELi512ELi4ELb1EfPKddEviT4_llS2_lliPT5_PT3_,"axG",@progbits,_ZL23rocblas_dot_kernel_inc1ILb0ELi512ELi4ELb1EfPKddEviT4_llS2_lliPT5_PT3_,comdat
.Lfunc_end239:
	.size	_ZL23rocblas_dot_kernel_inc1ILb0ELi512ELi4ELb1EfPKddEviT4_llS2_lliPT5_PT3_, .Lfunc_end239-_ZL23rocblas_dot_kernel_inc1ILb0ELi512ELi4ELb1EfPKddEviT4_llS2_lliPT5_PT3_
                                        ; -- End function
	.set _ZL23rocblas_dot_kernel_inc1ILb0ELi512ELi4ELb1EfPKddEviT4_llS2_lliPT5_PT3_.num_vgpr, 17
	.set _ZL23rocblas_dot_kernel_inc1ILb0ELi512ELi4ELb1EfPKddEviT4_llS2_lliPT5_PT3_.num_agpr, 0
	.set _ZL23rocblas_dot_kernel_inc1ILb0ELi512ELi4ELb1EfPKddEviT4_llS2_lliPT5_PT3_.numbered_sgpr, 28
	.set _ZL23rocblas_dot_kernel_inc1ILb0ELi512ELi4ELb1EfPKddEviT4_llS2_lliPT5_PT3_.num_named_barrier, 0
	.set _ZL23rocblas_dot_kernel_inc1ILb0ELi512ELi4ELb1EfPKddEviT4_llS2_lliPT5_PT3_.private_seg_size, 0
	.set _ZL23rocblas_dot_kernel_inc1ILb0ELi512ELi4ELb1EfPKddEviT4_llS2_lliPT5_PT3_.uses_vcc, 1
	.set _ZL23rocblas_dot_kernel_inc1ILb0ELi512ELi4ELb1EfPKddEviT4_llS2_lliPT5_PT3_.uses_flat_scratch, 0
	.set _ZL23rocblas_dot_kernel_inc1ILb0ELi512ELi4ELb1EfPKddEviT4_llS2_lliPT5_PT3_.has_dyn_sized_stack, 0
	.set _ZL23rocblas_dot_kernel_inc1ILb0ELi512ELi4ELb1EfPKddEviT4_llS2_lliPT5_PT3_.has_recursion, 0
	.set _ZL23rocblas_dot_kernel_inc1ILb0ELi512ELi4ELb1EfPKddEviT4_llS2_lliPT5_PT3_.has_indirect_call, 0
	.section	.AMDGPU.csdata,"",@progbits
; Kernel info:
; codeLenInByte = 1044
; TotalNumSgprs: 32
; NumVgprs: 17
; ScratchSize: 0
; MemoryBound: 0
; FloatMode: 240
; IeeeMode: 1
; LDSByteSize: 512 bytes/workgroup (compile time only)
; SGPRBlocks: 3
; VGPRBlocks: 4
; NumSGPRsForWavesPerEU: 32
; NumVGPRsForWavesPerEU: 17
; Occupancy: 10
; WaveLimiterHint : 0
; COMPUTE_PGM_RSRC2:SCRATCH_EN: 0
; COMPUTE_PGM_RSRC2:USER_SGPR: 6
; COMPUTE_PGM_RSRC2:TRAP_HANDLER: 0
; COMPUTE_PGM_RSRC2:TGID_X_EN: 1
; COMPUTE_PGM_RSRC2:TGID_Y_EN: 0
; COMPUTE_PGM_RSRC2:TGID_Z_EN: 1
; COMPUTE_PGM_RSRC2:TIDIG_COMP_CNT: 0
	.section	.text._ZL18rocblas_dot_kernelIiLb0ELi512ELi4ELb1EfPKddEviT5_lT_lS2_lS3_liPT6_PT4_,"axG",@progbits,_ZL18rocblas_dot_kernelIiLb0ELi512ELi4ELb1EfPKddEviT5_lT_lS2_lS3_liPT6_PT4_,comdat
	.globl	_ZL18rocblas_dot_kernelIiLb0ELi512ELi4ELb1EfPKddEviT5_lT_lS2_lS3_liPT6_PT4_ ; -- Begin function _ZL18rocblas_dot_kernelIiLb0ELi512ELi4ELb1EfPKddEviT5_lT_lS2_lS3_liPT6_PT4_
	.p2align	8
	.type	_ZL18rocblas_dot_kernelIiLb0ELi512ELi4ELb1EfPKddEviT5_lT_lS2_lS3_liPT6_PT4_,@function
_ZL18rocblas_dot_kernelIiLb0ELi512ELi4ELb1EfPKddEviT5_lT_lS2_lS3_liPT6_PT4_: ; @_ZL18rocblas_dot_kernelIiLb0ELi512ELi4ELb1EfPKddEviT5_lT_lS2_lS3_liPT6_PT4_
; %bb.0:
	s_mov_b32 s12, s7
	s_load_dword s18, s[4:5], 0x60
	s_load_dword s7, s[4:5], 0x0
	s_load_dwordx4 s[8:11], s[4:5], 0x50
	v_lshl_or_b32 v5, s6, 9, v0
	v_mov_b32_e32 v1, 0
	s_mov_b32 s13, 0
	v_mov_b32_e32 v2, 0
	s_waitcnt lgkmcnt(0)
	v_cmp_gt_i32_e32 vcc, s7, v5
	s_and_saveexec_b64 s[14:15], vcc
	s_cbranch_execz .LBB240_4
; %bb.1:
	s_load_dword s26, s[4:5], 0x18
	s_load_dwordx4 s[20:23], s[4:5], 0x8
	s_load_dwordx4 s[0:3], s[4:5], 0x20
	s_load_dwordx2 s[16:17], s[4:5], 0x30
	s_lshl_b32 s19, s18, 9
	s_waitcnt lgkmcnt(0)
	v_mad_i64_i32 v[1:2], s[24:25], s26, v5, 0
	s_load_dword s27, s[4:5], 0x38
	s_load_dwordx2 s[24:25], s[4:5], 0x40
	s_mul_i32 s1, s1, s12
	s_mul_hi_u32 s4, s0, s12
	s_add_i32 s1, s4, s1
	s_mul_i32 s0, s0, s12
	s_lshl_b64 s[0:1], s[0:1], 3
	s_lshl_b64 s[4:5], s[22:23], 3
	s_add_u32 s4, s20, s4
	s_addc_u32 s5, s21, s5
	v_lshlrev_b64 v[1:2], 3, v[1:2]
	s_add_u32 s0, s4, s0
	s_addc_u32 s1, s5, s1
	v_mov_b32_e32 v4, s1
	v_add_co_u32_e32 v3, vcc, s0, v1
	v_addc_co_u32_e32 v4, vcc, v4, v2, vcc
	s_waitcnt lgkmcnt(0)
	v_mad_i64_i32 v[1:2], s[0:1], s27, v5, 0
	s_mul_hi_i32 s1, s26, s19
	s_mul_i32 s0, s26, s19
	s_lshl_b64 s[4:5], s[0:1], 3
	s_mul_i32 s0, s25, s12
	s_mul_hi_u32 s1, s24, s12
	s_add_i32 s1, s1, s0
	s_mul_i32 s0, s24, s12
	s_lshl_b64 s[0:1], s[0:1], 3
	s_lshl_b64 s[16:17], s[16:17], 3
	s_add_u32 s2, s2, s16
	s_addc_u32 s3, s3, s17
	v_lshlrev_b64 v[1:2], 3, v[1:2]
	s_add_u32 s0, s2, s0
	s_addc_u32 s1, s3, s1
	v_add_u32_e32 v7, s19, v5
	v_mov_b32_e32 v6, s1
	v_add_co_u32_e32 v5, vcc, s0, v1
	s_mul_hi_i32 s1, s27, s19
	s_mul_i32 s0, s27, s19
	v_addc_co_u32_e32 v6, vcc, v6, v2, vcc
	s_lshl_b64 s[2:3], s[0:1], 3
	v_mov_b32_e32 v1, 0
	v_mov_b32_e32 v2, 0
	s_mov_b64 s[16:17], 0
	v_mov_b32_e32 v8, s5
	v_mov_b32_e32 v9, s3
	s_mov_b32 s3, s13
.LBB240_2:                              ; =>This Inner Loop Header: Depth=1
	global_load_dwordx2 v[10:11], v[5:6], off
	global_load_dwordx2 v[12:13], v[3:4], off
	v_add_co_u32_e64 v3, s[0:1], s4, v3
	v_addc_co_u32_e64 v4, s[0:1], v4, v8, s[0:1]
	s_add_i32 s5, s3, 1
	v_add_co_u32_e64 v5, s[0:1], s2, v5
	v_addc_co_u32_e64 v6, s[0:1], v6, v9, s[0:1]
	s_cmp_gt_u32 s3, 2
	v_cmp_le_i32_e32 vcc, s7, v7
	s_cselect_b64 s[0:1], -1, 0
	s_or_b64 s[0:1], s[0:1], vcc
	s_and_b64 s[0:1], exec, s[0:1]
	v_add_u32_e32 v7, s19, v7
	s_or_b64 s[16:17], s[0:1], s[16:17]
	s_mov_b32 s3, s5
	s_waitcnt vmcnt(0)
	v_fma_f64 v[1:2], v[10:11], v[12:13], v[1:2]
	s_andn2_b64 exec, exec, s[16:17]
	s_cbranch_execnz .LBB240_2
; %bb.3:
	s_or_b64 exec, exec, s[16:17]
.LBB240_4:
	s_or_b64 exec, exec, s[14:15]
	v_and_b32_e32 v6, 63, v0
	v_cmp_gt_u32_e32 vcc, 64, v0
	v_lshlrev_b32_e32 v5, 3, v6
	s_and_saveexec_b64 s[0:1], vcc
; %bb.5:
	v_mov_b32_e32 v3, 0
	v_mov_b32_e32 v4, v3
	ds_write_b64 v5, v[3:4]
; %bb.6:
	s_or_b64 exec, exec, s[0:1]
	v_mbcnt_lo_u32_b32 v3, -1, 0
	v_mbcnt_hi_u32_b32 v9, -1, v3
	v_mov_b32_e32 v3, 0x80
	v_lshl_or_b32 v4, v9, 2, v3
	ds_bpermute_b32 v3, v4, v1
	ds_bpermute_b32 v4, v4, v2
	v_and_b32_e32 v10, 63, v9
	v_cmp_gt_u32_e64 s[0:1], 48, v10
	s_waitcnt lgkmcnt(0)
	s_barrier
	v_add_f64 v[1:2], v[1:2], v[3:4]
	v_cndmask_b32_e64 v3, 0, 16, s[0:1]
	v_add_lshl_u32 v4, v3, v9, 2
	v_cmp_gt_u32_e64 s[0:1], 56, v10
	ds_bpermute_b32 v3, v4, v1
	ds_bpermute_b32 v4, v4, v2
	s_waitcnt lgkmcnt(0)
	v_add_f64 v[1:2], v[1:2], v[3:4]
	v_cndmask_b32_e64 v3, 0, 8, s[0:1]
	v_add_lshl_u32 v4, v3, v9, 2
	v_cmp_gt_u32_e64 s[0:1], 60, v10
	ds_bpermute_b32 v3, v4, v1
	ds_bpermute_b32 v4, v4, v2
	s_waitcnt lgkmcnt(0)
	;; [unrolled: 7-line block ×3, first 2 shown]
	v_add_f64 v[1:2], v[1:2], v[3:4]
	v_cndmask_b32_e64 v3, 0, 2, s[0:1]
	v_add_lshl_u32 v8, v3, v9, 2
	v_cmp_ne_u32_e64 s[0:1], 63, v10
	ds_bpermute_b32 v3, v8, v1
	ds_bpermute_b32 v4, v8, v2
	s_waitcnt lgkmcnt(0)
	v_add_f64 v[1:2], v[1:2], v[3:4]
	v_addc_co_u32_e64 v3, s[0:1], 0, v9, s[0:1]
	v_lshlrev_b32_e32 v9, 2, v3
	v_cmp_eq_u32_e64 s[0:1], 0, v6
	ds_bpermute_b32 v3, v9, v1
	ds_bpermute_b32 v4, v9, v2
	s_and_saveexec_b64 s[2:3], s[0:1]
	s_cbranch_execz .LBB240_8
; %bb.7:
	s_waitcnt lgkmcnt(0)
	v_add_f64 v[1:2], v[1:2], v[3:4]
	v_lshrrev_b32_e32 v3, 3, v0
	v_and_b32_e32 v3, 56, v3
	ds_write_b64 v3, v[1:2]
.LBB240_8:
	s_or_b64 exec, exec, s[2:3]
	v_mov_b32_e32 v1, 0
	v_mov_b32_e32 v2, 0
	v_cmp_gt_u32_e64 s[0:1], 8, v0
	s_waitcnt lgkmcnt(0)
	s_barrier
	s_and_saveexec_b64 s[2:3], s[0:1]
	s_cbranch_execnz .LBB240_12
; %bb.9:
	s_or_b64 exec, exec, s[2:3]
	s_and_saveexec_b64 s[0:1], vcc
	s_cbranch_execnz .LBB240_13
.LBB240_10:
	s_or_b64 exec, exec, s[0:1]
	v_cmp_eq_u32_e32 vcc, 0, v0
	s_and_saveexec_b64 s[0:1], vcc
	s_cbranch_execnz .LBB240_14
.LBB240_11:
	s_endpgm
.LBB240_12:
	ds_read_b64 v[1:2], v5
	s_or_b64 exec, exec, s[2:3]
	s_and_saveexec_b64 s[0:1], vcc
	s_cbranch_execz .LBB240_10
.LBB240_13:
	s_waitcnt lgkmcnt(0)
	ds_bpermute_b32 v3, v7, v1
	ds_bpermute_b32 v4, v7, v2
	s_waitcnt lgkmcnt(0)
	v_add_f64 v[1:2], v[1:2], v[3:4]
	ds_bpermute_b32 v3, v8, v1
	ds_bpermute_b32 v4, v8, v2
	s_waitcnt lgkmcnt(0)
	v_add_f64 v[1:2], v[1:2], v[3:4]
	;; [unrolled: 4-line block ×3, first 2 shown]
	s_or_b64 exec, exec, s[0:1]
	v_cmp_eq_u32_e32 vcc, 0, v0
	s_and_saveexec_b64 s[0:1], vcc
	s_cbranch_execz .LBB240_11
.LBB240_14:
	s_cmp_lg_u32 s18, 1
	s_mov_b64 s[0:1], -1
	s_cbranch_scc0 .LBB240_16
; %bb.15:
	s_mul_hi_u32 s1, s18, s12
	s_mul_i32 s0, s18, s12
	s_lshl_b64 s[0:1], s[0:1], 3
	s_mov_b32 s7, 0
	s_add_u32 s2, s8, s0
	s_addc_u32 s3, s9, s1
	s_lshl_b64 s[0:1], s[6:7], 3
	s_add_u32 s0, s2, s0
	s_addc_u32 s1, s3, s1
	v_mov_b32_e32 v0, 0
	s_waitcnt lgkmcnt(0)
	global_store_dwordx2 v0, v[1:2], s[0:1]
	s_mov_b64 s[0:1], 0
.LBB240_16:
	s_andn2_b64 vcc, exec, s[0:1]
	s_cbranch_vccnz .LBB240_11
; %bb.17:
	s_waitcnt lgkmcnt(0)
	v_cvt_f32_f64_e32 v0, v[1:2]
	s_lshl_b64 s[0:1], s[12:13], 2
	s_add_u32 s0, s10, s0
	s_addc_u32 s1, s11, s1
	v_mov_b32_e32 v1, 0
	global_store_dword v1, v0, s[0:1]
	s_endpgm
	.section	.rodata,"a",@progbits
	.p2align	6, 0x0
	.amdhsa_kernel _ZL18rocblas_dot_kernelIiLb0ELi512ELi4ELb1EfPKddEviT5_lT_lS2_lS3_liPT6_PT4_
		.amdhsa_group_segment_fixed_size 512
		.amdhsa_private_segment_fixed_size 0
		.amdhsa_kernarg_size 352
		.amdhsa_user_sgpr_count 6
		.amdhsa_user_sgpr_private_segment_buffer 1
		.amdhsa_user_sgpr_dispatch_ptr 0
		.amdhsa_user_sgpr_queue_ptr 0
		.amdhsa_user_sgpr_kernarg_segment_ptr 1
		.amdhsa_user_sgpr_dispatch_id 0
		.amdhsa_user_sgpr_flat_scratch_init 0
		.amdhsa_user_sgpr_private_segment_size 0
		.amdhsa_uses_dynamic_stack 0
		.amdhsa_system_sgpr_private_segment_wavefront_offset 0
		.amdhsa_system_sgpr_workgroup_id_x 1
		.amdhsa_system_sgpr_workgroup_id_y 0
		.amdhsa_system_sgpr_workgroup_id_z 1
		.amdhsa_system_sgpr_workgroup_info 0
		.amdhsa_system_vgpr_workitem_id 0
		.amdhsa_next_free_vgpr 14
		.amdhsa_next_free_sgpr 28
		.amdhsa_reserve_vcc 1
		.amdhsa_reserve_flat_scratch 0
		.amdhsa_float_round_mode_32 0
		.amdhsa_float_round_mode_16_64 0
		.amdhsa_float_denorm_mode_32 3
		.amdhsa_float_denorm_mode_16_64 3
		.amdhsa_dx10_clamp 1
		.amdhsa_ieee_mode 1
		.amdhsa_fp16_overflow 0
		.amdhsa_exception_fp_ieee_invalid_op 0
		.amdhsa_exception_fp_denorm_src 0
		.amdhsa_exception_fp_ieee_div_zero 0
		.amdhsa_exception_fp_ieee_overflow 0
		.amdhsa_exception_fp_ieee_underflow 0
		.amdhsa_exception_fp_ieee_inexact 0
		.amdhsa_exception_int_div_zero 0
	.end_amdhsa_kernel
	.section	.text._ZL18rocblas_dot_kernelIiLb0ELi512ELi4ELb1EfPKddEviT5_lT_lS2_lS3_liPT6_PT4_,"axG",@progbits,_ZL18rocblas_dot_kernelIiLb0ELi512ELi4ELb1EfPKddEviT5_lT_lS2_lS3_liPT6_PT4_,comdat
.Lfunc_end240:
	.size	_ZL18rocblas_dot_kernelIiLb0ELi512ELi4ELb1EfPKddEviT5_lT_lS2_lS3_liPT6_PT4_, .Lfunc_end240-_ZL18rocblas_dot_kernelIiLb0ELi512ELi4ELb1EfPKddEviT5_lT_lS2_lS3_liPT6_PT4_
                                        ; -- End function
	.set _ZL18rocblas_dot_kernelIiLb0ELi512ELi4ELb1EfPKddEviT5_lT_lS2_lS3_liPT6_PT4_.num_vgpr, 14
	.set _ZL18rocblas_dot_kernelIiLb0ELi512ELi4ELb1EfPKddEviT5_lT_lS2_lS3_liPT6_PT4_.num_agpr, 0
	.set _ZL18rocblas_dot_kernelIiLb0ELi512ELi4ELb1EfPKddEviT5_lT_lS2_lS3_liPT6_PT4_.numbered_sgpr, 28
	.set _ZL18rocblas_dot_kernelIiLb0ELi512ELi4ELb1EfPKddEviT5_lT_lS2_lS3_liPT6_PT4_.num_named_barrier, 0
	.set _ZL18rocblas_dot_kernelIiLb0ELi512ELi4ELb1EfPKddEviT5_lT_lS2_lS3_liPT6_PT4_.private_seg_size, 0
	.set _ZL18rocblas_dot_kernelIiLb0ELi512ELi4ELb1EfPKddEviT5_lT_lS2_lS3_liPT6_PT4_.uses_vcc, 1
	.set _ZL18rocblas_dot_kernelIiLb0ELi512ELi4ELb1EfPKddEviT5_lT_lS2_lS3_liPT6_PT4_.uses_flat_scratch, 0
	.set _ZL18rocblas_dot_kernelIiLb0ELi512ELi4ELb1EfPKddEviT5_lT_lS2_lS3_liPT6_PT4_.has_dyn_sized_stack, 0
	.set _ZL18rocblas_dot_kernelIiLb0ELi512ELi4ELb1EfPKddEviT5_lT_lS2_lS3_liPT6_PT4_.has_recursion, 0
	.set _ZL18rocblas_dot_kernelIiLb0ELi512ELi4ELb1EfPKddEviT5_lT_lS2_lS3_liPT6_PT4_.has_indirect_call, 0
	.section	.AMDGPU.csdata,"",@progbits
; Kernel info:
; codeLenInByte = 1120
; TotalNumSgprs: 32
; NumVgprs: 14
; ScratchSize: 0
; MemoryBound: 0
; FloatMode: 240
; IeeeMode: 1
; LDSByteSize: 512 bytes/workgroup (compile time only)
; SGPRBlocks: 3
; VGPRBlocks: 3
; NumSGPRsForWavesPerEU: 32
; NumVGPRsForWavesPerEU: 14
; Occupancy: 10
; WaveLimiterHint : 0
; COMPUTE_PGM_RSRC2:SCRATCH_EN: 0
; COMPUTE_PGM_RSRC2:USER_SGPR: 6
; COMPUTE_PGM_RSRC2:TRAP_HANDLER: 0
; COMPUTE_PGM_RSRC2:TGID_X_EN: 1
; COMPUTE_PGM_RSRC2:TGID_Y_EN: 0
; COMPUTE_PGM_RSRC2:TGID_Z_EN: 1
; COMPUTE_PGM_RSRC2:TIDIG_COMP_CNT: 0
	.section	.text._ZL24rocblas_dot_kernel_magsqIiLb0ELi512ELi4ELb1EfPKddEviT5_lT_liPT6_PT4_,"axG",@progbits,_ZL24rocblas_dot_kernel_magsqIiLb0ELi512ELi4ELb1EfPKddEviT5_lT_liPT6_PT4_,comdat
	.globl	_ZL24rocblas_dot_kernel_magsqIiLb0ELi512ELi4ELb1EfPKddEviT5_lT_liPT6_PT4_ ; -- Begin function _ZL24rocblas_dot_kernel_magsqIiLb0ELi512ELi4ELb1EfPKddEviT5_lT_liPT6_PT4_
	.p2align	8
	.type	_ZL24rocblas_dot_kernel_magsqIiLb0ELi512ELi4ELb1EfPKddEviT5_lT_liPT6_PT4_,@function
_ZL24rocblas_dot_kernel_magsqIiLb0ELi512ELi4ELb1EfPKddEviT5_lT_liPT6_PT4_: ; @_ZL24rocblas_dot_kernel_magsqIiLb0ELi512ELi4ELb1EfPKddEviT5_lT_liPT6_PT4_
; %bb.0:
	s_mov_b32 s2, s7
	s_load_dword s7, s[4:5], 0x0
	s_load_dwordx4 s[8:11], s[4:5], 0x30
	s_load_dword s16, s[4:5], 0x40
	v_lshl_or_b32 v3, s6, 9, v0
	v_mov_b32_e32 v1, 0
	s_mov_b32 s3, 0
	v_mov_b32_e32 v2, 0
	s_waitcnt lgkmcnt(0)
	v_cmp_gt_i32_e32 vcc, s7, v3
	s_and_saveexec_b64 s[12:13], vcc
	s_cbranch_execz .LBB241_4
; %bb.1:
	s_load_dword s14, s[4:5], 0x18
	s_load_dwordx4 s[20:23], s[4:5], 0x8
	s_load_dwordx2 s[0:1], s[4:5], 0x20
	s_lshl_b32 s17, s16, 9
	v_add_u32_e32 v5, s17, v3
	s_waitcnt lgkmcnt(0)
	v_mad_i64_i32 v[1:2], s[4:5], s14, v3, 0
	s_mul_i32 s1, s1, s2
	s_mul_hi_u32 s4, s0, s2
	s_add_i32 s1, s4, s1
	s_mul_i32 s0, s0, s2
	s_lshl_b64 s[0:1], s[0:1], 3
	s_lshl_b64 s[4:5], s[22:23], 3
	s_add_u32 s4, s20, s4
	s_addc_u32 s5, s21, s5
	v_lshlrev_b64 v[1:2], 3, v[1:2]
	s_add_u32 s0, s4, s0
	s_addc_u32 s1, s5, s1
	v_mov_b32_e32 v4, s1
	v_add_co_u32_e32 v3, vcc, s0, v1
	s_mul_hi_i32 s1, s14, s17
	s_mul_i32 s0, s14, s17
	v_addc_co_u32_e32 v4, vcc, v4, v2, vcc
	s_lshl_b64 s[4:5], s[0:1], 3
	v_mov_b32_e32 v1, 0
	v_mov_b32_e32 v2, 0
	s_mov_b64 s[14:15], 0
	v_mov_b32_e32 v6, s5
	s_mov_b32 s5, s3
.LBB241_2:                              ; =>This Inner Loop Header: Depth=1
	global_load_dwordx2 v[7:8], v[3:4], off
	s_add_i32 s18, s5, 1
	v_add_co_u32_e64 v3, s[0:1], s4, v3
	v_addc_co_u32_e64 v4, s[0:1], v4, v6, s[0:1]
	s_cmp_gt_u32 s5, 2
	v_cmp_le_i32_e32 vcc, s7, v5
	s_cselect_b64 s[0:1], -1, 0
	s_or_b64 s[0:1], s[0:1], vcc
	s_and_b64 s[0:1], exec, s[0:1]
	v_add_u32_e32 v5, s17, v5
	s_or_b64 s[14:15], s[0:1], s[14:15]
	s_mov_b32 s5, s18
	s_waitcnt vmcnt(0)
	v_fma_f64 v[1:2], v[7:8], v[7:8], v[1:2]
	s_andn2_b64 exec, exec, s[14:15]
	s_cbranch_execnz .LBB241_2
; %bb.3:
	s_or_b64 exec, exec, s[14:15]
.LBB241_4:
	s_or_b64 exec, exec, s[12:13]
	v_and_b32_e32 v6, 63, v0
	v_cmp_gt_u32_e32 vcc, 64, v0
	v_lshlrev_b32_e32 v5, 3, v6
	s_and_saveexec_b64 s[0:1], vcc
; %bb.5:
	v_mov_b32_e32 v3, 0
	v_mov_b32_e32 v4, v3
	ds_write_b64 v5, v[3:4]
; %bb.6:
	s_or_b64 exec, exec, s[0:1]
	v_mbcnt_lo_u32_b32 v3, -1, 0
	v_mbcnt_hi_u32_b32 v9, -1, v3
	v_mov_b32_e32 v3, 0x80
	v_lshl_or_b32 v4, v9, 2, v3
	ds_bpermute_b32 v3, v4, v1
	ds_bpermute_b32 v4, v4, v2
	v_and_b32_e32 v10, 63, v9
	v_cmp_gt_u32_e64 s[0:1], 48, v10
	s_waitcnt lgkmcnt(0)
	s_barrier
	v_add_f64 v[1:2], v[1:2], v[3:4]
	v_cndmask_b32_e64 v3, 0, 16, s[0:1]
	v_add_lshl_u32 v4, v3, v9, 2
	v_cmp_gt_u32_e64 s[0:1], 56, v10
	ds_bpermute_b32 v3, v4, v1
	ds_bpermute_b32 v4, v4, v2
	s_waitcnt lgkmcnt(0)
	v_add_f64 v[1:2], v[1:2], v[3:4]
	v_cndmask_b32_e64 v3, 0, 8, s[0:1]
	v_add_lshl_u32 v4, v3, v9, 2
	v_cmp_gt_u32_e64 s[0:1], 60, v10
	ds_bpermute_b32 v3, v4, v1
	ds_bpermute_b32 v4, v4, v2
	s_waitcnt lgkmcnt(0)
	;; [unrolled: 7-line block ×3, first 2 shown]
	v_add_f64 v[1:2], v[1:2], v[3:4]
	v_cndmask_b32_e64 v3, 0, 2, s[0:1]
	v_add_lshl_u32 v8, v3, v9, 2
	v_cmp_ne_u32_e64 s[0:1], 63, v10
	ds_bpermute_b32 v3, v8, v1
	ds_bpermute_b32 v4, v8, v2
	s_waitcnt lgkmcnt(0)
	v_add_f64 v[1:2], v[1:2], v[3:4]
	v_addc_co_u32_e64 v3, s[0:1], 0, v9, s[0:1]
	v_lshlrev_b32_e32 v9, 2, v3
	v_cmp_eq_u32_e64 s[0:1], 0, v6
	ds_bpermute_b32 v3, v9, v1
	ds_bpermute_b32 v4, v9, v2
	s_and_saveexec_b64 s[4:5], s[0:1]
	s_cbranch_execz .LBB241_8
; %bb.7:
	s_waitcnt lgkmcnt(0)
	v_add_f64 v[1:2], v[1:2], v[3:4]
	v_lshrrev_b32_e32 v3, 3, v0
	v_and_b32_e32 v3, 56, v3
	ds_write_b64 v3, v[1:2]
.LBB241_8:
	s_or_b64 exec, exec, s[4:5]
	v_mov_b32_e32 v1, 0
	v_mov_b32_e32 v2, 0
	v_cmp_gt_u32_e64 s[0:1], 8, v0
	s_waitcnt lgkmcnt(0)
	s_barrier
	s_and_saveexec_b64 s[4:5], s[0:1]
	s_cbranch_execnz .LBB241_12
; %bb.9:
	s_or_b64 exec, exec, s[4:5]
	s_and_saveexec_b64 s[0:1], vcc
	s_cbranch_execnz .LBB241_13
.LBB241_10:
	s_or_b64 exec, exec, s[0:1]
	v_cmp_eq_u32_e32 vcc, 0, v0
	s_and_saveexec_b64 s[0:1], vcc
	s_cbranch_execnz .LBB241_14
.LBB241_11:
	s_endpgm
.LBB241_12:
	ds_read_b64 v[1:2], v5
	s_or_b64 exec, exec, s[4:5]
	s_and_saveexec_b64 s[0:1], vcc
	s_cbranch_execz .LBB241_10
.LBB241_13:
	s_waitcnt lgkmcnt(0)
	ds_bpermute_b32 v3, v7, v1
	ds_bpermute_b32 v4, v7, v2
	s_waitcnt lgkmcnt(0)
	v_add_f64 v[1:2], v[1:2], v[3:4]
	ds_bpermute_b32 v3, v8, v1
	ds_bpermute_b32 v4, v8, v2
	s_waitcnt lgkmcnt(0)
	v_add_f64 v[1:2], v[1:2], v[3:4]
	;; [unrolled: 4-line block ×3, first 2 shown]
	s_or_b64 exec, exec, s[0:1]
	v_cmp_eq_u32_e32 vcc, 0, v0
	s_and_saveexec_b64 s[0:1], vcc
	s_cbranch_execz .LBB241_11
.LBB241_14:
	s_cmp_lg_u32 s16, 1
	s_mov_b64 s[0:1], -1
	s_cbranch_scc0 .LBB241_16
; %bb.15:
	s_mul_hi_u32 s1, s16, s2
	s_mul_i32 s0, s16, s2
	s_lshl_b64 s[0:1], s[0:1], 3
	s_mov_b32 s7, 0
	s_add_u32 s4, s8, s0
	s_addc_u32 s5, s9, s1
	s_lshl_b64 s[0:1], s[6:7], 3
	s_add_u32 s0, s4, s0
	s_addc_u32 s1, s5, s1
	v_mov_b32_e32 v0, 0
	s_waitcnt lgkmcnt(0)
	global_store_dwordx2 v0, v[1:2], s[0:1]
	s_mov_b64 s[0:1], 0
.LBB241_16:
	s_andn2_b64 vcc, exec, s[0:1]
	s_cbranch_vccnz .LBB241_11
; %bb.17:
	s_waitcnt lgkmcnt(0)
	v_cvt_f32_f64_e32 v0, v[1:2]
	s_lshl_b64 s[0:1], s[2:3], 2
	s_add_u32 s0, s10, s0
	s_addc_u32 s1, s11, s1
	v_mov_b32_e32 v1, 0
	global_store_dword v1, v0, s[0:1]
	s_endpgm
	.section	.rodata,"a",@progbits
	.p2align	6, 0x0
	.amdhsa_kernel _ZL24rocblas_dot_kernel_magsqIiLb0ELi512ELi4ELb1EfPKddEviT5_lT_liPT6_PT4_
		.amdhsa_group_segment_fixed_size 512
		.amdhsa_private_segment_fixed_size 0
		.amdhsa_kernarg_size 320
		.amdhsa_user_sgpr_count 6
		.amdhsa_user_sgpr_private_segment_buffer 1
		.amdhsa_user_sgpr_dispatch_ptr 0
		.amdhsa_user_sgpr_queue_ptr 0
		.amdhsa_user_sgpr_kernarg_segment_ptr 1
		.amdhsa_user_sgpr_dispatch_id 0
		.amdhsa_user_sgpr_flat_scratch_init 0
		.amdhsa_user_sgpr_private_segment_size 0
		.amdhsa_uses_dynamic_stack 0
		.amdhsa_system_sgpr_private_segment_wavefront_offset 0
		.amdhsa_system_sgpr_workgroup_id_x 1
		.amdhsa_system_sgpr_workgroup_id_y 0
		.amdhsa_system_sgpr_workgroup_id_z 1
		.amdhsa_system_sgpr_workgroup_info 0
		.amdhsa_system_vgpr_workitem_id 0
		.amdhsa_next_free_vgpr 11
		.amdhsa_next_free_sgpr 24
		.amdhsa_reserve_vcc 1
		.amdhsa_reserve_flat_scratch 0
		.amdhsa_float_round_mode_32 0
		.amdhsa_float_round_mode_16_64 0
		.amdhsa_float_denorm_mode_32 3
		.amdhsa_float_denorm_mode_16_64 3
		.amdhsa_dx10_clamp 1
		.amdhsa_ieee_mode 1
		.amdhsa_fp16_overflow 0
		.amdhsa_exception_fp_ieee_invalid_op 0
		.amdhsa_exception_fp_denorm_src 0
		.amdhsa_exception_fp_ieee_div_zero 0
		.amdhsa_exception_fp_ieee_overflow 0
		.amdhsa_exception_fp_ieee_underflow 0
		.amdhsa_exception_fp_ieee_inexact 0
		.amdhsa_exception_int_div_zero 0
	.end_amdhsa_kernel
	.section	.text._ZL24rocblas_dot_kernel_magsqIiLb0ELi512ELi4ELb1EfPKddEviT5_lT_liPT6_PT4_,"axG",@progbits,_ZL24rocblas_dot_kernel_magsqIiLb0ELi512ELi4ELb1EfPKddEviT5_lT_liPT6_PT4_,comdat
.Lfunc_end241:
	.size	_ZL24rocblas_dot_kernel_magsqIiLb0ELi512ELi4ELb1EfPKddEviT5_lT_liPT6_PT4_, .Lfunc_end241-_ZL24rocblas_dot_kernel_magsqIiLb0ELi512ELi4ELb1EfPKddEviT5_lT_liPT6_PT4_
                                        ; -- End function
	.set _ZL24rocblas_dot_kernel_magsqIiLb0ELi512ELi4ELb1EfPKddEviT5_lT_liPT6_PT4_.num_vgpr, 11
	.set _ZL24rocblas_dot_kernel_magsqIiLb0ELi512ELi4ELb1EfPKddEviT5_lT_liPT6_PT4_.num_agpr, 0
	.set _ZL24rocblas_dot_kernel_magsqIiLb0ELi512ELi4ELb1EfPKddEviT5_lT_liPT6_PT4_.numbered_sgpr, 24
	.set _ZL24rocblas_dot_kernel_magsqIiLb0ELi512ELi4ELb1EfPKddEviT5_lT_liPT6_PT4_.num_named_barrier, 0
	.set _ZL24rocblas_dot_kernel_magsqIiLb0ELi512ELi4ELb1EfPKddEviT5_lT_liPT6_PT4_.private_seg_size, 0
	.set _ZL24rocblas_dot_kernel_magsqIiLb0ELi512ELi4ELb1EfPKddEviT5_lT_liPT6_PT4_.uses_vcc, 1
	.set _ZL24rocblas_dot_kernel_magsqIiLb0ELi512ELi4ELb1EfPKddEviT5_lT_liPT6_PT4_.uses_flat_scratch, 0
	.set _ZL24rocblas_dot_kernel_magsqIiLb0ELi512ELi4ELb1EfPKddEviT5_lT_liPT6_PT4_.has_dyn_sized_stack, 0
	.set _ZL24rocblas_dot_kernel_magsqIiLb0ELi512ELi4ELb1EfPKddEviT5_lT_liPT6_PT4_.has_recursion, 0
	.set _ZL24rocblas_dot_kernel_magsqIiLb0ELi512ELi4ELb1EfPKddEviT5_lT_liPT6_PT4_.has_indirect_call, 0
	.section	.AMDGPU.csdata,"",@progbits
; Kernel info:
; codeLenInByte = 984
; TotalNumSgprs: 28
; NumVgprs: 11
; ScratchSize: 0
; MemoryBound: 0
; FloatMode: 240
; IeeeMode: 1
; LDSByteSize: 512 bytes/workgroup (compile time only)
; SGPRBlocks: 3
; VGPRBlocks: 2
; NumSGPRsForWavesPerEU: 28
; NumVGPRsForWavesPerEU: 11
; Occupancy: 10
; WaveLimiterHint : 0
; COMPUTE_PGM_RSRC2:SCRATCH_EN: 0
; COMPUTE_PGM_RSRC2:USER_SGPR: 6
; COMPUTE_PGM_RSRC2:TRAP_HANDLER: 0
; COMPUTE_PGM_RSRC2:TGID_X_EN: 1
; COMPUTE_PGM_RSRC2:TGID_Y_EN: 0
; COMPUTE_PGM_RSRC2:TGID_Z_EN: 1
; COMPUTE_PGM_RSRC2:TIDIG_COMP_CNT: 0
	.section	.text._ZL30rocblas_reduction_kernel_part2ILi512ELi4E25rocblas_finalize_identitydfEviPT2_PT3_,"axG",@progbits,_ZL30rocblas_reduction_kernel_part2ILi512ELi4E25rocblas_finalize_identitydfEviPT2_PT3_,comdat
	.globl	_ZL30rocblas_reduction_kernel_part2ILi512ELi4E25rocblas_finalize_identitydfEviPT2_PT3_ ; -- Begin function _ZL30rocblas_reduction_kernel_part2ILi512ELi4E25rocblas_finalize_identitydfEviPT2_PT3_
	.p2align	8
	.type	_ZL30rocblas_reduction_kernel_part2ILi512ELi4E25rocblas_finalize_identitydfEviPT2_PT3_,@function
_ZL30rocblas_reduction_kernel_part2ILi512ELi4E25rocblas_finalize_identitydfEviPT2_PT3_: ; @_ZL30rocblas_reduction_kernel_part2ILi512ELi4E25rocblas_finalize_identitydfEviPT2_PT3_
; %bb.0:
	s_load_dword s14, s[4:5], 0x0
	s_load_dwordx4 s[8:11], s[4:5], 0x8
	v_lshlrev_b32_e32 v5, 2, v0
	v_mov_b32_e32 v1, 0
	s_mov_b32 s7, 0
	s_waitcnt lgkmcnt(0)
	s_ashr_i32 s0, s14, 31
	s_mul_i32 s2, s0, s6
	s_lshr_b32 s0, s0, 30
	s_add_i32 s0, s14, s0
	s_mul_hi_u32 s1, s14, s6
	s_and_b32 s15, s0, -4
	s_add_i32 s3, s1, s2
	s_mul_i32 s2, s14, s6
	v_mov_b32_e32 v2, 0
	v_cmp_gt_i32_e32 vcc, s15, v5
	s_and_saveexec_b64 s[4:5], vcc
	s_cbranch_execz .LBB242_4
; %bb.1:
	s_lshl_b64 s[0:1], s[2:3], 3
	s_add_u32 s0, s8, s0
	v_lshlrev_b32_e32 v1, 5, v0
	s_addc_u32 s1, s9, s1
	v_mov_b32_e32 v2, s1
	v_add_co_u32_e32 v1, vcc, s0, v1
	v_addc_co_u32_e32 v2, vcc, 0, v2, vcc
	v_add_co_u32_e32 v3, vcc, 16, v1
	v_addc_co_u32_e32 v4, vcc, 0, v2, vcc
	v_mov_b32_e32 v1, 0
	v_mov_b32_e32 v2, 0
	s_mov_b64 s[12:13], 0
.LBB242_2:                              ; =>This Inner Loop Header: Depth=1
	global_load_dwordx4 v[6:9], v[3:4], off offset:-16
	global_load_dwordx4 v[10:13], v[3:4], off
	v_add_u32_e32 v5, 0x800, v5
	v_add_co_u32_e32 v3, vcc, 0x4000, v3
	v_cmp_le_i32_e64 s[0:1], s15, v5
	s_or_b64 s[12:13], s[0:1], s[12:13]
	v_addc_co_u32_e32 v4, vcc, 0, v4, vcc
	s_waitcnt vmcnt(1)
	v_add_f64 v[1:2], v[1:2], v[6:7]
	v_add_f64 v[1:2], v[1:2], v[8:9]
	s_waitcnt vmcnt(0)
	v_add_f64 v[1:2], v[1:2], v[10:11]
	v_add_f64 v[1:2], v[1:2], v[12:13]
	s_andn2_b64 exec, exec, s[12:13]
	s_cbranch_execnz .LBB242_2
; %bb.3:
	s_or_b64 exec, exec, s[12:13]
.LBB242_4:
	s_or_b64 exec, exec, s[4:5]
	s_sub_i32 s0, s14, s15
	v_cmp_gt_u32_e32 vcc, s0, v0
	s_and_saveexec_b64 s[0:1], vcc
	s_cbranch_execz .LBB242_6
; %bb.5:
	s_lshl_b64 s[2:3], s[2:3], 3
	v_xad_u32 v3, v0, -1, s14
	v_mov_b32_e32 v4, 0
	s_add_u32 s2, s8, s2
	v_lshlrev_b64 v[3:4], 3, v[3:4]
	s_addc_u32 s3, s9, s3
	v_mov_b32_e32 v5, s3
	v_add_co_u32_e32 v3, vcc, s2, v3
	v_addc_co_u32_e32 v4, vcc, v5, v4, vcc
	global_load_dwordx2 v[3:4], v[3:4], off
	s_waitcnt vmcnt(0)
	v_add_f64 v[1:2], v[1:2], v[3:4]
.LBB242_6:
	s_or_b64 exec, exec, s[0:1]
	v_and_b32_e32 v6, 63, v0
	v_cmp_gt_u32_e32 vcc, 64, v0
	v_lshlrev_b32_e32 v5, 3, v6
	s_and_saveexec_b64 s[0:1], vcc
; %bb.7:
	v_mov_b32_e32 v3, 0
	v_mov_b32_e32 v4, v3
	ds_write_b64 v5, v[3:4]
; %bb.8:
	s_or_b64 exec, exec, s[0:1]
	v_mbcnt_lo_u32_b32 v3, -1, 0
	v_mbcnt_hi_u32_b32 v9, -1, v3
	v_mov_b32_e32 v3, 0x80
	v_lshl_or_b32 v4, v9, 2, v3
	ds_bpermute_b32 v3, v4, v1
	ds_bpermute_b32 v4, v4, v2
	v_and_b32_e32 v10, 63, v9
	v_cmp_gt_u32_e64 s[0:1], 48, v10
	s_waitcnt lgkmcnt(0)
	s_barrier
	v_add_f64 v[1:2], v[1:2], v[3:4]
	v_cndmask_b32_e64 v3, 0, 16, s[0:1]
	v_add_lshl_u32 v4, v3, v9, 2
	v_cmp_gt_u32_e64 s[0:1], 56, v10
	ds_bpermute_b32 v3, v4, v1
	ds_bpermute_b32 v4, v4, v2
	s_waitcnt lgkmcnt(0)
	v_add_f64 v[1:2], v[1:2], v[3:4]
	v_cndmask_b32_e64 v3, 0, 8, s[0:1]
	v_add_lshl_u32 v4, v3, v9, 2
	v_cmp_gt_u32_e64 s[0:1], 60, v10
	ds_bpermute_b32 v3, v4, v1
	ds_bpermute_b32 v4, v4, v2
	s_waitcnt lgkmcnt(0)
	;; [unrolled: 7-line block ×3, first 2 shown]
	v_add_f64 v[1:2], v[1:2], v[3:4]
	v_cndmask_b32_e64 v3, 0, 2, s[0:1]
	v_add_lshl_u32 v8, v3, v9, 2
	v_cmp_ne_u32_e64 s[0:1], 63, v10
	ds_bpermute_b32 v3, v8, v1
	ds_bpermute_b32 v4, v8, v2
	s_waitcnt lgkmcnt(0)
	v_add_f64 v[1:2], v[1:2], v[3:4]
	v_addc_co_u32_e64 v3, s[0:1], 0, v9, s[0:1]
	v_lshlrev_b32_e32 v9, 2, v3
	v_cmp_eq_u32_e64 s[0:1], 0, v6
	ds_bpermute_b32 v3, v9, v1
	ds_bpermute_b32 v4, v9, v2
	s_and_saveexec_b64 s[2:3], s[0:1]
	s_cbranch_execz .LBB242_10
; %bb.9:
	s_waitcnt lgkmcnt(0)
	v_add_f64 v[1:2], v[1:2], v[3:4]
	v_lshrrev_b32_e32 v3, 3, v0
	v_and_b32_e32 v3, 56, v3
	ds_write_b64 v3, v[1:2]
.LBB242_10:
	s_or_b64 exec, exec, s[2:3]
	v_mov_b32_e32 v1, 0
	v_mov_b32_e32 v2, 0
	v_cmp_gt_u32_e64 s[0:1], 8, v0
	s_waitcnt lgkmcnt(0)
	s_barrier
	s_and_saveexec_b64 s[2:3], s[0:1]
	s_cbranch_execnz .LBB242_14
; %bb.11:
	s_or_b64 exec, exec, s[2:3]
	s_and_saveexec_b64 s[0:1], vcc
	s_cbranch_execnz .LBB242_15
.LBB242_12:
	s_or_b64 exec, exec, s[0:1]
	v_cmp_eq_u32_e32 vcc, 0, v0
	s_and_saveexec_b64 s[0:1], vcc
	s_cbranch_execnz .LBB242_16
.LBB242_13:
	s_endpgm
.LBB242_14:
	ds_read_b64 v[1:2], v5
	s_or_b64 exec, exec, s[2:3]
	s_and_saveexec_b64 s[0:1], vcc
	s_cbranch_execz .LBB242_12
.LBB242_15:
	s_waitcnt lgkmcnt(0)
	ds_bpermute_b32 v3, v7, v1
	ds_bpermute_b32 v4, v7, v2
	s_waitcnt lgkmcnt(0)
	v_add_f64 v[1:2], v[1:2], v[3:4]
	ds_bpermute_b32 v3, v8, v1
	ds_bpermute_b32 v4, v8, v2
	s_waitcnt lgkmcnt(0)
	v_add_f64 v[1:2], v[1:2], v[3:4]
	;; [unrolled: 4-line block ×3, first 2 shown]
	s_or_b64 exec, exec, s[0:1]
	v_cmp_eq_u32_e32 vcc, 0, v0
	s_and_saveexec_b64 s[0:1], vcc
	s_cbranch_execz .LBB242_13
.LBB242_16:
	s_waitcnt lgkmcnt(0)
	v_cvt_f32_f64_e32 v0, v[1:2]
	s_lshl_b64 s[0:1], s[6:7], 2
	s_add_u32 s0, s10, s0
	s_addc_u32 s1, s11, s1
	v_mov_b32_e32 v1, 0
	global_store_dword v1, v0, s[0:1]
	s_endpgm
	.section	.rodata,"a",@progbits
	.p2align	6, 0x0
	.amdhsa_kernel _ZL30rocblas_reduction_kernel_part2ILi512ELi4E25rocblas_finalize_identitydfEviPT2_PT3_
		.amdhsa_group_segment_fixed_size 512
		.amdhsa_private_segment_fixed_size 0
		.amdhsa_kernarg_size 24
		.amdhsa_user_sgpr_count 6
		.amdhsa_user_sgpr_private_segment_buffer 1
		.amdhsa_user_sgpr_dispatch_ptr 0
		.amdhsa_user_sgpr_queue_ptr 0
		.amdhsa_user_sgpr_kernarg_segment_ptr 1
		.amdhsa_user_sgpr_dispatch_id 0
		.amdhsa_user_sgpr_flat_scratch_init 0
		.amdhsa_user_sgpr_private_segment_size 0
		.amdhsa_uses_dynamic_stack 0
		.amdhsa_system_sgpr_private_segment_wavefront_offset 0
		.amdhsa_system_sgpr_workgroup_id_x 1
		.amdhsa_system_sgpr_workgroup_id_y 0
		.amdhsa_system_sgpr_workgroup_id_z 0
		.amdhsa_system_sgpr_workgroup_info 0
		.amdhsa_system_vgpr_workitem_id 0
		.amdhsa_next_free_vgpr 14
		.amdhsa_next_free_sgpr 16
		.amdhsa_reserve_vcc 1
		.amdhsa_reserve_flat_scratch 0
		.amdhsa_float_round_mode_32 0
		.amdhsa_float_round_mode_16_64 0
		.amdhsa_float_denorm_mode_32 3
		.amdhsa_float_denorm_mode_16_64 3
		.amdhsa_dx10_clamp 1
		.amdhsa_ieee_mode 1
		.amdhsa_fp16_overflow 0
		.amdhsa_exception_fp_ieee_invalid_op 0
		.amdhsa_exception_fp_denorm_src 0
		.amdhsa_exception_fp_ieee_div_zero 0
		.amdhsa_exception_fp_ieee_overflow 0
		.amdhsa_exception_fp_ieee_underflow 0
		.amdhsa_exception_fp_ieee_inexact 0
		.amdhsa_exception_int_div_zero 0
	.end_amdhsa_kernel
	.section	.text._ZL30rocblas_reduction_kernel_part2ILi512ELi4E25rocblas_finalize_identitydfEviPT2_PT3_,"axG",@progbits,_ZL30rocblas_reduction_kernel_part2ILi512ELi4E25rocblas_finalize_identitydfEviPT2_PT3_,comdat
.Lfunc_end242:
	.size	_ZL30rocblas_reduction_kernel_part2ILi512ELi4E25rocblas_finalize_identitydfEviPT2_PT3_, .Lfunc_end242-_ZL30rocblas_reduction_kernel_part2ILi512ELi4E25rocblas_finalize_identitydfEviPT2_PT3_
                                        ; -- End function
	.set _ZL30rocblas_reduction_kernel_part2ILi512ELi4E25rocblas_finalize_identitydfEviPT2_PT3_.num_vgpr, 14
	.set _ZL30rocblas_reduction_kernel_part2ILi512ELi4E25rocblas_finalize_identitydfEviPT2_PT3_.num_agpr, 0
	.set _ZL30rocblas_reduction_kernel_part2ILi512ELi4E25rocblas_finalize_identitydfEviPT2_PT3_.numbered_sgpr, 16
	.set _ZL30rocblas_reduction_kernel_part2ILi512ELi4E25rocblas_finalize_identitydfEviPT2_PT3_.num_named_barrier, 0
	.set _ZL30rocblas_reduction_kernel_part2ILi512ELi4E25rocblas_finalize_identitydfEviPT2_PT3_.private_seg_size, 0
	.set _ZL30rocblas_reduction_kernel_part2ILi512ELi4E25rocblas_finalize_identitydfEviPT2_PT3_.uses_vcc, 1
	.set _ZL30rocblas_reduction_kernel_part2ILi512ELi4E25rocblas_finalize_identitydfEviPT2_PT3_.uses_flat_scratch, 0
	.set _ZL30rocblas_reduction_kernel_part2ILi512ELi4E25rocblas_finalize_identitydfEviPT2_PT3_.has_dyn_sized_stack, 0
	.set _ZL30rocblas_reduction_kernel_part2ILi512ELi4E25rocblas_finalize_identitydfEviPT2_PT3_.has_recursion, 0
	.set _ZL30rocblas_reduction_kernel_part2ILi512ELi4E25rocblas_finalize_identitydfEviPT2_PT3_.has_indirect_call, 0
	.section	.AMDGPU.csdata,"",@progbits
; Kernel info:
; codeLenInByte = 936
; TotalNumSgprs: 20
; NumVgprs: 14
; ScratchSize: 0
; MemoryBound: 0
; FloatMode: 240
; IeeeMode: 1
; LDSByteSize: 512 bytes/workgroup (compile time only)
; SGPRBlocks: 2
; VGPRBlocks: 3
; NumSGPRsForWavesPerEU: 20
; NumVGPRsForWavesPerEU: 14
; Occupancy: 10
; WaveLimiterHint : 0
; COMPUTE_PGM_RSRC2:SCRATCH_EN: 0
; COMPUTE_PGM_RSRC2:USER_SGPR: 6
; COMPUTE_PGM_RSRC2:TRAP_HANDLER: 0
; COMPUTE_PGM_RSRC2:TGID_X_EN: 1
; COMPUTE_PGM_RSRC2:TGID_Y_EN: 0
; COMPUTE_PGM_RSRC2:TGID_Z_EN: 0
; COMPUTE_PGM_RSRC2:TIDIG_COMP_CNT: 0
	.section	.text._ZL28rocblas_dot_batched_4_kernelIiLi32ELi4ELb1EdfPKPKdEviT5_lT_lS4_lS5_liPT4_,"axG",@progbits,_ZL28rocblas_dot_batched_4_kernelIiLi32ELi4ELb1EdfPKPKdEviT5_lT_lS4_lS5_liPT4_,comdat
	.globl	_ZL28rocblas_dot_batched_4_kernelIiLi32ELi4ELb1EdfPKPKdEviT5_lT_lS4_lS5_liPT4_ ; -- Begin function _ZL28rocblas_dot_batched_4_kernelIiLi32ELi4ELb1EdfPKPKdEviT5_lT_lS4_lS5_liPT4_
	.p2align	8
	.type	_ZL28rocblas_dot_batched_4_kernelIiLi32ELi4ELb1EdfPKPKdEviT5_lT_lS4_lS5_liPT4_,@function
_ZL28rocblas_dot_batched_4_kernelIiLi32ELi4ELb1EdfPKPKdEviT5_lT_lS4_lS5_liPT4_: ; @_ZL28rocblas_dot_batched_4_kernelIiLi32ELi4ELb1EdfPKPKdEviT5_lT_lS4_lS5_liPT4_
; %bb.0:
	s_load_dword s0, s[4:5], 0x48
	v_lshl_add_u32 v1, s6, 2, v1
	s_waitcnt lgkmcnt(0)
	v_cmp_gt_u32_e32 vcc, s0, v1
	s_and_saveexec_b64 s[0:1], vcc
	s_cbranch_execz .LBB243_7
; %bb.1:
	s_load_dword s14, s[4:5], 0x0
	s_load_dwordx2 s[6:7], s[4:5], 0x50
	v_mov_b32_e32 v3, 0
	v_mov_b32_e32 v2, 0
	;; [unrolled: 1-line block ×3, first 2 shown]
	s_waitcnt lgkmcnt(0)
	v_cmp_gt_i32_e32 vcc, s14, v0
	s_and_saveexec_b64 s[12:13], vcc
	s_cbranch_execz .LBB243_5
; %bb.2:
	s_load_dwordx4 s[0:3], s[4:5], 0x8
	s_load_dwordx4 s[8:11], s[4:5], 0x28
	v_lshlrev_b64 v[3:4], 3, v[1:2]
	s_load_dword s16, s[4:5], 0x18
	s_waitcnt lgkmcnt(0)
	v_mov_b32_e32 v6, s1
	v_add_co_u32_e32 v5, vcc, s0, v3
	v_addc_co_u32_e32 v6, vcc, v6, v4, vcc
	global_load_dwordx2 v[5:6], v[5:6], off
	v_mov_b32_e32 v7, s9
	v_add_co_u32_e32 v3, vcc, s8, v3
	v_addc_co_u32_e32 v4, vcc, v7, v4, vcc
	global_load_dwordx2 v[7:8], v[3:4], off
	s_load_dword s0, s[4:5], 0x38
	v_mad_i64_i32 v[9:10], s[8:9], s16, v0, 0
	s_lshl_b64 s[18:19], s[2:3], 3
	v_mov_b32_e32 v13, s19
	s_waitcnt lgkmcnt(0)
	v_mad_i64_i32 v[11:12], s[2:3], s0, v0, 0
	v_lshlrev_b64 v[9:10], 3, v[9:10]
	s_lshl_b64 s[10:11], s[10:11], 3
	v_lshlrev_b64 v[11:12], 3, v[11:12]
	v_add_co_u32_e32 v9, vcc, s18, v9
	v_addc_co_u32_e32 v10, vcc, v10, v13, vcc
	v_mov_b32_e32 v14, s11
	v_add_co_u32_e32 v11, vcc, s10, v11
	v_addc_co_u32_e32 v12, vcc, v12, v14, vcc
	v_mov_b32_e32 v3, 0
	s_ashr_i32 s17, s16, 31
	s_ashr_i32 s1, s0, 31
	v_mov_b32_e32 v4, 0
	s_mov_b64 s[4:5], 0
	s_lshl_b64 s[2:3], s[16:17], 8
	s_lshl_b64 s[8:9], s[0:1], 8
	s_waitcnt vmcnt(1)
	v_add_co_u32_e32 v5, vcc, v5, v9
	v_addc_co_u32_e32 v6, vcc, v6, v10, vcc
	v_mov_b32_e32 v9, v0
	s_waitcnt vmcnt(0)
	v_add_co_u32_e32 v7, vcc, v7, v11
	v_addc_co_u32_e32 v8, vcc, v8, v12, vcc
.LBB243_3:                              ; =>This Inner Loop Header: Depth=1
	flat_load_dwordx2 v[10:11], v[5:6]
	flat_load_dwordx2 v[12:13], v[7:8]
	v_mov_b32_e32 v14, s3
	v_add_co_u32_e64 v5, s[0:1], s2, v5
	v_add_u32_e32 v9, 32, v9
	v_addc_co_u32_e64 v6, s[0:1], v6, v14, s[0:1]
	v_mov_b32_e32 v15, s9
	v_add_co_u32_e32 v7, vcc, s8, v7
	v_cmp_le_i32_e64 s[0:1], s14, v9
	s_or_b64 s[4:5], s[0:1], s[4:5]
	v_addc_co_u32_e32 v8, vcc, v8, v15, vcc
	s_waitcnt vmcnt(0) lgkmcnt(0)
	v_fma_f64 v[3:4], v[10:11], v[12:13], v[3:4]
	s_andn2_b64 exec, exec, s[4:5]
	s_cbranch_execnz .LBB243_3
; %bb.4:
	s_or_b64 exec, exec, s[4:5]
.LBB243_5:
	s_or_b64 exec, exec, s[12:13]
	v_mbcnt_lo_u32_b32 v5, -1, 0
	v_mbcnt_hi_u32_b32 v7, -1, v5
	v_and_b32_e32 v8, 63, v7
	v_cmp_gt_u32_e32 vcc, 48, v8
	v_cndmask_b32_e64 v5, 0, 16, vcc
	v_add_lshl_u32 v6, v5, v7, 2
	ds_bpermute_b32 v5, v6, v3
	ds_bpermute_b32 v6, v6, v4
	v_cmp_gt_u32_e32 vcc, 56, v8
	s_waitcnt lgkmcnt(0)
	s_barrier
	v_add_f64 v[3:4], v[3:4], v[5:6]
	v_cndmask_b32_e64 v5, 0, 8, vcc
	v_add_lshl_u32 v6, v5, v7, 2
	v_cmp_gt_u32_e32 vcc, 60, v8
	ds_bpermute_b32 v5, v6, v3
	ds_bpermute_b32 v6, v6, v4
	s_waitcnt lgkmcnt(0)
	v_add_f64 v[3:4], v[3:4], v[5:6]
	v_cndmask_b32_e64 v5, 0, 4, vcc
	v_add_lshl_u32 v6, v5, v7, 2
	v_cmp_gt_u32_e32 vcc, 62, v8
	ds_bpermute_b32 v5, v6, v3
	ds_bpermute_b32 v6, v6, v4
	s_waitcnt lgkmcnt(0)
	v_add_f64 v[3:4], v[3:4], v[5:6]
	v_cndmask_b32_e64 v5, 0, 2, vcc
	v_add_lshl_u32 v6, v5, v7, 2
	v_cmp_ne_u32_e32 vcc, 63, v8
	ds_bpermute_b32 v5, v6, v3
	ds_bpermute_b32 v6, v6, v4
	s_waitcnt lgkmcnt(0)
	v_add_f64 v[3:4], v[3:4], v[5:6]
	v_addc_co_u32_e32 v5, vcc, 0, v7, vcc
	v_lshlrev_b32_e32 v6, 2, v5
	v_cmp_eq_u32_e32 vcc, 0, v0
	ds_bpermute_b32 v5, v6, v3
	ds_bpermute_b32 v6, v6, v4
	s_and_b64 exec, exec, vcc
	s_cbranch_execz .LBB243_7
; %bb.6:
	s_waitcnt lgkmcnt(0)
	v_add_f64 v[3:4], v[3:4], v[5:6]
	v_lshlrev_b64 v[0:1], 2, v[1:2]
	v_mov_b32_e32 v2, s7
	v_add_co_u32_e32 v0, vcc, s6, v0
	v_addc_co_u32_e32 v1, vcc, v2, v1, vcc
	v_cvt_f32_f64_e32 v3, v[3:4]
	global_store_dword v[0:1], v3, off
.LBB243_7:
	s_endpgm
	.section	.rodata,"a",@progbits
	.p2align	6, 0x0
	.amdhsa_kernel _ZL28rocblas_dot_batched_4_kernelIiLi32ELi4ELb1EdfPKPKdEviT5_lT_lS4_lS5_liPT4_
		.amdhsa_group_segment_fixed_size 0
		.amdhsa_private_segment_fixed_size 0
		.amdhsa_kernarg_size 88
		.amdhsa_user_sgpr_count 6
		.amdhsa_user_sgpr_private_segment_buffer 1
		.amdhsa_user_sgpr_dispatch_ptr 0
		.amdhsa_user_sgpr_queue_ptr 0
		.amdhsa_user_sgpr_kernarg_segment_ptr 1
		.amdhsa_user_sgpr_dispatch_id 0
		.amdhsa_user_sgpr_flat_scratch_init 0
		.amdhsa_user_sgpr_private_segment_size 0
		.amdhsa_uses_dynamic_stack 0
		.amdhsa_system_sgpr_private_segment_wavefront_offset 0
		.amdhsa_system_sgpr_workgroup_id_x 1
		.amdhsa_system_sgpr_workgroup_id_y 0
		.amdhsa_system_sgpr_workgroup_id_z 0
		.amdhsa_system_sgpr_workgroup_info 0
		.amdhsa_system_vgpr_workitem_id 1
		.amdhsa_next_free_vgpr 16
		.amdhsa_next_free_sgpr 20
		.amdhsa_reserve_vcc 1
		.amdhsa_reserve_flat_scratch 0
		.amdhsa_float_round_mode_32 0
		.amdhsa_float_round_mode_16_64 0
		.amdhsa_float_denorm_mode_32 3
		.amdhsa_float_denorm_mode_16_64 3
		.amdhsa_dx10_clamp 1
		.amdhsa_ieee_mode 1
		.amdhsa_fp16_overflow 0
		.amdhsa_exception_fp_ieee_invalid_op 0
		.amdhsa_exception_fp_denorm_src 0
		.amdhsa_exception_fp_ieee_div_zero 0
		.amdhsa_exception_fp_ieee_overflow 0
		.amdhsa_exception_fp_ieee_underflow 0
		.amdhsa_exception_fp_ieee_inexact 0
		.amdhsa_exception_int_div_zero 0
	.end_amdhsa_kernel
	.section	.text._ZL28rocblas_dot_batched_4_kernelIiLi32ELi4ELb1EdfPKPKdEviT5_lT_lS4_lS5_liPT4_,"axG",@progbits,_ZL28rocblas_dot_batched_4_kernelIiLi32ELi4ELb1EdfPKPKdEviT5_lT_lS4_lS5_liPT4_,comdat
.Lfunc_end243:
	.size	_ZL28rocblas_dot_batched_4_kernelIiLi32ELi4ELb1EdfPKPKdEviT5_lT_lS4_lS5_liPT4_, .Lfunc_end243-_ZL28rocblas_dot_batched_4_kernelIiLi32ELi4ELb1EdfPKPKdEviT5_lT_lS4_lS5_liPT4_
                                        ; -- End function
	.set _ZL28rocblas_dot_batched_4_kernelIiLi32ELi4ELb1EdfPKPKdEviT5_lT_lS4_lS5_liPT4_.num_vgpr, 16
	.set _ZL28rocblas_dot_batched_4_kernelIiLi32ELi4ELb1EdfPKPKdEviT5_lT_lS4_lS5_liPT4_.num_agpr, 0
	.set _ZL28rocblas_dot_batched_4_kernelIiLi32ELi4ELb1EdfPKPKdEviT5_lT_lS4_lS5_liPT4_.numbered_sgpr, 20
	.set _ZL28rocblas_dot_batched_4_kernelIiLi32ELi4ELb1EdfPKPKdEviT5_lT_lS4_lS5_liPT4_.num_named_barrier, 0
	.set _ZL28rocblas_dot_batched_4_kernelIiLi32ELi4ELb1EdfPKPKdEviT5_lT_lS4_lS5_liPT4_.private_seg_size, 0
	.set _ZL28rocblas_dot_batched_4_kernelIiLi32ELi4ELb1EdfPKPKdEviT5_lT_lS4_lS5_liPT4_.uses_vcc, 1
	.set _ZL28rocblas_dot_batched_4_kernelIiLi32ELi4ELb1EdfPKPKdEviT5_lT_lS4_lS5_liPT4_.uses_flat_scratch, 0
	.set _ZL28rocblas_dot_batched_4_kernelIiLi32ELi4ELb1EdfPKPKdEviT5_lT_lS4_lS5_liPT4_.has_dyn_sized_stack, 0
	.set _ZL28rocblas_dot_batched_4_kernelIiLi32ELi4ELb1EdfPKPKdEviT5_lT_lS4_lS5_liPT4_.has_recursion, 0
	.set _ZL28rocblas_dot_batched_4_kernelIiLi32ELi4ELb1EdfPKPKdEviT5_lT_lS4_lS5_liPT4_.has_indirect_call, 0
	.section	.AMDGPU.csdata,"",@progbits
; Kernel info:
; codeLenInByte = 680
; TotalNumSgprs: 24
; NumVgprs: 16
; ScratchSize: 0
; MemoryBound: 0
; FloatMode: 240
; IeeeMode: 1
; LDSByteSize: 0 bytes/workgroup (compile time only)
; SGPRBlocks: 2
; VGPRBlocks: 3
; NumSGPRsForWavesPerEU: 24
; NumVGPRsForWavesPerEU: 16
; Occupancy: 10
; WaveLimiterHint : 0
; COMPUTE_PGM_RSRC2:SCRATCH_EN: 0
; COMPUTE_PGM_RSRC2:USER_SGPR: 6
; COMPUTE_PGM_RSRC2:TRAP_HANDLER: 0
; COMPUTE_PGM_RSRC2:TGID_X_EN: 1
; COMPUTE_PGM_RSRC2:TGID_Y_EN: 0
; COMPUTE_PGM_RSRC2:TGID_Z_EN: 0
; COMPUTE_PGM_RSRC2:TIDIG_COMP_CNT: 1
	.section	.text._ZL28rocblas_dot_batched_4_kernelIiLi64ELi4ELb1EdfPKPKdEviT5_lT_lS4_lS5_liPT4_,"axG",@progbits,_ZL28rocblas_dot_batched_4_kernelIiLi64ELi4ELb1EdfPKPKdEviT5_lT_lS4_lS5_liPT4_,comdat
	.globl	_ZL28rocblas_dot_batched_4_kernelIiLi64ELi4ELb1EdfPKPKdEviT5_lT_lS4_lS5_liPT4_ ; -- Begin function _ZL28rocblas_dot_batched_4_kernelIiLi64ELi4ELb1EdfPKPKdEviT5_lT_lS4_lS5_liPT4_
	.p2align	8
	.type	_ZL28rocblas_dot_batched_4_kernelIiLi64ELi4ELb1EdfPKPKdEviT5_lT_lS4_lS5_liPT4_,@function
_ZL28rocblas_dot_batched_4_kernelIiLi64ELi4ELb1EdfPKPKdEviT5_lT_lS4_lS5_liPT4_: ; @_ZL28rocblas_dot_batched_4_kernelIiLi64ELi4ELb1EdfPKPKdEviT5_lT_lS4_lS5_liPT4_
; %bb.0:
	s_load_dword s0, s[4:5], 0x48
	v_lshl_add_u32 v1, s6, 2, v1
	s_waitcnt lgkmcnt(0)
	v_cmp_gt_u32_e32 vcc, s0, v1
	s_and_saveexec_b64 s[0:1], vcc
	s_cbranch_execz .LBB244_7
; %bb.1:
	s_load_dword s14, s[4:5], 0x0
	s_load_dwordx2 s[6:7], s[4:5], 0x50
	v_mov_b32_e32 v3, 0
	v_mov_b32_e32 v2, 0
	;; [unrolled: 1-line block ×3, first 2 shown]
	s_waitcnt lgkmcnt(0)
	v_cmp_gt_i32_e32 vcc, s14, v0
	s_and_saveexec_b64 s[12:13], vcc
	s_cbranch_execz .LBB244_5
; %bb.2:
	s_load_dwordx4 s[0:3], s[4:5], 0x8
	s_load_dwordx4 s[8:11], s[4:5], 0x28
	v_lshlrev_b64 v[3:4], 3, v[1:2]
	s_load_dword s16, s[4:5], 0x18
	s_waitcnt lgkmcnt(0)
	v_mov_b32_e32 v6, s1
	v_add_co_u32_e32 v5, vcc, s0, v3
	v_addc_co_u32_e32 v6, vcc, v6, v4, vcc
	global_load_dwordx2 v[5:6], v[5:6], off
	v_mov_b32_e32 v7, s9
	v_add_co_u32_e32 v3, vcc, s8, v3
	v_addc_co_u32_e32 v4, vcc, v7, v4, vcc
	global_load_dwordx2 v[7:8], v[3:4], off
	s_load_dword s0, s[4:5], 0x38
	v_mad_i64_i32 v[9:10], s[8:9], s16, v0, 0
	s_lshl_b64 s[18:19], s[2:3], 3
	v_mov_b32_e32 v13, s19
	s_waitcnt lgkmcnt(0)
	v_mad_i64_i32 v[11:12], s[2:3], s0, v0, 0
	v_lshlrev_b64 v[9:10], 3, v[9:10]
	s_lshl_b64 s[10:11], s[10:11], 3
	v_lshlrev_b64 v[11:12], 3, v[11:12]
	v_add_co_u32_e32 v9, vcc, s18, v9
	v_addc_co_u32_e32 v10, vcc, v10, v13, vcc
	v_mov_b32_e32 v14, s11
	v_add_co_u32_e32 v11, vcc, s10, v11
	v_addc_co_u32_e32 v12, vcc, v12, v14, vcc
	v_mov_b32_e32 v3, 0
	s_ashr_i32 s17, s16, 31
	s_ashr_i32 s1, s0, 31
	v_mov_b32_e32 v4, 0
	s_mov_b64 s[4:5], 0
	s_lshl_b64 s[2:3], s[16:17], 9
	s_lshl_b64 s[8:9], s[0:1], 9
	s_waitcnt vmcnt(1)
	v_add_co_u32_e32 v5, vcc, v5, v9
	v_addc_co_u32_e32 v6, vcc, v6, v10, vcc
	v_mov_b32_e32 v9, v0
	s_waitcnt vmcnt(0)
	v_add_co_u32_e32 v7, vcc, v7, v11
	v_addc_co_u32_e32 v8, vcc, v8, v12, vcc
.LBB244_3:                              ; =>This Inner Loop Header: Depth=1
	flat_load_dwordx2 v[10:11], v[5:6]
	flat_load_dwordx2 v[12:13], v[7:8]
	v_mov_b32_e32 v14, s3
	v_add_co_u32_e64 v5, s[0:1], s2, v5
	v_add_u32_e32 v9, 64, v9
	v_addc_co_u32_e64 v6, s[0:1], v6, v14, s[0:1]
	v_mov_b32_e32 v15, s9
	v_add_co_u32_e32 v7, vcc, s8, v7
	v_cmp_le_i32_e64 s[0:1], s14, v9
	s_or_b64 s[4:5], s[0:1], s[4:5]
	v_addc_co_u32_e32 v8, vcc, v8, v15, vcc
	s_waitcnt vmcnt(0) lgkmcnt(0)
	v_fma_f64 v[3:4], v[10:11], v[12:13], v[3:4]
	s_andn2_b64 exec, exec, s[4:5]
	s_cbranch_execnz .LBB244_3
; %bb.4:
	s_or_b64 exec, exec, s[4:5]
.LBB244_5:
	s_or_b64 exec, exec, s[12:13]
	v_mbcnt_lo_u32_b32 v5, -1, 0
	v_mbcnt_hi_u32_b32 v7, -1, v5
	v_mov_b32_e32 v5, 0x80
	v_lshl_or_b32 v6, v7, 2, v5
	ds_bpermute_b32 v5, v6, v3
	ds_bpermute_b32 v6, v6, v4
	v_and_b32_e32 v8, 63, v7
	v_cmp_gt_u32_e32 vcc, 48, v8
	s_waitcnt lgkmcnt(0)
	s_barrier
	v_add_f64 v[3:4], v[3:4], v[5:6]
	v_cndmask_b32_e64 v5, 0, 16, vcc
	v_add_lshl_u32 v6, v5, v7, 2
	v_cmp_gt_u32_e32 vcc, 56, v8
	ds_bpermute_b32 v5, v6, v3
	ds_bpermute_b32 v6, v6, v4
	s_waitcnt lgkmcnt(0)
	v_add_f64 v[3:4], v[3:4], v[5:6]
	v_cndmask_b32_e64 v5, 0, 8, vcc
	v_add_lshl_u32 v6, v5, v7, 2
	v_cmp_gt_u32_e32 vcc, 60, v8
	ds_bpermute_b32 v5, v6, v3
	ds_bpermute_b32 v6, v6, v4
	s_waitcnt lgkmcnt(0)
	;; [unrolled: 7-line block ×3, first 2 shown]
	v_add_f64 v[3:4], v[3:4], v[5:6]
	v_cndmask_b32_e64 v5, 0, 2, vcc
	v_add_lshl_u32 v6, v5, v7, 2
	v_cmp_ne_u32_e32 vcc, 63, v8
	ds_bpermute_b32 v5, v6, v3
	ds_bpermute_b32 v6, v6, v4
	s_waitcnt lgkmcnt(0)
	v_add_f64 v[3:4], v[3:4], v[5:6]
	v_addc_co_u32_e32 v5, vcc, 0, v7, vcc
	v_lshlrev_b32_e32 v6, 2, v5
	v_cmp_eq_u32_e32 vcc, 0, v0
	ds_bpermute_b32 v5, v6, v3
	ds_bpermute_b32 v6, v6, v4
	s_and_b64 exec, exec, vcc
	s_cbranch_execz .LBB244_7
; %bb.6:
	s_waitcnt lgkmcnt(0)
	v_add_f64 v[3:4], v[3:4], v[5:6]
	v_lshlrev_b64 v[0:1], 2, v[1:2]
	v_mov_b32_e32 v2, s7
	v_add_co_u32_e32 v0, vcc, s6, v0
	v_addc_co_u32_e32 v1, vcc, v2, v1, vcc
	v_cvt_f32_f64_e32 v3, v[3:4]
	global_store_dword v[0:1], v3, off
.LBB244_7:
	s_endpgm
	.section	.rodata,"a",@progbits
	.p2align	6, 0x0
	.amdhsa_kernel _ZL28rocblas_dot_batched_4_kernelIiLi64ELi4ELb1EdfPKPKdEviT5_lT_lS4_lS5_liPT4_
		.amdhsa_group_segment_fixed_size 0
		.amdhsa_private_segment_fixed_size 0
		.amdhsa_kernarg_size 88
		.amdhsa_user_sgpr_count 6
		.amdhsa_user_sgpr_private_segment_buffer 1
		.amdhsa_user_sgpr_dispatch_ptr 0
		.amdhsa_user_sgpr_queue_ptr 0
		.amdhsa_user_sgpr_kernarg_segment_ptr 1
		.amdhsa_user_sgpr_dispatch_id 0
		.amdhsa_user_sgpr_flat_scratch_init 0
		.amdhsa_user_sgpr_private_segment_size 0
		.amdhsa_uses_dynamic_stack 0
		.amdhsa_system_sgpr_private_segment_wavefront_offset 0
		.amdhsa_system_sgpr_workgroup_id_x 1
		.amdhsa_system_sgpr_workgroup_id_y 0
		.amdhsa_system_sgpr_workgroup_id_z 0
		.amdhsa_system_sgpr_workgroup_info 0
		.amdhsa_system_vgpr_workitem_id 1
		.amdhsa_next_free_vgpr 16
		.amdhsa_next_free_sgpr 20
		.amdhsa_reserve_vcc 1
		.amdhsa_reserve_flat_scratch 0
		.amdhsa_float_round_mode_32 0
		.amdhsa_float_round_mode_16_64 0
		.amdhsa_float_denorm_mode_32 3
		.amdhsa_float_denorm_mode_16_64 3
		.amdhsa_dx10_clamp 1
		.amdhsa_ieee_mode 1
		.amdhsa_fp16_overflow 0
		.amdhsa_exception_fp_ieee_invalid_op 0
		.amdhsa_exception_fp_denorm_src 0
		.amdhsa_exception_fp_ieee_div_zero 0
		.amdhsa_exception_fp_ieee_overflow 0
		.amdhsa_exception_fp_ieee_underflow 0
		.amdhsa_exception_fp_ieee_inexact 0
		.amdhsa_exception_int_div_zero 0
	.end_amdhsa_kernel
	.section	.text._ZL28rocblas_dot_batched_4_kernelIiLi64ELi4ELb1EdfPKPKdEviT5_lT_lS4_lS5_liPT4_,"axG",@progbits,_ZL28rocblas_dot_batched_4_kernelIiLi64ELi4ELb1EdfPKPKdEviT5_lT_lS4_lS5_liPT4_,comdat
.Lfunc_end244:
	.size	_ZL28rocblas_dot_batched_4_kernelIiLi64ELi4ELb1EdfPKPKdEviT5_lT_lS4_lS5_liPT4_, .Lfunc_end244-_ZL28rocblas_dot_batched_4_kernelIiLi64ELi4ELb1EdfPKPKdEviT5_lT_lS4_lS5_liPT4_
                                        ; -- End function
	.set _ZL28rocblas_dot_batched_4_kernelIiLi64ELi4ELb1EdfPKPKdEviT5_lT_lS4_lS5_liPT4_.num_vgpr, 16
	.set _ZL28rocblas_dot_batched_4_kernelIiLi64ELi4ELb1EdfPKPKdEviT5_lT_lS4_lS5_liPT4_.num_agpr, 0
	.set _ZL28rocblas_dot_batched_4_kernelIiLi64ELi4ELb1EdfPKPKdEviT5_lT_lS4_lS5_liPT4_.numbered_sgpr, 20
	.set _ZL28rocblas_dot_batched_4_kernelIiLi64ELi4ELb1EdfPKPKdEviT5_lT_lS4_lS5_liPT4_.num_named_barrier, 0
	.set _ZL28rocblas_dot_batched_4_kernelIiLi64ELi4ELb1EdfPKPKdEviT5_lT_lS4_lS5_liPT4_.private_seg_size, 0
	.set _ZL28rocblas_dot_batched_4_kernelIiLi64ELi4ELb1EdfPKPKdEviT5_lT_lS4_lS5_liPT4_.uses_vcc, 1
	.set _ZL28rocblas_dot_batched_4_kernelIiLi64ELi4ELb1EdfPKPKdEviT5_lT_lS4_lS5_liPT4_.uses_flat_scratch, 0
	.set _ZL28rocblas_dot_batched_4_kernelIiLi64ELi4ELb1EdfPKPKdEviT5_lT_lS4_lS5_liPT4_.has_dyn_sized_stack, 0
	.set _ZL28rocblas_dot_batched_4_kernelIiLi64ELi4ELb1EdfPKPKdEviT5_lT_lS4_lS5_liPT4_.has_recursion, 0
	.set _ZL28rocblas_dot_batched_4_kernelIiLi64ELi4ELb1EdfPKPKdEviT5_lT_lS4_lS5_liPT4_.has_indirect_call, 0
	.section	.AMDGPU.csdata,"",@progbits
; Kernel info:
; codeLenInByte = 724
; TotalNumSgprs: 24
; NumVgprs: 16
; ScratchSize: 0
; MemoryBound: 0
; FloatMode: 240
; IeeeMode: 1
; LDSByteSize: 0 bytes/workgroup (compile time only)
; SGPRBlocks: 2
; VGPRBlocks: 3
; NumSGPRsForWavesPerEU: 24
; NumVGPRsForWavesPerEU: 16
; Occupancy: 10
; WaveLimiterHint : 0
; COMPUTE_PGM_RSRC2:SCRATCH_EN: 0
; COMPUTE_PGM_RSRC2:USER_SGPR: 6
; COMPUTE_PGM_RSRC2:TRAP_HANDLER: 0
; COMPUTE_PGM_RSRC2:TGID_X_EN: 1
; COMPUTE_PGM_RSRC2:TGID_Y_EN: 0
; COMPUTE_PGM_RSRC2:TGID_Z_EN: 0
; COMPUTE_PGM_RSRC2:TIDIG_COMP_CNT: 1
	.section	.text._ZL26rocblas_dot_kernel_inc1by2ILb1ELi1024ELi32ELb1EfPKPKddEviT4_llS4_lliPT5_PT3_,"axG",@progbits,_ZL26rocblas_dot_kernel_inc1by2ILb1ELi1024ELi32ELb1EfPKPKddEviT4_llS4_lliPT5_PT3_,comdat
	.globl	_ZL26rocblas_dot_kernel_inc1by2ILb1ELi1024ELi32ELb1EfPKPKddEviT4_llS4_lliPT5_PT3_ ; -- Begin function _ZL26rocblas_dot_kernel_inc1by2ILb1ELi1024ELi32ELb1EfPKPKddEviT4_llS4_lliPT5_PT3_
	.p2align	8
	.type	_ZL26rocblas_dot_kernel_inc1by2ILb1ELi1024ELi32ELb1EfPKPKddEviT4_llS4_lliPT5_PT3_,@function
_ZL26rocblas_dot_kernel_inc1by2ILb1ELi1024ELi32ELb1EfPKPKddEviT4_llS4_lliPT5_PT3_: ; @_ZL26rocblas_dot_kernel_inc1by2ILb1ELi1024ELi32ELb1EfPKPKddEviT4_llS4_lliPT5_PT3_
; %bb.0:
	s_load_dword s20, s[4:5], 0x0
	s_load_dwordx4 s[0:3], s[4:5], 0x8
	s_load_dwordx2 s[12:13], s[4:5], 0x48
	s_load_dwordx4 s[8:11], s[4:5], 0x20
	s_mov_b32 s6, s7
	s_mov_b32 s7, 0
	s_lshl_b64 s[14:15], s[6:7], 3
	s_waitcnt lgkmcnt(0)
	s_add_u32 s0, s0, s14
	s_addc_u32 s1, s1, s15
	s_load_dwordx2 s[4:5], s[0:1], 0x0
	s_add_u32 s0, s8, s14
	s_addc_u32 s1, s9, s15
	s_load_dwordx2 s[14:15], s[0:1], 0x0
	v_lshlrev_b32_e32 v7, 1, v0
	s_add_i32 s8, s20, -1
	v_mov_b32_e32 v1, 0
	v_mov_b32_e32 v2, 0
	v_cmp_gt_i32_e32 vcc, s8, v7
	s_and_saveexec_b64 s[16:17], vcc
	s_cbranch_execz .LBB245_4
; %bb.1:
	s_lshl_b64 s[0:1], s[10:11], 3
	s_waitcnt lgkmcnt(0)
	s_add_u32 s0, s14, s0
	v_lshlrev_b32_e32 v1, 4, v0
	s_addc_u32 s1, s15, s1
	v_mov_b32_e32 v2, s1
	v_add_co_u32_e32 v3, vcc, s0, v1
	s_lshl_b64 s[0:1], s[2:3], 3
	s_add_u32 s0, s4, s0
	v_addc_co_u32_e32 v4, vcc, 0, v2, vcc
	s_addc_u32 s1, s5, s1
	v_mov_b32_e32 v2, s1
	v_add_co_u32_e32 v5, vcc, s0, v1
	v_addc_co_u32_e32 v6, vcc, 0, v2, vcc
	v_mov_b32_e32 v1, 0
	v_mov_b32_e32 v2, 0
	s_mov_b64 s[18:19], 0
	s_mov_b32 s9, s7
.LBB245_2:                              ; =>This Inner Loop Header: Depth=1
	flat_load_dwordx4 v[8:11], v[3:4]
	flat_load_dwordx4 v[12:15], v[5:6]
	s_add_i32 s21, s9, 1
	v_add_u32_e32 v7, 0x800, v7
	s_cmp_gt_u32 s9, 30
	v_add_co_u32_e32 v3, vcc, 0x4000, v3
	v_cmp_le_i32_e64 s[0:1], s8, v7
	s_cselect_b64 s[22:23], -1, 0
	v_addc_co_u32_e32 v4, vcc, 0, v4, vcc
	s_or_b64 s[0:1], s[22:23], s[0:1]
	v_add_co_u32_e32 v5, vcc, 0x4000, v5
	s_and_b64 s[0:1], exec, s[0:1]
	s_mov_b32 s9, s21
	s_or_b64 s[18:19], s[0:1], s[18:19]
	v_addc_co_u32_e32 v6, vcc, 0, v6, vcc
	s_waitcnt vmcnt(0) lgkmcnt(0)
	v_fma_f64 v[1:2], v[8:9], v[12:13], v[1:2]
	v_fma_f64 v[1:2], v[10:11], v[14:15], v[1:2]
	s_andn2_b64 exec, exec, s[18:19]
	s_cbranch_execnz .LBB245_2
; %bb.3:
	s_or_b64 exec, exec, s[18:19]
.LBB245_4:
	s_or_b64 exec, exec, s[16:17]
	s_bitcmp1_b32 s20, 0
	s_cselect_b64 s[0:1], -1, 0
	v_cmp_eq_u32_e32 vcc, s8, v7
	s_and_b64 s[16:17], s[0:1], vcc
	s_and_saveexec_b64 s[0:1], s[16:17]
	s_cbranch_execz .LBB245_6
; %bb.5:
	s_lshl_b64 s[2:3], s[2:3], 3
	s_waitcnt lgkmcnt(0)
	s_add_u32 s4, s4, s2
	s_addc_u32 s5, s5, s3
	s_lshl_b64 s[2:3], s[10:11], 3
	s_add_u32 s10, s14, s2
	s_mov_b32 s9, 0
	s_addc_u32 s11, s15, s3
	s_lshl_b64 s[2:3], s[8:9], 3
	s_add_u32 s4, s4, s2
	s_addc_u32 s5, s5, s3
	s_add_u32 s2, s10, s2
	s_addc_u32 s3, s11, s3
	v_mov_b32_e32 v4, s3
	v_mov_b32_e32 v6, s5
	v_mov_b32_e32 v3, s2
	v_mov_b32_e32 v5, s4
	flat_load_dwordx2 v[3:4], v[3:4]
	s_nop 0
	flat_load_dwordx2 v[5:6], v[5:6]
	s_waitcnt vmcnt(0) lgkmcnt(0)
	v_fma_f64 v[1:2], v[3:4], v[5:6], v[1:2]
.LBB245_6:
	s_or_b64 exec, exec, s[0:1]
	v_and_b32_e32 v8, 63, v0
	v_cmp_gt_u32_e32 vcc, 64, v0
	v_lshlrev_b32_e32 v5, 3, v8
	s_and_saveexec_b64 s[0:1], vcc
; %bb.7:
	v_mov_b32_e32 v3, 0
	v_mov_b32_e32 v4, v3
	ds_write_b64 v5, v[3:4]
; %bb.8:
	s_or_b64 exec, exec, s[0:1]
	v_mbcnt_lo_u32_b32 v3, -1, 0
	v_mbcnt_hi_u32_b32 v10, -1, v3
	v_mov_b32_e32 v3, 0x80
	v_lshl_or_b32 v4, v10, 2, v3
	ds_bpermute_b32 v3, v4, v1
	ds_bpermute_b32 v4, v4, v2
	v_and_b32_e32 v11, 63, v10
	v_cmp_gt_u32_e64 s[0:1], 48, v11
	s_waitcnt lgkmcnt(0)
	s_barrier
	v_add_f64 v[1:2], v[1:2], v[3:4]
	v_cndmask_b32_e64 v3, 0, 16, s[0:1]
	v_add_lshl_u32 v4, v3, v10, 2
	v_cmp_gt_u32_e64 s[0:1], 56, v11
	ds_bpermute_b32 v3, v4, v1
	ds_bpermute_b32 v4, v4, v2
	s_waitcnt lgkmcnt(0)
	v_add_f64 v[1:2], v[1:2], v[3:4]
	v_cndmask_b32_e64 v3, 0, 8, s[0:1]
	v_add_lshl_u32 v6, v3, v10, 2
	v_cmp_gt_u32_e64 s[0:1], 60, v11
	ds_bpermute_b32 v3, v6, v1
	ds_bpermute_b32 v4, v6, v2
	s_waitcnt lgkmcnt(0)
	;; [unrolled: 7-line block ×3, first 2 shown]
	v_add_f64 v[1:2], v[1:2], v[3:4]
	v_cndmask_b32_e64 v3, 0, 2, s[0:1]
	v_add_lshl_u32 v9, v3, v10, 2
	v_cmp_ne_u32_e64 s[0:1], 63, v11
	ds_bpermute_b32 v3, v9, v1
	ds_bpermute_b32 v4, v9, v2
	s_waitcnt lgkmcnt(0)
	v_add_f64 v[1:2], v[1:2], v[3:4]
	v_addc_co_u32_e64 v3, s[0:1], 0, v10, s[0:1]
	v_lshlrev_b32_e32 v10, 2, v3
	v_cmp_eq_u32_e64 s[0:1], 0, v8
	ds_bpermute_b32 v3, v10, v1
	ds_bpermute_b32 v4, v10, v2
	s_and_saveexec_b64 s[2:3], s[0:1]
	s_cbranch_execz .LBB245_10
; %bb.9:
	s_waitcnt lgkmcnt(0)
	v_add_f64 v[1:2], v[1:2], v[3:4]
	v_lshrrev_b32_e32 v3, 3, v0
	v_and_b32_e32 v3, 0x78, v3
	ds_write_b64 v3, v[1:2]
.LBB245_10:
	s_or_b64 exec, exec, s[2:3]
	v_mov_b32_e32 v1, 0
	v_mov_b32_e32 v2, 0
	v_cmp_gt_u32_e64 s[0:1], 16, v0
	s_waitcnt lgkmcnt(0)
	s_barrier
	s_and_saveexec_b64 s[2:3], s[0:1]
	s_cbranch_execnz .LBB245_14
; %bb.11:
	s_or_b64 exec, exec, s[2:3]
	s_and_saveexec_b64 s[0:1], vcc
	s_cbranch_execnz .LBB245_15
.LBB245_12:
	s_or_b64 exec, exec, s[0:1]
	v_cmp_eq_u32_e32 vcc, 0, v0
	s_and_saveexec_b64 s[0:1], vcc
	s_cbranch_execnz .LBB245_16
.LBB245_13:
	s_endpgm
.LBB245_14:
	ds_read_b64 v[1:2], v5
	s_or_b64 exec, exec, s[2:3]
	s_and_saveexec_b64 s[0:1], vcc
	s_cbranch_execz .LBB245_12
.LBB245_15:
	s_waitcnt lgkmcnt(0)
	ds_bpermute_b32 v3, v6, v1
	ds_bpermute_b32 v4, v6, v2
	s_waitcnt lgkmcnt(0)
	v_add_f64 v[1:2], v[1:2], v[3:4]
	ds_bpermute_b32 v3, v7, v1
	ds_bpermute_b32 v4, v7, v2
	s_waitcnt lgkmcnt(0)
	v_add_f64 v[1:2], v[1:2], v[3:4]
	;; [unrolled: 4-line block ×4, first 2 shown]
	s_or_b64 exec, exec, s[0:1]
	v_cmp_eq_u32_e32 vcc, 0, v0
	s_and_saveexec_b64 s[0:1], vcc
	s_cbranch_execz .LBB245_13
.LBB245_16:
	s_waitcnt lgkmcnt(0)
	v_cvt_f32_f64_e32 v0, v[1:2]
	s_lshl_b64 s[0:1], s[6:7], 2
	s_add_u32 s0, s12, s0
	s_addc_u32 s1, s13, s1
	v_mov_b32_e32 v1, 0
	global_store_dword v1, v0, s[0:1]
	s_endpgm
	.section	.rodata,"a",@progbits
	.p2align	6, 0x0
	.amdhsa_kernel _ZL26rocblas_dot_kernel_inc1by2ILb1ELi1024ELi32ELb1EfPKPKddEviT4_llS4_lliPT5_PT3_
		.amdhsa_group_segment_fixed_size 512
		.amdhsa_private_segment_fixed_size 0
		.amdhsa_kernarg_size 80
		.amdhsa_user_sgpr_count 6
		.amdhsa_user_sgpr_private_segment_buffer 1
		.amdhsa_user_sgpr_dispatch_ptr 0
		.amdhsa_user_sgpr_queue_ptr 0
		.amdhsa_user_sgpr_kernarg_segment_ptr 1
		.amdhsa_user_sgpr_dispatch_id 0
		.amdhsa_user_sgpr_flat_scratch_init 0
		.amdhsa_user_sgpr_private_segment_size 0
		.amdhsa_uses_dynamic_stack 0
		.amdhsa_system_sgpr_private_segment_wavefront_offset 0
		.amdhsa_system_sgpr_workgroup_id_x 1
		.amdhsa_system_sgpr_workgroup_id_y 0
		.amdhsa_system_sgpr_workgroup_id_z 1
		.amdhsa_system_sgpr_workgroup_info 0
		.amdhsa_system_vgpr_workitem_id 0
		.amdhsa_next_free_vgpr 16
		.amdhsa_next_free_sgpr 24
		.amdhsa_reserve_vcc 1
		.amdhsa_reserve_flat_scratch 0
		.amdhsa_float_round_mode_32 0
		.amdhsa_float_round_mode_16_64 0
		.amdhsa_float_denorm_mode_32 3
		.amdhsa_float_denorm_mode_16_64 3
		.amdhsa_dx10_clamp 1
		.amdhsa_ieee_mode 1
		.amdhsa_fp16_overflow 0
		.amdhsa_exception_fp_ieee_invalid_op 0
		.amdhsa_exception_fp_denorm_src 0
		.amdhsa_exception_fp_ieee_div_zero 0
		.amdhsa_exception_fp_ieee_overflow 0
		.amdhsa_exception_fp_ieee_underflow 0
		.amdhsa_exception_fp_ieee_inexact 0
		.amdhsa_exception_int_div_zero 0
	.end_amdhsa_kernel
	.section	.text._ZL26rocblas_dot_kernel_inc1by2ILb1ELi1024ELi32ELb1EfPKPKddEviT4_llS4_lliPT5_PT3_,"axG",@progbits,_ZL26rocblas_dot_kernel_inc1by2ILb1ELi1024ELi32ELb1EfPKPKddEviT4_llS4_lliPT5_PT3_,comdat
.Lfunc_end245:
	.size	_ZL26rocblas_dot_kernel_inc1by2ILb1ELi1024ELi32ELb1EfPKPKddEviT4_llS4_lliPT5_PT3_, .Lfunc_end245-_ZL26rocblas_dot_kernel_inc1by2ILb1ELi1024ELi32ELb1EfPKPKddEviT4_llS4_lliPT5_PT3_
                                        ; -- End function
	.set _ZL26rocblas_dot_kernel_inc1by2ILb1ELi1024ELi32ELb1EfPKPKddEviT4_llS4_lliPT5_PT3_.num_vgpr, 16
	.set _ZL26rocblas_dot_kernel_inc1by2ILb1ELi1024ELi32ELb1EfPKPKddEviT4_llS4_lliPT5_PT3_.num_agpr, 0
	.set _ZL26rocblas_dot_kernel_inc1by2ILb1ELi1024ELi32ELb1EfPKPKddEviT4_llS4_lliPT5_PT3_.numbered_sgpr, 24
	.set _ZL26rocblas_dot_kernel_inc1by2ILb1ELi1024ELi32ELb1EfPKPKddEviT4_llS4_lliPT5_PT3_.num_named_barrier, 0
	.set _ZL26rocblas_dot_kernel_inc1by2ILb1ELi1024ELi32ELb1EfPKPKddEviT4_llS4_lliPT5_PT3_.private_seg_size, 0
	.set _ZL26rocblas_dot_kernel_inc1by2ILb1ELi1024ELi32ELb1EfPKPKddEviT4_llS4_lliPT5_PT3_.uses_vcc, 1
	.set _ZL26rocblas_dot_kernel_inc1by2ILb1ELi1024ELi32ELb1EfPKPKddEviT4_llS4_lliPT5_PT3_.uses_flat_scratch, 0
	.set _ZL26rocblas_dot_kernel_inc1by2ILb1ELi1024ELi32ELb1EfPKPKddEviT4_llS4_lliPT5_PT3_.has_dyn_sized_stack, 0
	.set _ZL26rocblas_dot_kernel_inc1by2ILb1ELi1024ELi32ELb1EfPKPKddEviT4_llS4_lliPT5_PT3_.has_recursion, 0
	.set _ZL26rocblas_dot_kernel_inc1by2ILb1ELi1024ELi32ELb1EfPKPKddEviT4_llS4_lliPT5_PT3_.has_indirect_call, 0
	.section	.AMDGPU.csdata,"",@progbits
; Kernel info:
; codeLenInByte = 1080
; TotalNumSgprs: 28
; NumVgprs: 16
; ScratchSize: 0
; MemoryBound: 0
; FloatMode: 240
; IeeeMode: 1
; LDSByteSize: 512 bytes/workgroup (compile time only)
; SGPRBlocks: 3
; VGPRBlocks: 3
; NumSGPRsForWavesPerEU: 28
; NumVGPRsForWavesPerEU: 16
; Occupancy: 10
; WaveLimiterHint : 1
; COMPUTE_PGM_RSRC2:SCRATCH_EN: 0
; COMPUTE_PGM_RSRC2:USER_SGPR: 6
; COMPUTE_PGM_RSRC2:TRAP_HANDLER: 0
; COMPUTE_PGM_RSRC2:TGID_X_EN: 1
; COMPUTE_PGM_RSRC2:TGID_Y_EN: 0
; COMPUTE_PGM_RSRC2:TGID_Z_EN: 1
; COMPUTE_PGM_RSRC2:TIDIG_COMP_CNT: 0
	.section	.text._ZL18rocblas_dot_kernelIiLb1ELi1024ELi32ELb1EfPKPKddEviT5_lT_lS4_lS5_liPT6_PT4_,"axG",@progbits,_ZL18rocblas_dot_kernelIiLb1ELi1024ELi32ELb1EfPKPKddEviT5_lT_lS4_lS5_liPT6_PT4_,comdat
	.globl	_ZL18rocblas_dot_kernelIiLb1ELi1024ELi32ELb1EfPKPKddEviT5_lT_lS4_lS5_liPT6_PT4_ ; -- Begin function _ZL18rocblas_dot_kernelIiLb1ELi1024ELi32ELb1EfPKPKddEviT5_lT_lS4_lS5_liPT6_PT4_
	.p2align	8
	.type	_ZL18rocblas_dot_kernelIiLb1ELi1024ELi32ELb1EfPKPKddEviT5_lT_lS4_lS5_liPT6_PT4_,@function
_ZL18rocblas_dot_kernelIiLb1ELi1024ELi32ELb1EfPKPKddEviT5_lT_lS4_lS5_liPT6_PT4_: ; @_ZL18rocblas_dot_kernelIiLb1ELi1024ELi32ELb1EfPKPKddEviT5_lT_lS4_lS5_liPT6_PT4_
; %bb.0:
	s_load_dword s14, s[4:5], 0x0
	s_load_dwordx2 s[8:9], s[4:5], 0x58
	v_mov_b32_e32 v1, 0
	s_mov_b32 s6, s7
	s_mov_b32 s7, 0
	v_mov_b32_e32 v2, 0
	s_waitcnt lgkmcnt(0)
	v_cmp_gt_i32_e32 vcc, s14, v0
	s_and_saveexec_b64 s[10:11], vcc
	s_cbranch_execz .LBB246_4
; %bb.1:
	s_load_dwordx4 s[16:19], s[4:5], 0x8
	s_load_dwordx4 s[0:3], s[4:5], 0x28
	s_load_dword s22, s[4:5], 0x18
	s_lshl_b64 s[12:13], s[6:7], 3
	s_waitcnt lgkmcnt(0)
	s_add_u32 s16, s16, s12
	s_addc_u32 s17, s17, s13
	s_load_dwordx2 s[20:21], s[16:17], 0x0
	s_load_dword s23, s[4:5], 0x38
	s_load_dword s15, s[4:5], 0x60
	v_mad_i64_i32 v[1:2], s[4:5], s22, v0, 0
	s_add_u32 s0, s0, s12
	s_addc_u32 s1, s1, s13
	s_waitcnt lgkmcnt(0)
	s_lshl_b32 s15, s15, 10
	s_lshl_b64 s[4:5], s[18:19], 3
	v_lshlrev_b64 v[1:2], 3, v[1:2]
	s_add_u32 s4, s20, s4
	s_addc_u32 s5, s21, s5
	s_load_dwordx2 s[0:1], s[0:1], 0x0
	v_mov_b32_e32 v4, s5
	v_add_co_u32_e32 v3, vcc, s4, v1
	v_addc_co_u32_e32 v4, vcc, v4, v2, vcc
	v_mad_i64_i32 v[1:2], s[4:5], s23, v0, 0
	s_mul_hi_i32 s5, s22, s15
	s_mul_i32 s4, s22, s15
	s_lshl_b64 s[4:5], s[4:5], 3
	s_lshl_b64 s[2:3], s[2:3], 3
	v_lshlrev_b64 v[1:2], 3, v[1:2]
	s_waitcnt lgkmcnt(0)
	s_add_u32 s0, s0, s2
	s_addc_u32 s1, s1, s3
	v_mov_b32_e32 v6, s1
	v_add_co_u32_e32 v5, vcc, s0, v1
	s_mul_hi_i32 s1, s23, s15
	s_mul_i32 s0, s23, s15
	v_addc_co_u32_e32 v6, vcc, v6, v2, vcc
	s_lshl_b64 s[2:3], s[0:1], 3
	v_mov_b32_e32 v1, 0
	v_or_b32_e32 v7, s15, v0
	v_mov_b32_e32 v2, 0
	s_mov_b64 s[12:13], 0
	v_mov_b32_e32 v8, s5
	v_mov_b32_e32 v9, s3
	s_mov_b32 s3, s7
.LBB246_2:                              ; =>This Inner Loop Header: Depth=1
	flat_load_dwordx2 v[10:11], v[5:6]
	flat_load_dwordx2 v[12:13], v[3:4]
	v_add_co_u32_e64 v3, s[0:1], s4, v3
	v_addc_co_u32_e64 v4, s[0:1], v4, v8, s[0:1]
	s_add_i32 s5, s3, 1
	v_add_co_u32_e64 v5, s[0:1], s2, v5
	v_addc_co_u32_e64 v6, s[0:1], v6, v9, s[0:1]
	s_cmp_gt_u32 s3, 30
	v_cmp_le_i32_e32 vcc, s14, v7
	s_cselect_b64 s[0:1], -1, 0
	s_or_b64 s[0:1], s[0:1], vcc
	s_and_b64 s[0:1], exec, s[0:1]
	v_add_u32_e32 v7, s15, v7
	s_or_b64 s[12:13], s[0:1], s[12:13]
	s_mov_b32 s3, s5
	s_waitcnt vmcnt(0) lgkmcnt(0)
	v_fma_f64 v[1:2], v[10:11], v[12:13], v[1:2]
	s_andn2_b64 exec, exec, s[12:13]
	s_cbranch_execnz .LBB246_2
; %bb.3:
	s_or_b64 exec, exec, s[12:13]
.LBB246_4:
	s_or_b64 exec, exec, s[10:11]
	v_and_b32_e32 v8, 63, v0
	v_cmp_gt_u32_e32 vcc, 64, v0
	v_lshlrev_b32_e32 v5, 3, v8
	s_and_saveexec_b64 s[0:1], vcc
; %bb.5:
	v_mov_b32_e32 v3, 0
	v_mov_b32_e32 v4, v3
	ds_write_b64 v5, v[3:4]
; %bb.6:
	s_or_b64 exec, exec, s[0:1]
	v_mbcnt_lo_u32_b32 v3, -1, 0
	v_mbcnt_hi_u32_b32 v10, -1, v3
	v_mov_b32_e32 v3, 0x80
	v_lshl_or_b32 v4, v10, 2, v3
	ds_bpermute_b32 v3, v4, v1
	ds_bpermute_b32 v4, v4, v2
	v_and_b32_e32 v11, 63, v10
	v_cmp_gt_u32_e64 s[0:1], 48, v11
	s_waitcnt lgkmcnt(0)
	s_barrier
	v_add_f64 v[1:2], v[1:2], v[3:4]
	v_cndmask_b32_e64 v3, 0, 16, s[0:1]
	v_add_lshl_u32 v4, v3, v10, 2
	v_cmp_gt_u32_e64 s[0:1], 56, v11
	ds_bpermute_b32 v3, v4, v1
	ds_bpermute_b32 v4, v4, v2
	s_waitcnt lgkmcnt(0)
	v_add_f64 v[1:2], v[1:2], v[3:4]
	v_cndmask_b32_e64 v3, 0, 8, s[0:1]
	v_add_lshl_u32 v6, v3, v10, 2
	v_cmp_gt_u32_e64 s[0:1], 60, v11
	ds_bpermute_b32 v3, v6, v1
	ds_bpermute_b32 v4, v6, v2
	s_waitcnt lgkmcnt(0)
	;; [unrolled: 7-line block ×3, first 2 shown]
	v_add_f64 v[1:2], v[1:2], v[3:4]
	v_cndmask_b32_e64 v3, 0, 2, s[0:1]
	v_add_lshl_u32 v9, v3, v10, 2
	v_cmp_ne_u32_e64 s[0:1], 63, v11
	ds_bpermute_b32 v3, v9, v1
	ds_bpermute_b32 v4, v9, v2
	s_waitcnt lgkmcnt(0)
	v_add_f64 v[1:2], v[1:2], v[3:4]
	v_addc_co_u32_e64 v3, s[0:1], 0, v10, s[0:1]
	v_lshlrev_b32_e32 v10, 2, v3
	v_cmp_eq_u32_e64 s[0:1], 0, v8
	ds_bpermute_b32 v3, v10, v1
	ds_bpermute_b32 v4, v10, v2
	s_and_saveexec_b64 s[2:3], s[0:1]
	s_cbranch_execz .LBB246_8
; %bb.7:
	s_waitcnt lgkmcnt(0)
	v_add_f64 v[1:2], v[1:2], v[3:4]
	v_lshrrev_b32_e32 v3, 3, v0
	v_and_b32_e32 v3, 0x78, v3
	ds_write_b64 v3, v[1:2]
.LBB246_8:
	s_or_b64 exec, exec, s[2:3]
	v_mov_b32_e32 v1, 0
	v_mov_b32_e32 v2, 0
	v_cmp_gt_u32_e64 s[0:1], 16, v0
	s_waitcnt lgkmcnt(0)
	s_barrier
	s_and_saveexec_b64 s[2:3], s[0:1]
	s_cbranch_execnz .LBB246_12
; %bb.9:
	s_or_b64 exec, exec, s[2:3]
	s_and_saveexec_b64 s[0:1], vcc
	s_cbranch_execnz .LBB246_13
.LBB246_10:
	s_or_b64 exec, exec, s[0:1]
	v_cmp_eq_u32_e32 vcc, 0, v0
	s_and_saveexec_b64 s[0:1], vcc
	s_cbranch_execnz .LBB246_14
.LBB246_11:
	s_endpgm
.LBB246_12:
	ds_read_b64 v[1:2], v5
	s_or_b64 exec, exec, s[2:3]
	s_and_saveexec_b64 s[0:1], vcc
	s_cbranch_execz .LBB246_10
.LBB246_13:
	s_waitcnt lgkmcnt(0)
	ds_bpermute_b32 v3, v6, v1
	ds_bpermute_b32 v4, v6, v2
	s_waitcnt lgkmcnt(0)
	v_add_f64 v[1:2], v[1:2], v[3:4]
	ds_bpermute_b32 v3, v7, v1
	ds_bpermute_b32 v4, v7, v2
	s_waitcnt lgkmcnt(0)
	v_add_f64 v[1:2], v[1:2], v[3:4]
	;; [unrolled: 4-line block ×4, first 2 shown]
	s_or_b64 exec, exec, s[0:1]
	v_cmp_eq_u32_e32 vcc, 0, v0
	s_and_saveexec_b64 s[0:1], vcc
	s_cbranch_execz .LBB246_11
.LBB246_14:
	s_waitcnt lgkmcnt(0)
	v_cvt_f32_f64_e32 v0, v[1:2]
	s_lshl_b64 s[0:1], s[6:7], 2
	s_add_u32 s0, s8, s0
	s_addc_u32 s1, s9, s1
	v_mov_b32_e32 v1, 0
	global_store_dword v1, v0, s[0:1]
	s_endpgm
	.section	.rodata,"a",@progbits
	.p2align	6, 0x0
	.amdhsa_kernel _ZL18rocblas_dot_kernelIiLb1ELi1024ELi32ELb1EfPKPKddEviT5_lT_lS4_lS5_liPT6_PT4_
		.amdhsa_group_segment_fixed_size 512
		.amdhsa_private_segment_fixed_size 0
		.amdhsa_kernarg_size 352
		.amdhsa_user_sgpr_count 6
		.amdhsa_user_sgpr_private_segment_buffer 1
		.amdhsa_user_sgpr_dispatch_ptr 0
		.amdhsa_user_sgpr_queue_ptr 0
		.amdhsa_user_sgpr_kernarg_segment_ptr 1
		.amdhsa_user_sgpr_dispatch_id 0
		.amdhsa_user_sgpr_flat_scratch_init 0
		.amdhsa_user_sgpr_private_segment_size 0
		.amdhsa_uses_dynamic_stack 0
		.amdhsa_system_sgpr_private_segment_wavefront_offset 0
		.amdhsa_system_sgpr_workgroup_id_x 1
		.amdhsa_system_sgpr_workgroup_id_y 0
		.amdhsa_system_sgpr_workgroup_id_z 1
		.amdhsa_system_sgpr_workgroup_info 0
		.amdhsa_system_vgpr_workitem_id 0
		.amdhsa_next_free_vgpr 14
		.amdhsa_next_free_sgpr 24
		.amdhsa_reserve_vcc 1
		.amdhsa_reserve_flat_scratch 0
		.amdhsa_float_round_mode_32 0
		.amdhsa_float_round_mode_16_64 0
		.amdhsa_float_denorm_mode_32 3
		.amdhsa_float_denorm_mode_16_64 3
		.amdhsa_dx10_clamp 1
		.amdhsa_ieee_mode 1
		.amdhsa_fp16_overflow 0
		.amdhsa_exception_fp_ieee_invalid_op 0
		.amdhsa_exception_fp_denorm_src 0
		.amdhsa_exception_fp_ieee_div_zero 0
		.amdhsa_exception_fp_ieee_overflow 0
		.amdhsa_exception_fp_ieee_underflow 0
		.amdhsa_exception_fp_ieee_inexact 0
		.amdhsa_exception_int_div_zero 0
	.end_amdhsa_kernel
	.section	.text._ZL18rocblas_dot_kernelIiLb1ELi1024ELi32ELb1EfPKPKddEviT5_lT_lS4_lS5_liPT6_PT4_,"axG",@progbits,_ZL18rocblas_dot_kernelIiLb1ELi1024ELi32ELb1EfPKPKddEviT5_lT_lS4_lS5_liPT6_PT4_,comdat
.Lfunc_end246:
	.size	_ZL18rocblas_dot_kernelIiLb1ELi1024ELi32ELb1EfPKPKddEviT5_lT_lS4_lS5_liPT6_PT4_, .Lfunc_end246-_ZL18rocblas_dot_kernelIiLb1ELi1024ELi32ELb1EfPKPKddEviT5_lT_lS4_lS5_liPT6_PT4_
                                        ; -- End function
	.set _ZL18rocblas_dot_kernelIiLb1ELi1024ELi32ELb1EfPKPKddEviT5_lT_lS4_lS5_liPT6_PT4_.num_vgpr, 14
	.set _ZL18rocblas_dot_kernelIiLb1ELi1024ELi32ELb1EfPKPKddEviT5_lT_lS4_lS5_liPT6_PT4_.num_agpr, 0
	.set _ZL18rocblas_dot_kernelIiLb1ELi1024ELi32ELb1EfPKPKddEviT5_lT_lS4_lS5_liPT6_PT4_.numbered_sgpr, 24
	.set _ZL18rocblas_dot_kernelIiLb1ELi1024ELi32ELb1EfPKPKddEviT5_lT_lS4_lS5_liPT6_PT4_.num_named_barrier, 0
	.set _ZL18rocblas_dot_kernelIiLb1ELi1024ELi32ELb1EfPKPKddEviT5_lT_lS4_lS5_liPT6_PT4_.private_seg_size, 0
	.set _ZL18rocblas_dot_kernelIiLb1ELi1024ELi32ELb1EfPKPKddEviT5_lT_lS4_lS5_liPT6_PT4_.uses_vcc, 1
	.set _ZL18rocblas_dot_kernelIiLb1ELi1024ELi32ELb1EfPKPKddEviT5_lT_lS4_lS5_liPT6_PT4_.uses_flat_scratch, 0
	.set _ZL18rocblas_dot_kernelIiLb1ELi1024ELi32ELb1EfPKPKddEviT5_lT_lS4_lS5_liPT6_PT4_.has_dyn_sized_stack, 0
	.set _ZL18rocblas_dot_kernelIiLb1ELi1024ELi32ELb1EfPKPKddEviT5_lT_lS4_lS5_liPT6_PT4_.has_recursion, 0
	.set _ZL18rocblas_dot_kernelIiLb1ELi1024ELi32ELb1EfPKPKddEviT5_lT_lS4_lS5_liPT6_PT4_.has_indirect_call, 0
	.section	.AMDGPU.csdata,"",@progbits
; Kernel info:
; codeLenInByte = 1036
; TotalNumSgprs: 28
; NumVgprs: 14
; ScratchSize: 0
; MemoryBound: 0
; FloatMode: 240
; IeeeMode: 1
; LDSByteSize: 512 bytes/workgroup (compile time only)
; SGPRBlocks: 3
; VGPRBlocks: 3
; NumSGPRsForWavesPerEU: 28
; NumVGPRsForWavesPerEU: 14
; Occupancy: 10
; WaveLimiterHint : 0
; COMPUTE_PGM_RSRC2:SCRATCH_EN: 0
; COMPUTE_PGM_RSRC2:USER_SGPR: 6
; COMPUTE_PGM_RSRC2:TRAP_HANDLER: 0
; COMPUTE_PGM_RSRC2:TGID_X_EN: 1
; COMPUTE_PGM_RSRC2:TGID_Y_EN: 0
; COMPUTE_PGM_RSRC2:TGID_Z_EN: 1
; COMPUTE_PGM_RSRC2:TIDIG_COMP_CNT: 0
	.section	.text._ZL24rocblas_dot_kernel_magsqIiLb1ELi1024ELi32ELb1EfPKPKddEviT5_lT_liPT6_PT4_,"axG",@progbits,_ZL24rocblas_dot_kernel_magsqIiLb1ELi1024ELi32ELb1EfPKPKddEviT5_lT_liPT6_PT4_,comdat
	.globl	_ZL24rocblas_dot_kernel_magsqIiLb1ELi1024ELi32ELb1EfPKPKddEviT5_lT_liPT6_PT4_ ; -- Begin function _ZL24rocblas_dot_kernel_magsqIiLb1ELi1024ELi32ELb1EfPKPKddEviT5_lT_liPT6_PT4_
	.p2align	8
	.type	_ZL24rocblas_dot_kernel_magsqIiLb1ELi1024ELi32ELb1EfPKPKddEviT5_lT_liPT6_PT4_,@function
_ZL24rocblas_dot_kernel_magsqIiLb1ELi1024ELi32ELb1EfPKPKddEviT5_lT_liPT6_PT4_: ; @_ZL24rocblas_dot_kernel_magsqIiLb1ELi1024ELi32ELb1EfPKPKddEviT5_lT_liPT6_PT4_
; %bb.0:
	s_mov_b32 s2, s7
	s_load_dword s12, s[4:5], 0x0
	s_load_dwordx2 s[6:7], s[4:5], 0x38
	v_mov_b32_e32 v1, 0
	s_mov_b32 s3, 0
	v_mov_b32_e32 v2, 0
	s_waitcnt lgkmcnt(0)
	v_cmp_gt_i32_e32 vcc, s12, v0
	s_and_saveexec_b64 s[8:9], vcc
	s_cbranch_execz .LBB247_4
; %bb.1:
	s_load_dwordx4 s[16:19], s[4:5], 0x8
	s_lshl_b64 s[0:1], s[2:3], 3
	s_load_dword s10, s[4:5], 0x18
	s_load_dword s11, s[4:5], 0x40
	s_waitcnt lgkmcnt(0)
	s_add_u32 s0, s16, s0
	s_addc_u32 s1, s17, s1
	s_load_dwordx2 s[0:1], s[0:1], 0x0
	v_mad_i64_i32 v[1:2], s[4:5], s10, v0, 0
	s_lshl_b32 s13, s11, 10
	s_lshl_b64 s[4:5], s[18:19], 3
	v_lshlrev_b64 v[1:2], 3, v[1:2]
	s_waitcnt lgkmcnt(0)
	s_add_u32 s0, s0, s4
	s_addc_u32 s1, s1, s5
	v_mov_b32_e32 v4, s1
	v_add_co_u32_e32 v3, vcc, s0, v1
	s_mul_hi_i32 s1, s10, s13
	s_mul_i32 s0, s10, s13
	v_addc_co_u32_e32 v4, vcc, v4, v2, vcc
	s_lshl_b64 s[4:5], s[0:1], 3
	v_mov_b32_e32 v1, 0
	v_or_b32_e32 v5, s13, v0
	v_mov_b32_e32 v2, 0
	s_mov_b64 s[10:11], 0
	v_mov_b32_e32 v6, s5
	s_mov_b32 s5, s3
.LBB247_2:                              ; =>This Inner Loop Header: Depth=1
	flat_load_dwordx2 v[7:8], v[3:4]
	s_add_i32 s14, s5, 1
	v_add_co_u32_e64 v3, s[0:1], s4, v3
	v_addc_co_u32_e64 v4, s[0:1], v4, v6, s[0:1]
	s_cmp_gt_u32 s5, 30
	v_cmp_le_i32_e32 vcc, s12, v5
	s_cselect_b64 s[0:1], -1, 0
	s_or_b64 s[0:1], s[0:1], vcc
	s_and_b64 s[0:1], exec, s[0:1]
	v_add_u32_e32 v5, s13, v5
	s_or_b64 s[10:11], s[0:1], s[10:11]
	s_mov_b32 s5, s14
	s_waitcnt vmcnt(0) lgkmcnt(0)
	v_fma_f64 v[1:2], v[7:8], v[7:8], v[1:2]
	s_andn2_b64 exec, exec, s[10:11]
	s_cbranch_execnz .LBB247_2
; %bb.3:
	s_or_b64 exec, exec, s[10:11]
.LBB247_4:
	s_or_b64 exec, exec, s[8:9]
	v_and_b32_e32 v8, 63, v0
	v_cmp_gt_u32_e32 vcc, 64, v0
	v_lshlrev_b32_e32 v5, 3, v8
	s_and_saveexec_b64 s[0:1], vcc
; %bb.5:
	v_mov_b32_e32 v3, 0
	v_mov_b32_e32 v4, v3
	ds_write_b64 v5, v[3:4]
; %bb.6:
	s_or_b64 exec, exec, s[0:1]
	v_mbcnt_lo_u32_b32 v3, -1, 0
	v_mbcnt_hi_u32_b32 v10, -1, v3
	v_mov_b32_e32 v3, 0x80
	v_lshl_or_b32 v4, v10, 2, v3
	ds_bpermute_b32 v3, v4, v1
	ds_bpermute_b32 v4, v4, v2
	v_and_b32_e32 v11, 63, v10
	v_cmp_gt_u32_e64 s[0:1], 48, v11
	s_waitcnt lgkmcnt(0)
	s_barrier
	v_add_f64 v[1:2], v[1:2], v[3:4]
	v_cndmask_b32_e64 v3, 0, 16, s[0:1]
	v_add_lshl_u32 v4, v3, v10, 2
	v_cmp_gt_u32_e64 s[0:1], 56, v11
	ds_bpermute_b32 v3, v4, v1
	ds_bpermute_b32 v4, v4, v2
	s_waitcnt lgkmcnt(0)
	v_add_f64 v[1:2], v[1:2], v[3:4]
	v_cndmask_b32_e64 v3, 0, 8, s[0:1]
	v_add_lshl_u32 v6, v3, v10, 2
	v_cmp_gt_u32_e64 s[0:1], 60, v11
	ds_bpermute_b32 v3, v6, v1
	ds_bpermute_b32 v4, v6, v2
	s_waitcnt lgkmcnt(0)
	;; [unrolled: 7-line block ×3, first 2 shown]
	v_add_f64 v[1:2], v[1:2], v[3:4]
	v_cndmask_b32_e64 v3, 0, 2, s[0:1]
	v_add_lshl_u32 v9, v3, v10, 2
	v_cmp_ne_u32_e64 s[0:1], 63, v11
	ds_bpermute_b32 v3, v9, v1
	ds_bpermute_b32 v4, v9, v2
	s_waitcnt lgkmcnt(0)
	v_add_f64 v[1:2], v[1:2], v[3:4]
	v_addc_co_u32_e64 v3, s[0:1], 0, v10, s[0:1]
	v_lshlrev_b32_e32 v10, 2, v3
	v_cmp_eq_u32_e64 s[0:1], 0, v8
	ds_bpermute_b32 v3, v10, v1
	ds_bpermute_b32 v4, v10, v2
	s_and_saveexec_b64 s[4:5], s[0:1]
	s_cbranch_execz .LBB247_8
; %bb.7:
	s_waitcnt lgkmcnt(0)
	v_add_f64 v[1:2], v[1:2], v[3:4]
	v_lshrrev_b32_e32 v3, 3, v0
	v_and_b32_e32 v3, 0x78, v3
	ds_write_b64 v3, v[1:2]
.LBB247_8:
	s_or_b64 exec, exec, s[4:5]
	v_mov_b32_e32 v1, 0
	v_mov_b32_e32 v2, 0
	v_cmp_gt_u32_e64 s[0:1], 16, v0
	s_waitcnt lgkmcnt(0)
	s_barrier
	s_and_saveexec_b64 s[4:5], s[0:1]
	s_cbranch_execnz .LBB247_12
; %bb.9:
	s_or_b64 exec, exec, s[4:5]
	s_and_saveexec_b64 s[0:1], vcc
	s_cbranch_execnz .LBB247_13
.LBB247_10:
	s_or_b64 exec, exec, s[0:1]
	v_cmp_eq_u32_e32 vcc, 0, v0
	s_and_saveexec_b64 s[0:1], vcc
	s_cbranch_execnz .LBB247_14
.LBB247_11:
	s_endpgm
.LBB247_12:
	ds_read_b64 v[1:2], v5
	s_or_b64 exec, exec, s[4:5]
	s_and_saveexec_b64 s[0:1], vcc
	s_cbranch_execz .LBB247_10
.LBB247_13:
	s_waitcnt lgkmcnt(0)
	ds_bpermute_b32 v3, v6, v1
	ds_bpermute_b32 v4, v6, v2
	s_waitcnt lgkmcnt(0)
	v_add_f64 v[1:2], v[1:2], v[3:4]
	ds_bpermute_b32 v3, v7, v1
	ds_bpermute_b32 v4, v7, v2
	s_waitcnt lgkmcnt(0)
	v_add_f64 v[1:2], v[1:2], v[3:4]
	;; [unrolled: 4-line block ×4, first 2 shown]
	s_or_b64 exec, exec, s[0:1]
	v_cmp_eq_u32_e32 vcc, 0, v0
	s_and_saveexec_b64 s[0:1], vcc
	s_cbranch_execz .LBB247_11
.LBB247_14:
	s_waitcnt lgkmcnt(0)
	v_cvt_f32_f64_e32 v0, v[1:2]
	s_lshl_b64 s[0:1], s[2:3], 2
	s_add_u32 s0, s6, s0
	s_addc_u32 s1, s7, s1
	v_mov_b32_e32 v1, 0
	global_store_dword v1, v0, s[0:1]
	s_endpgm
	.section	.rodata,"a",@progbits
	.p2align	6, 0x0
	.amdhsa_kernel _ZL24rocblas_dot_kernel_magsqIiLb1ELi1024ELi32ELb1EfPKPKddEviT5_lT_liPT6_PT4_
		.amdhsa_group_segment_fixed_size 512
		.amdhsa_private_segment_fixed_size 0
		.amdhsa_kernarg_size 320
		.amdhsa_user_sgpr_count 6
		.amdhsa_user_sgpr_private_segment_buffer 1
		.amdhsa_user_sgpr_dispatch_ptr 0
		.amdhsa_user_sgpr_queue_ptr 0
		.amdhsa_user_sgpr_kernarg_segment_ptr 1
		.amdhsa_user_sgpr_dispatch_id 0
		.amdhsa_user_sgpr_flat_scratch_init 0
		.amdhsa_user_sgpr_private_segment_size 0
		.amdhsa_uses_dynamic_stack 0
		.amdhsa_system_sgpr_private_segment_wavefront_offset 0
		.amdhsa_system_sgpr_workgroup_id_x 1
		.amdhsa_system_sgpr_workgroup_id_y 0
		.amdhsa_system_sgpr_workgroup_id_z 1
		.amdhsa_system_sgpr_workgroup_info 0
		.amdhsa_system_vgpr_workitem_id 0
		.amdhsa_next_free_vgpr 12
		.amdhsa_next_free_sgpr 20
		.amdhsa_reserve_vcc 1
		.amdhsa_reserve_flat_scratch 0
		.amdhsa_float_round_mode_32 0
		.amdhsa_float_round_mode_16_64 0
		.amdhsa_float_denorm_mode_32 3
		.amdhsa_float_denorm_mode_16_64 3
		.amdhsa_dx10_clamp 1
		.amdhsa_ieee_mode 1
		.amdhsa_fp16_overflow 0
		.amdhsa_exception_fp_ieee_invalid_op 0
		.amdhsa_exception_fp_denorm_src 0
		.amdhsa_exception_fp_ieee_div_zero 0
		.amdhsa_exception_fp_ieee_overflow 0
		.amdhsa_exception_fp_ieee_underflow 0
		.amdhsa_exception_fp_ieee_inexact 0
		.amdhsa_exception_int_div_zero 0
	.end_amdhsa_kernel
	.section	.text._ZL24rocblas_dot_kernel_magsqIiLb1ELi1024ELi32ELb1EfPKPKddEviT5_lT_liPT6_PT4_,"axG",@progbits,_ZL24rocblas_dot_kernel_magsqIiLb1ELi1024ELi32ELb1EfPKPKddEviT5_lT_liPT6_PT4_,comdat
.Lfunc_end247:
	.size	_ZL24rocblas_dot_kernel_magsqIiLb1ELi1024ELi32ELb1EfPKPKddEviT5_lT_liPT6_PT4_, .Lfunc_end247-_ZL24rocblas_dot_kernel_magsqIiLb1ELi1024ELi32ELb1EfPKPKddEviT5_lT_liPT6_PT4_
                                        ; -- End function
	.set _ZL24rocblas_dot_kernel_magsqIiLb1ELi1024ELi32ELb1EfPKPKddEviT5_lT_liPT6_PT4_.num_vgpr, 12
	.set _ZL24rocblas_dot_kernel_magsqIiLb1ELi1024ELi32ELb1EfPKPKddEviT5_lT_liPT6_PT4_.num_agpr, 0
	.set _ZL24rocblas_dot_kernel_magsqIiLb1ELi1024ELi32ELb1EfPKPKddEviT5_lT_liPT6_PT4_.numbered_sgpr, 20
	.set _ZL24rocblas_dot_kernel_magsqIiLb1ELi1024ELi32ELb1EfPKPKddEviT5_lT_liPT6_PT4_.num_named_barrier, 0
	.set _ZL24rocblas_dot_kernel_magsqIiLb1ELi1024ELi32ELb1EfPKPKddEviT5_lT_liPT6_PT4_.private_seg_size, 0
	.set _ZL24rocblas_dot_kernel_magsqIiLb1ELi1024ELi32ELb1EfPKPKddEviT5_lT_liPT6_PT4_.uses_vcc, 1
	.set _ZL24rocblas_dot_kernel_magsqIiLb1ELi1024ELi32ELb1EfPKPKddEviT5_lT_liPT6_PT4_.uses_flat_scratch, 0
	.set _ZL24rocblas_dot_kernel_magsqIiLb1ELi1024ELi32ELb1EfPKPKddEviT5_lT_liPT6_PT4_.has_dyn_sized_stack, 0
	.set _ZL24rocblas_dot_kernel_magsqIiLb1ELi1024ELi32ELb1EfPKPKddEviT5_lT_liPT6_PT4_.has_recursion, 0
	.set _ZL24rocblas_dot_kernel_magsqIiLb1ELi1024ELi32ELb1EfPKPKddEviT5_lT_liPT6_PT4_.has_indirect_call, 0
	.section	.AMDGPU.csdata,"",@progbits
; Kernel info:
; codeLenInByte = 920
; TotalNumSgprs: 24
; NumVgprs: 12
; ScratchSize: 0
; MemoryBound: 0
; FloatMode: 240
; IeeeMode: 1
; LDSByteSize: 512 bytes/workgroup (compile time only)
; SGPRBlocks: 2
; VGPRBlocks: 2
; NumSGPRsForWavesPerEU: 24
; NumVGPRsForWavesPerEU: 12
; Occupancy: 10
; WaveLimiterHint : 0
; COMPUTE_PGM_RSRC2:SCRATCH_EN: 0
; COMPUTE_PGM_RSRC2:USER_SGPR: 6
; COMPUTE_PGM_RSRC2:TRAP_HANDLER: 0
; COMPUTE_PGM_RSRC2:TGID_X_EN: 1
; COMPUTE_PGM_RSRC2:TGID_Y_EN: 0
; COMPUTE_PGM_RSRC2:TGID_Z_EN: 1
; COMPUTE_PGM_RSRC2:TIDIG_COMP_CNT: 0
	.section	.text._ZL38rocblas_dot_kernel_gfx942_float_doubleIiLi1024EfPKPKddEviT2_lT_lS4_lS5_lPT3_PT1_,"axG",@progbits,_ZL38rocblas_dot_kernel_gfx942_float_doubleIiLi1024EfPKPKddEviT2_lT_lS4_lS5_lPT3_PT1_,comdat
	.globl	_ZL38rocblas_dot_kernel_gfx942_float_doubleIiLi1024EfPKPKddEviT2_lT_lS4_lS5_lPT3_PT1_ ; -- Begin function _ZL38rocblas_dot_kernel_gfx942_float_doubleIiLi1024EfPKPKddEviT2_lT_lS4_lS5_lPT3_PT1_
	.p2align	8
	.type	_ZL38rocblas_dot_kernel_gfx942_float_doubleIiLi1024EfPKPKddEviT2_lT_lS4_lS5_lPT3_PT1_,@function
_ZL38rocblas_dot_kernel_gfx942_float_doubleIiLi1024EfPKPKddEviT2_lT_lS4_lS5_lPT3_PT1_: ; @_ZL38rocblas_dot_kernel_gfx942_float_doubleIiLi1024EfPKPKddEviT2_lT_lS4_lS5_lPT3_PT1_
; %bb.0:
	s_endpgm
	.section	.rodata,"a",@progbits
	.p2align	6, 0x0
	.amdhsa_kernel _ZL38rocblas_dot_kernel_gfx942_float_doubleIiLi1024EfPKPKddEviT2_lT_lS4_lS5_lPT3_PT1_
		.amdhsa_group_segment_fixed_size 0
		.amdhsa_private_segment_fixed_size 0
		.amdhsa_kernarg_size 88
		.amdhsa_user_sgpr_count 6
		.amdhsa_user_sgpr_private_segment_buffer 1
		.amdhsa_user_sgpr_dispatch_ptr 0
		.amdhsa_user_sgpr_queue_ptr 0
		.amdhsa_user_sgpr_kernarg_segment_ptr 1
		.amdhsa_user_sgpr_dispatch_id 0
		.amdhsa_user_sgpr_flat_scratch_init 0
		.amdhsa_user_sgpr_private_segment_size 0
		.amdhsa_uses_dynamic_stack 0
		.amdhsa_system_sgpr_private_segment_wavefront_offset 0
		.amdhsa_system_sgpr_workgroup_id_x 1
		.amdhsa_system_sgpr_workgroup_id_y 0
		.amdhsa_system_sgpr_workgroup_id_z 0
		.amdhsa_system_sgpr_workgroup_info 0
		.amdhsa_system_vgpr_workitem_id 0
		.amdhsa_next_free_vgpr 1
		.amdhsa_next_free_sgpr 0
		.amdhsa_reserve_vcc 0
		.amdhsa_reserve_flat_scratch 0
		.amdhsa_float_round_mode_32 0
		.amdhsa_float_round_mode_16_64 0
		.amdhsa_float_denorm_mode_32 3
		.amdhsa_float_denorm_mode_16_64 3
		.amdhsa_dx10_clamp 1
		.amdhsa_ieee_mode 1
		.amdhsa_fp16_overflow 0
		.amdhsa_exception_fp_ieee_invalid_op 0
		.amdhsa_exception_fp_denorm_src 0
		.amdhsa_exception_fp_ieee_div_zero 0
		.amdhsa_exception_fp_ieee_overflow 0
		.amdhsa_exception_fp_ieee_underflow 0
		.amdhsa_exception_fp_ieee_inexact 0
		.amdhsa_exception_int_div_zero 0
	.end_amdhsa_kernel
	.section	.text._ZL38rocblas_dot_kernel_gfx942_float_doubleIiLi1024EfPKPKddEviT2_lT_lS4_lS5_lPT3_PT1_,"axG",@progbits,_ZL38rocblas_dot_kernel_gfx942_float_doubleIiLi1024EfPKPKddEviT2_lT_lS4_lS5_lPT3_PT1_,comdat
.Lfunc_end248:
	.size	_ZL38rocblas_dot_kernel_gfx942_float_doubleIiLi1024EfPKPKddEviT2_lT_lS4_lS5_lPT3_PT1_, .Lfunc_end248-_ZL38rocblas_dot_kernel_gfx942_float_doubleIiLi1024EfPKPKddEviT2_lT_lS4_lS5_lPT3_PT1_
                                        ; -- End function
	.set _ZL38rocblas_dot_kernel_gfx942_float_doubleIiLi1024EfPKPKddEviT2_lT_lS4_lS5_lPT3_PT1_.num_vgpr, 0
	.set _ZL38rocblas_dot_kernel_gfx942_float_doubleIiLi1024EfPKPKddEviT2_lT_lS4_lS5_lPT3_PT1_.num_agpr, 0
	.set _ZL38rocblas_dot_kernel_gfx942_float_doubleIiLi1024EfPKPKddEviT2_lT_lS4_lS5_lPT3_PT1_.numbered_sgpr, 0
	.set _ZL38rocblas_dot_kernel_gfx942_float_doubleIiLi1024EfPKPKddEviT2_lT_lS4_lS5_lPT3_PT1_.num_named_barrier, 0
	.set _ZL38rocblas_dot_kernel_gfx942_float_doubleIiLi1024EfPKPKddEviT2_lT_lS4_lS5_lPT3_PT1_.private_seg_size, 0
	.set _ZL38rocblas_dot_kernel_gfx942_float_doubleIiLi1024EfPKPKddEviT2_lT_lS4_lS5_lPT3_PT1_.uses_vcc, 0
	.set _ZL38rocblas_dot_kernel_gfx942_float_doubleIiLi1024EfPKPKddEviT2_lT_lS4_lS5_lPT3_PT1_.uses_flat_scratch, 0
	.set _ZL38rocblas_dot_kernel_gfx942_float_doubleIiLi1024EfPKPKddEviT2_lT_lS4_lS5_lPT3_PT1_.has_dyn_sized_stack, 0
	.set _ZL38rocblas_dot_kernel_gfx942_float_doubleIiLi1024EfPKPKddEviT2_lT_lS4_lS5_lPT3_PT1_.has_recursion, 0
	.set _ZL38rocblas_dot_kernel_gfx942_float_doubleIiLi1024EfPKPKddEviT2_lT_lS4_lS5_lPT3_PT1_.has_indirect_call, 0
	.section	.AMDGPU.csdata,"",@progbits
; Kernel info:
; codeLenInByte = 4
; TotalNumSgprs: 4
; NumVgprs: 0
; ScratchSize: 0
; MemoryBound: 0
; FloatMode: 240
; IeeeMode: 1
; LDSByteSize: 0 bytes/workgroup (compile time only)
; SGPRBlocks: 0
; VGPRBlocks: 0
; NumSGPRsForWavesPerEU: 4
; NumVGPRsForWavesPerEU: 1
; Occupancy: 10
; WaveLimiterHint : 0
; COMPUTE_PGM_RSRC2:SCRATCH_EN: 0
; COMPUTE_PGM_RSRC2:USER_SGPR: 6
; COMPUTE_PGM_RSRC2:TRAP_HANDLER: 0
; COMPUTE_PGM_RSRC2:TGID_X_EN: 1
; COMPUTE_PGM_RSRC2:TGID_Y_EN: 0
; COMPUTE_PGM_RSRC2:TGID_Z_EN: 0
; COMPUTE_PGM_RSRC2:TIDIG_COMP_CNT: 0
	.section	.text._ZL23rocblas_dot_kernel_inc1ILb0ELi512ELi4ELb1EfPKPKddEviT4_llS4_lliPT5_PT3_,"axG",@progbits,_ZL23rocblas_dot_kernel_inc1ILb0ELi512ELi4ELb1EfPKPKddEviT4_llS4_lliPT5_PT3_,comdat
	.globl	_ZL23rocblas_dot_kernel_inc1ILb0ELi512ELi4ELb1EfPKPKddEviT4_llS4_lliPT5_PT3_ ; -- Begin function _ZL23rocblas_dot_kernel_inc1ILb0ELi512ELi4ELb1EfPKPKddEviT4_llS4_lliPT5_PT3_
	.p2align	8
	.type	_ZL23rocblas_dot_kernel_inc1ILb0ELi512ELi4ELb1EfPKPKddEviT4_llS4_lliPT5_PT3_,@function
_ZL23rocblas_dot_kernel_inc1ILb0ELi512ELi4ELb1EfPKPKddEviT4_llS4_lliPT5_PT3_: ; @_ZL23rocblas_dot_kernel_inc1ILb0ELi512ELi4ELb1EfPKPKddEviT4_llS4_lliPT5_PT3_
; %bb.0:
	s_mov_b32 s2, s7
	s_load_dword s18, s[4:5], 0x50
	s_load_dword s7, s[4:5], 0x0
	s_load_dwordx4 s[8:11], s[4:5], 0x40
	v_lshl_or_b32 v5, s6, 9, v0
	v_mov_b32_e32 v1, 0
	s_mov_b32 s3, 0
	v_mov_b32_e32 v2, 0
	s_waitcnt lgkmcnt(0)
	v_cmp_gt_i32_e32 vcc, s7, v5
	s_and_saveexec_b64 s[12:13], vcc
	s_cbranch_execz .LBB249_4
; %bb.1:
	s_load_dwordx4 s[20:23], s[4:5], 0x8
	s_load_dwordx4 s[24:27], s[4:5], 0x20
	s_lshl_b64 s[0:1], s[2:3], 3
	v_ashrrev_i32_e32 v6, 31, v5
	v_lshlrev_b64 v[3:4], 3, v[5:6]
	s_waitcnt lgkmcnt(0)
	s_add_u32 s4, s20, s0
	s_addc_u32 s5, s21, s1
	s_load_dwordx2 s[4:5], s[4:5], 0x0
	s_lshl_b64 s[14:15], s[22:23], 3
	v_mov_b32_e32 v1, 0
	v_mov_b32_e32 v2, 0
	s_waitcnt lgkmcnt(0)
	s_add_u32 s19, s4, s14
	s_addc_u32 s14, s5, s15
	s_add_u32 s0, s24, s0
	s_addc_u32 s1, s25, s1
	s_load_dwordx2 s[0:1], s[0:1], 0x0
	v_mov_b32_e32 v6, s14
	s_lshl_b64 s[14:15], s[26:27], 3
	s_mov_b64 s[4:5], 0
	s_waitcnt lgkmcnt(0)
	s_add_u32 s20, s0, s14
	s_addc_u32 s0, s1, s15
	s_lshl_b32 s14, s18, 9
	s_ashr_i32 s15, s14, 31
	s_lshl_b64 s[16:17], s[14:15], 3
	v_add_u32_e32 v5, s14, v5
	v_mov_b32_e32 v7, s0
	v_mov_b32_e32 v8, s17
	s_mov_b32 s15, s3
.LBB249_2:                              ; =>This Inner Loop Header: Depth=1
	v_add_co_u32_e32 v9, vcc, s20, v3
	v_addc_co_u32_e32 v10, vcc, v7, v4, vcc
	v_add_co_u32_e32 v11, vcc, s19, v3
	v_addc_co_u32_e32 v12, vcc, v6, v4, vcc
	flat_load_dwordx2 v[13:14], v[9:10]
	flat_load_dwordx2 v[15:16], v[11:12]
	s_add_i32 s17, s15, 1
	v_add_co_u32_e64 v3, s[0:1], s16, v3
	v_addc_co_u32_e64 v4, s[0:1], v4, v8, s[0:1]
	s_cmp_gt_u32 s15, 2
	v_cmp_le_i32_e32 vcc, s7, v5
	s_cselect_b64 s[0:1], -1, 0
	s_or_b64 s[0:1], s[0:1], vcc
	s_and_b64 s[0:1], exec, s[0:1]
	v_add_u32_e32 v5, s14, v5
	s_or_b64 s[4:5], s[0:1], s[4:5]
	s_mov_b32 s15, s17
	s_waitcnt vmcnt(0) lgkmcnt(0)
	v_fma_f64 v[1:2], v[13:14], v[15:16], v[1:2]
	s_andn2_b64 exec, exec, s[4:5]
	s_cbranch_execnz .LBB249_2
; %bb.3:
	s_or_b64 exec, exec, s[4:5]
.LBB249_4:
	s_or_b64 exec, exec, s[12:13]
	v_and_b32_e32 v6, 63, v0
	v_cmp_gt_u32_e32 vcc, 64, v0
	v_lshlrev_b32_e32 v5, 3, v6
	s_and_saveexec_b64 s[0:1], vcc
; %bb.5:
	v_mov_b32_e32 v3, 0
	v_mov_b32_e32 v4, v3
	ds_write_b64 v5, v[3:4]
; %bb.6:
	s_or_b64 exec, exec, s[0:1]
	v_mbcnt_lo_u32_b32 v3, -1, 0
	v_mbcnt_hi_u32_b32 v9, -1, v3
	v_mov_b32_e32 v3, 0x80
	v_lshl_or_b32 v4, v9, 2, v3
	ds_bpermute_b32 v3, v4, v1
	ds_bpermute_b32 v4, v4, v2
	v_and_b32_e32 v10, 63, v9
	v_cmp_gt_u32_e64 s[0:1], 48, v10
	s_waitcnt lgkmcnt(0)
	s_barrier
	v_add_f64 v[1:2], v[1:2], v[3:4]
	v_cndmask_b32_e64 v3, 0, 16, s[0:1]
	v_add_lshl_u32 v4, v3, v9, 2
	v_cmp_gt_u32_e64 s[0:1], 56, v10
	ds_bpermute_b32 v3, v4, v1
	ds_bpermute_b32 v4, v4, v2
	s_waitcnt lgkmcnt(0)
	v_add_f64 v[1:2], v[1:2], v[3:4]
	v_cndmask_b32_e64 v3, 0, 8, s[0:1]
	v_add_lshl_u32 v4, v3, v9, 2
	v_cmp_gt_u32_e64 s[0:1], 60, v10
	ds_bpermute_b32 v3, v4, v1
	ds_bpermute_b32 v4, v4, v2
	s_waitcnt lgkmcnt(0)
	;; [unrolled: 7-line block ×3, first 2 shown]
	v_add_f64 v[1:2], v[1:2], v[3:4]
	v_cndmask_b32_e64 v3, 0, 2, s[0:1]
	v_add_lshl_u32 v8, v3, v9, 2
	v_cmp_ne_u32_e64 s[0:1], 63, v10
	ds_bpermute_b32 v3, v8, v1
	ds_bpermute_b32 v4, v8, v2
	s_waitcnt lgkmcnt(0)
	v_add_f64 v[1:2], v[1:2], v[3:4]
	v_addc_co_u32_e64 v3, s[0:1], 0, v9, s[0:1]
	v_lshlrev_b32_e32 v9, 2, v3
	v_cmp_eq_u32_e64 s[0:1], 0, v6
	ds_bpermute_b32 v3, v9, v1
	ds_bpermute_b32 v4, v9, v2
	s_and_saveexec_b64 s[4:5], s[0:1]
	s_cbranch_execz .LBB249_8
; %bb.7:
	s_waitcnt lgkmcnt(0)
	v_add_f64 v[1:2], v[1:2], v[3:4]
	v_lshrrev_b32_e32 v3, 3, v0
	v_and_b32_e32 v3, 56, v3
	ds_write_b64 v3, v[1:2]
.LBB249_8:
	s_or_b64 exec, exec, s[4:5]
	v_mov_b32_e32 v1, 0
	v_mov_b32_e32 v2, 0
	v_cmp_gt_u32_e64 s[0:1], 8, v0
	s_waitcnt lgkmcnt(0)
	s_barrier
	s_and_saveexec_b64 s[4:5], s[0:1]
	s_cbranch_execnz .LBB249_12
; %bb.9:
	s_or_b64 exec, exec, s[4:5]
	s_and_saveexec_b64 s[0:1], vcc
	s_cbranch_execnz .LBB249_13
.LBB249_10:
	s_or_b64 exec, exec, s[0:1]
	v_cmp_eq_u32_e32 vcc, 0, v0
	s_and_saveexec_b64 s[0:1], vcc
	s_cbranch_execnz .LBB249_14
.LBB249_11:
	s_endpgm
.LBB249_12:
	ds_read_b64 v[1:2], v5
	s_or_b64 exec, exec, s[4:5]
	s_and_saveexec_b64 s[0:1], vcc
	s_cbranch_execz .LBB249_10
.LBB249_13:
	s_waitcnt lgkmcnt(0)
	ds_bpermute_b32 v3, v7, v1
	ds_bpermute_b32 v4, v7, v2
	s_waitcnt lgkmcnt(0)
	v_add_f64 v[1:2], v[1:2], v[3:4]
	ds_bpermute_b32 v3, v8, v1
	ds_bpermute_b32 v4, v8, v2
	s_waitcnt lgkmcnt(0)
	v_add_f64 v[1:2], v[1:2], v[3:4]
	;; [unrolled: 4-line block ×3, first 2 shown]
	s_or_b64 exec, exec, s[0:1]
	v_cmp_eq_u32_e32 vcc, 0, v0
	s_and_saveexec_b64 s[0:1], vcc
	s_cbranch_execz .LBB249_11
.LBB249_14:
	s_cmp_lg_u32 s18, 1
	s_mov_b64 s[0:1], -1
	s_cbranch_scc0 .LBB249_16
; %bb.15:
	s_mul_hi_u32 s1, s18, s2
	s_mul_i32 s0, s18, s2
	s_lshl_b64 s[0:1], s[0:1], 3
	s_mov_b32 s7, 0
	s_add_u32 s4, s8, s0
	s_addc_u32 s5, s9, s1
	s_lshl_b64 s[0:1], s[6:7], 3
	s_add_u32 s0, s4, s0
	s_addc_u32 s1, s5, s1
	v_mov_b32_e32 v0, 0
	s_waitcnt lgkmcnt(0)
	global_store_dwordx2 v0, v[1:2], s[0:1]
	s_mov_b64 s[0:1], 0
.LBB249_16:
	s_andn2_b64 vcc, exec, s[0:1]
	s_cbranch_vccnz .LBB249_11
; %bb.17:
	s_waitcnt lgkmcnt(0)
	v_cvt_f32_f64_e32 v0, v[1:2]
	s_lshl_b64 s[0:1], s[2:3], 2
	s_add_u32 s0, s10, s0
	s_addc_u32 s1, s11, s1
	v_mov_b32_e32 v1, 0
	global_store_dword v1, v0, s[0:1]
	s_endpgm
	.section	.rodata,"a",@progbits
	.p2align	6, 0x0
	.amdhsa_kernel _ZL23rocblas_dot_kernel_inc1ILb0ELi512ELi4ELb1EfPKPKddEviT4_llS4_lliPT5_PT3_
		.amdhsa_group_segment_fixed_size 512
		.amdhsa_private_segment_fixed_size 0
		.amdhsa_kernarg_size 336
		.amdhsa_user_sgpr_count 6
		.amdhsa_user_sgpr_private_segment_buffer 1
		.amdhsa_user_sgpr_dispatch_ptr 0
		.amdhsa_user_sgpr_queue_ptr 0
		.amdhsa_user_sgpr_kernarg_segment_ptr 1
		.amdhsa_user_sgpr_dispatch_id 0
		.amdhsa_user_sgpr_flat_scratch_init 0
		.amdhsa_user_sgpr_private_segment_size 0
		.amdhsa_uses_dynamic_stack 0
		.amdhsa_system_sgpr_private_segment_wavefront_offset 0
		.amdhsa_system_sgpr_workgroup_id_x 1
		.amdhsa_system_sgpr_workgroup_id_y 0
		.amdhsa_system_sgpr_workgroup_id_z 1
		.amdhsa_system_sgpr_workgroup_info 0
		.amdhsa_system_vgpr_workitem_id 0
		.amdhsa_next_free_vgpr 17
		.amdhsa_next_free_sgpr 28
		.amdhsa_reserve_vcc 1
		.amdhsa_reserve_flat_scratch 0
		.amdhsa_float_round_mode_32 0
		.amdhsa_float_round_mode_16_64 0
		.amdhsa_float_denorm_mode_32 3
		.amdhsa_float_denorm_mode_16_64 3
		.amdhsa_dx10_clamp 1
		.amdhsa_ieee_mode 1
		.amdhsa_fp16_overflow 0
		.amdhsa_exception_fp_ieee_invalid_op 0
		.amdhsa_exception_fp_denorm_src 0
		.amdhsa_exception_fp_ieee_div_zero 0
		.amdhsa_exception_fp_ieee_overflow 0
		.amdhsa_exception_fp_ieee_underflow 0
		.amdhsa_exception_fp_ieee_inexact 0
		.amdhsa_exception_int_div_zero 0
	.end_amdhsa_kernel
	.section	.text._ZL23rocblas_dot_kernel_inc1ILb0ELi512ELi4ELb1EfPKPKddEviT4_llS4_lliPT5_PT3_,"axG",@progbits,_ZL23rocblas_dot_kernel_inc1ILb0ELi512ELi4ELb1EfPKPKddEviT4_llS4_lliPT5_PT3_,comdat
.Lfunc_end249:
	.size	_ZL23rocblas_dot_kernel_inc1ILb0ELi512ELi4ELb1EfPKPKddEviT4_llS4_lliPT5_PT3_, .Lfunc_end249-_ZL23rocblas_dot_kernel_inc1ILb0ELi512ELi4ELb1EfPKPKddEviT4_llS4_lliPT5_PT3_
                                        ; -- End function
	.set _ZL23rocblas_dot_kernel_inc1ILb0ELi512ELi4ELb1EfPKPKddEviT4_llS4_lliPT5_PT3_.num_vgpr, 17
	.set _ZL23rocblas_dot_kernel_inc1ILb0ELi512ELi4ELb1EfPKPKddEviT4_llS4_lliPT5_PT3_.num_agpr, 0
	.set _ZL23rocblas_dot_kernel_inc1ILb0ELi512ELi4ELb1EfPKPKddEviT4_llS4_lliPT5_PT3_.numbered_sgpr, 28
	.set _ZL23rocblas_dot_kernel_inc1ILb0ELi512ELi4ELb1EfPKPKddEviT4_llS4_lliPT5_PT3_.num_named_barrier, 0
	.set _ZL23rocblas_dot_kernel_inc1ILb0ELi512ELi4ELb1EfPKPKddEviT4_llS4_lliPT5_PT3_.private_seg_size, 0
	.set _ZL23rocblas_dot_kernel_inc1ILb0ELi512ELi4ELb1EfPKPKddEviT4_llS4_lliPT5_PT3_.uses_vcc, 1
	.set _ZL23rocblas_dot_kernel_inc1ILb0ELi512ELi4ELb1EfPKPKddEviT4_llS4_lliPT5_PT3_.uses_flat_scratch, 0
	.set _ZL23rocblas_dot_kernel_inc1ILb0ELi512ELi4ELb1EfPKPKddEviT4_llS4_lliPT5_PT3_.has_dyn_sized_stack, 0
	.set _ZL23rocblas_dot_kernel_inc1ILb0ELi512ELi4ELb1EfPKPKddEviT4_llS4_lliPT5_PT3_.has_recursion, 0
	.set _ZL23rocblas_dot_kernel_inc1ILb0ELi512ELi4ELb1EfPKPKddEviT4_llS4_lliPT5_PT3_.has_indirect_call, 0
	.section	.AMDGPU.csdata,"",@progbits
; Kernel info:
; codeLenInByte = 1016
; TotalNumSgprs: 32
; NumVgprs: 17
; ScratchSize: 0
; MemoryBound: 0
; FloatMode: 240
; IeeeMode: 1
; LDSByteSize: 512 bytes/workgroup (compile time only)
; SGPRBlocks: 3
; VGPRBlocks: 4
; NumSGPRsForWavesPerEU: 32
; NumVGPRsForWavesPerEU: 17
; Occupancy: 10
; WaveLimiterHint : 1
; COMPUTE_PGM_RSRC2:SCRATCH_EN: 0
; COMPUTE_PGM_RSRC2:USER_SGPR: 6
; COMPUTE_PGM_RSRC2:TRAP_HANDLER: 0
; COMPUTE_PGM_RSRC2:TGID_X_EN: 1
; COMPUTE_PGM_RSRC2:TGID_Y_EN: 0
; COMPUTE_PGM_RSRC2:TGID_Z_EN: 1
; COMPUTE_PGM_RSRC2:TIDIG_COMP_CNT: 0
	.section	.text._ZL18rocblas_dot_kernelIiLb0ELi512ELi4ELb1EfPKPKddEviT5_lT_lS4_lS5_liPT6_PT4_,"axG",@progbits,_ZL18rocblas_dot_kernelIiLb0ELi512ELi4ELb1EfPKPKddEviT5_lT_lS4_lS5_liPT6_PT4_,comdat
	.globl	_ZL18rocblas_dot_kernelIiLb0ELi512ELi4ELb1EfPKPKddEviT5_lT_lS4_lS5_liPT6_PT4_ ; -- Begin function _ZL18rocblas_dot_kernelIiLb0ELi512ELi4ELb1EfPKPKddEviT5_lT_lS4_lS5_liPT6_PT4_
	.p2align	8
	.type	_ZL18rocblas_dot_kernelIiLb0ELi512ELi4ELb1EfPKPKddEviT5_lT_lS4_lS5_liPT6_PT4_,@function
_ZL18rocblas_dot_kernelIiLb0ELi512ELi4ELb1EfPKPKddEviT5_lT_lS4_lS5_liPT6_PT4_: ; @_ZL18rocblas_dot_kernelIiLb0ELi512ELi4ELb1EfPKPKddEviT5_lT_lS4_lS5_liPT6_PT4_
; %bb.0:
	s_mov_b32 s2, s7
	s_load_dword s18, s[4:5], 0x60
	s_load_dword s7, s[4:5], 0x0
	s_load_dwordx4 s[8:11], s[4:5], 0x50
	v_lshl_or_b32 v5, s6, 9, v0
	v_mov_b32_e32 v1, 0
	s_mov_b32 s3, 0
	v_mov_b32_e32 v2, 0
	s_waitcnt lgkmcnt(0)
	v_cmp_gt_i32_e32 vcc, s7, v5
	s_and_saveexec_b64 s[12:13], vcc
	s_cbranch_execz .LBB250_4
; %bb.1:
	s_load_dwordx4 s[20:23], s[4:5], 0x8
	s_load_dword s16, s[4:5], 0x18
	s_load_dwordx4 s[24:27], s[4:5], 0x28
	s_load_dword s17, s[4:5], 0x38
	s_lshl_b64 s[0:1], s[2:3], 3
	s_waitcnt lgkmcnt(0)
	s_add_u32 s4, s20, s0
	s_addc_u32 s5, s21, s1
	s_load_dwordx2 s[4:5], s[4:5], 0x0
	v_mad_i64_i32 v[1:2], s[14:15], s16, v5, 0
	s_add_u32 s0, s24, s0
	s_addc_u32 s1, s25, s1
	s_lshl_b32 s19, s18, 9
	s_lshl_b64 s[14:15], s[22:23], 3
	v_lshlrev_b64 v[1:2], 3, v[1:2]
	s_waitcnt lgkmcnt(0)
	s_add_u32 s4, s4, s14
	s_addc_u32 s5, s5, s15
	s_load_dwordx2 s[0:1], s[0:1], 0x0
	v_mov_b32_e32 v4, s5
	v_add_co_u32_e32 v3, vcc, s4, v1
	v_addc_co_u32_e32 v4, vcc, v4, v2, vcc
	v_mad_i64_i32 v[1:2], s[4:5], s17, v5, 0
	s_mul_hi_i32 s5, s16, s19
	s_mul_i32 s4, s16, s19
	s_lshl_b64 s[4:5], s[4:5], 3
	s_lshl_b64 s[14:15], s[26:27], 3
	v_lshlrev_b64 v[1:2], 3, v[1:2]
	s_waitcnt lgkmcnt(0)
	s_add_u32 s0, s0, s14
	s_addc_u32 s1, s1, s15
	v_add_u32_e32 v7, s19, v5
	v_mov_b32_e32 v6, s1
	v_add_co_u32_e32 v5, vcc, s0, v1
	s_mul_hi_i32 s1, s17, s19
	s_mul_i32 s0, s17, s19
	v_addc_co_u32_e32 v6, vcc, v6, v2, vcc
	s_lshl_b64 s[14:15], s[0:1], 3
	v_mov_b32_e32 v1, 0
	v_mov_b32_e32 v2, 0
	s_mov_b64 s[16:17], 0
	v_mov_b32_e32 v8, s5
	v_mov_b32_e32 v9, s15
	s_mov_b32 s5, s3
.LBB250_2:                              ; =>This Inner Loop Header: Depth=1
	flat_load_dwordx2 v[10:11], v[5:6]
	flat_load_dwordx2 v[12:13], v[3:4]
	v_add_co_u32_e64 v3, s[0:1], s4, v3
	v_addc_co_u32_e64 v4, s[0:1], v4, v8, s[0:1]
	s_add_i32 s15, s5, 1
	v_add_co_u32_e64 v5, s[0:1], s14, v5
	v_addc_co_u32_e64 v6, s[0:1], v6, v9, s[0:1]
	s_cmp_gt_u32 s5, 2
	v_cmp_le_i32_e32 vcc, s7, v7
	s_cselect_b64 s[0:1], -1, 0
	s_or_b64 s[0:1], s[0:1], vcc
	s_and_b64 s[0:1], exec, s[0:1]
	v_add_u32_e32 v7, s19, v7
	s_or_b64 s[16:17], s[0:1], s[16:17]
	s_mov_b32 s5, s15
	s_waitcnt vmcnt(0) lgkmcnt(0)
	v_fma_f64 v[1:2], v[10:11], v[12:13], v[1:2]
	s_andn2_b64 exec, exec, s[16:17]
	s_cbranch_execnz .LBB250_2
; %bb.3:
	s_or_b64 exec, exec, s[16:17]
.LBB250_4:
	s_or_b64 exec, exec, s[12:13]
	v_and_b32_e32 v6, 63, v0
	v_cmp_gt_u32_e32 vcc, 64, v0
	v_lshlrev_b32_e32 v5, 3, v6
	s_and_saveexec_b64 s[0:1], vcc
; %bb.5:
	v_mov_b32_e32 v3, 0
	v_mov_b32_e32 v4, v3
	ds_write_b64 v5, v[3:4]
; %bb.6:
	s_or_b64 exec, exec, s[0:1]
	v_mbcnt_lo_u32_b32 v3, -1, 0
	v_mbcnt_hi_u32_b32 v9, -1, v3
	v_mov_b32_e32 v3, 0x80
	v_lshl_or_b32 v4, v9, 2, v3
	ds_bpermute_b32 v3, v4, v1
	ds_bpermute_b32 v4, v4, v2
	v_and_b32_e32 v10, 63, v9
	v_cmp_gt_u32_e64 s[0:1], 48, v10
	s_waitcnt lgkmcnt(0)
	s_barrier
	v_add_f64 v[1:2], v[1:2], v[3:4]
	v_cndmask_b32_e64 v3, 0, 16, s[0:1]
	v_add_lshl_u32 v4, v3, v9, 2
	v_cmp_gt_u32_e64 s[0:1], 56, v10
	ds_bpermute_b32 v3, v4, v1
	ds_bpermute_b32 v4, v4, v2
	s_waitcnt lgkmcnt(0)
	v_add_f64 v[1:2], v[1:2], v[3:4]
	v_cndmask_b32_e64 v3, 0, 8, s[0:1]
	v_add_lshl_u32 v4, v3, v9, 2
	v_cmp_gt_u32_e64 s[0:1], 60, v10
	ds_bpermute_b32 v3, v4, v1
	ds_bpermute_b32 v4, v4, v2
	s_waitcnt lgkmcnt(0)
	;; [unrolled: 7-line block ×3, first 2 shown]
	v_add_f64 v[1:2], v[1:2], v[3:4]
	v_cndmask_b32_e64 v3, 0, 2, s[0:1]
	v_add_lshl_u32 v8, v3, v9, 2
	v_cmp_ne_u32_e64 s[0:1], 63, v10
	ds_bpermute_b32 v3, v8, v1
	ds_bpermute_b32 v4, v8, v2
	s_waitcnt lgkmcnt(0)
	v_add_f64 v[1:2], v[1:2], v[3:4]
	v_addc_co_u32_e64 v3, s[0:1], 0, v9, s[0:1]
	v_lshlrev_b32_e32 v9, 2, v3
	v_cmp_eq_u32_e64 s[0:1], 0, v6
	ds_bpermute_b32 v3, v9, v1
	ds_bpermute_b32 v4, v9, v2
	s_and_saveexec_b64 s[4:5], s[0:1]
	s_cbranch_execz .LBB250_8
; %bb.7:
	s_waitcnt lgkmcnt(0)
	v_add_f64 v[1:2], v[1:2], v[3:4]
	v_lshrrev_b32_e32 v3, 3, v0
	v_and_b32_e32 v3, 56, v3
	ds_write_b64 v3, v[1:2]
.LBB250_8:
	s_or_b64 exec, exec, s[4:5]
	v_mov_b32_e32 v1, 0
	v_mov_b32_e32 v2, 0
	v_cmp_gt_u32_e64 s[0:1], 8, v0
	s_waitcnt lgkmcnt(0)
	s_barrier
	s_and_saveexec_b64 s[4:5], s[0:1]
	s_cbranch_execnz .LBB250_12
; %bb.9:
	s_or_b64 exec, exec, s[4:5]
	s_and_saveexec_b64 s[0:1], vcc
	s_cbranch_execnz .LBB250_13
.LBB250_10:
	s_or_b64 exec, exec, s[0:1]
	v_cmp_eq_u32_e32 vcc, 0, v0
	s_and_saveexec_b64 s[0:1], vcc
	s_cbranch_execnz .LBB250_14
.LBB250_11:
	s_endpgm
.LBB250_12:
	ds_read_b64 v[1:2], v5
	s_or_b64 exec, exec, s[4:5]
	s_and_saveexec_b64 s[0:1], vcc
	s_cbranch_execz .LBB250_10
.LBB250_13:
	s_waitcnt lgkmcnt(0)
	ds_bpermute_b32 v3, v7, v1
	ds_bpermute_b32 v4, v7, v2
	s_waitcnt lgkmcnt(0)
	v_add_f64 v[1:2], v[1:2], v[3:4]
	ds_bpermute_b32 v3, v8, v1
	ds_bpermute_b32 v4, v8, v2
	s_waitcnt lgkmcnt(0)
	v_add_f64 v[1:2], v[1:2], v[3:4]
	;; [unrolled: 4-line block ×3, first 2 shown]
	s_or_b64 exec, exec, s[0:1]
	v_cmp_eq_u32_e32 vcc, 0, v0
	s_and_saveexec_b64 s[0:1], vcc
	s_cbranch_execz .LBB250_11
.LBB250_14:
	s_cmp_lg_u32 s18, 1
	s_mov_b64 s[0:1], -1
	s_cbranch_scc0 .LBB250_16
; %bb.15:
	s_mul_hi_u32 s1, s18, s2
	s_mul_i32 s0, s18, s2
	s_lshl_b64 s[0:1], s[0:1], 3
	s_mov_b32 s7, 0
	s_add_u32 s4, s8, s0
	s_addc_u32 s5, s9, s1
	s_lshl_b64 s[0:1], s[6:7], 3
	s_add_u32 s0, s4, s0
	s_addc_u32 s1, s5, s1
	v_mov_b32_e32 v0, 0
	s_waitcnt lgkmcnt(0)
	global_store_dwordx2 v0, v[1:2], s[0:1]
	s_mov_b64 s[0:1], 0
.LBB250_16:
	s_andn2_b64 vcc, exec, s[0:1]
	s_cbranch_vccnz .LBB250_11
; %bb.17:
	s_waitcnt lgkmcnt(0)
	v_cvt_f32_f64_e32 v0, v[1:2]
	s_lshl_b64 s[0:1], s[2:3], 2
	s_add_u32 s0, s10, s0
	s_addc_u32 s1, s11, s1
	v_mov_b32_e32 v1, 0
	global_store_dword v1, v0, s[0:1]
	s_endpgm
	.section	.rodata,"a",@progbits
	.p2align	6, 0x0
	.amdhsa_kernel _ZL18rocblas_dot_kernelIiLb0ELi512ELi4ELb1EfPKPKddEviT5_lT_lS4_lS5_liPT6_PT4_
		.amdhsa_group_segment_fixed_size 512
		.amdhsa_private_segment_fixed_size 0
		.amdhsa_kernarg_size 352
		.amdhsa_user_sgpr_count 6
		.amdhsa_user_sgpr_private_segment_buffer 1
		.amdhsa_user_sgpr_dispatch_ptr 0
		.amdhsa_user_sgpr_queue_ptr 0
		.amdhsa_user_sgpr_kernarg_segment_ptr 1
		.amdhsa_user_sgpr_dispatch_id 0
		.amdhsa_user_sgpr_flat_scratch_init 0
		.amdhsa_user_sgpr_private_segment_size 0
		.amdhsa_uses_dynamic_stack 0
		.amdhsa_system_sgpr_private_segment_wavefront_offset 0
		.amdhsa_system_sgpr_workgroup_id_x 1
		.amdhsa_system_sgpr_workgroup_id_y 0
		.amdhsa_system_sgpr_workgroup_id_z 1
		.amdhsa_system_sgpr_workgroup_info 0
		.amdhsa_system_vgpr_workitem_id 0
		.amdhsa_next_free_vgpr 14
		.amdhsa_next_free_sgpr 28
		.amdhsa_reserve_vcc 1
		.amdhsa_reserve_flat_scratch 0
		.amdhsa_float_round_mode_32 0
		.amdhsa_float_round_mode_16_64 0
		.amdhsa_float_denorm_mode_32 3
		.amdhsa_float_denorm_mode_16_64 3
		.amdhsa_dx10_clamp 1
		.amdhsa_ieee_mode 1
		.amdhsa_fp16_overflow 0
		.amdhsa_exception_fp_ieee_invalid_op 0
		.amdhsa_exception_fp_denorm_src 0
		.amdhsa_exception_fp_ieee_div_zero 0
		.amdhsa_exception_fp_ieee_overflow 0
		.amdhsa_exception_fp_ieee_underflow 0
		.amdhsa_exception_fp_ieee_inexact 0
		.amdhsa_exception_int_div_zero 0
	.end_amdhsa_kernel
	.section	.text._ZL18rocblas_dot_kernelIiLb0ELi512ELi4ELb1EfPKPKddEviT5_lT_lS4_lS5_liPT6_PT4_,"axG",@progbits,_ZL18rocblas_dot_kernelIiLb0ELi512ELi4ELb1EfPKPKddEviT5_lT_lS4_lS5_liPT6_PT4_,comdat
.Lfunc_end250:
	.size	_ZL18rocblas_dot_kernelIiLb0ELi512ELi4ELb1EfPKPKddEviT5_lT_lS4_lS5_liPT6_PT4_, .Lfunc_end250-_ZL18rocblas_dot_kernelIiLb0ELi512ELi4ELb1EfPKPKddEviT5_lT_lS4_lS5_liPT6_PT4_
                                        ; -- End function
	.set _ZL18rocblas_dot_kernelIiLb0ELi512ELi4ELb1EfPKPKddEviT5_lT_lS4_lS5_liPT6_PT4_.num_vgpr, 14
	.set _ZL18rocblas_dot_kernelIiLb0ELi512ELi4ELb1EfPKPKddEviT5_lT_lS4_lS5_liPT6_PT4_.num_agpr, 0
	.set _ZL18rocblas_dot_kernelIiLb0ELi512ELi4ELb1EfPKPKddEviT5_lT_lS4_lS5_liPT6_PT4_.numbered_sgpr, 28
	.set _ZL18rocblas_dot_kernelIiLb0ELi512ELi4ELb1EfPKPKddEviT5_lT_lS4_lS5_liPT6_PT4_.num_named_barrier, 0
	.set _ZL18rocblas_dot_kernelIiLb0ELi512ELi4ELb1EfPKPKddEviT5_lT_lS4_lS5_liPT6_PT4_.private_seg_size, 0
	.set _ZL18rocblas_dot_kernelIiLb0ELi512ELi4ELb1EfPKPKddEviT5_lT_lS4_lS5_liPT6_PT4_.uses_vcc, 1
	.set _ZL18rocblas_dot_kernelIiLb0ELi512ELi4ELb1EfPKPKddEviT5_lT_lS4_lS5_liPT6_PT4_.uses_flat_scratch, 0
	.set _ZL18rocblas_dot_kernelIiLb0ELi512ELi4ELb1EfPKPKddEviT5_lT_lS4_lS5_liPT6_PT4_.has_dyn_sized_stack, 0
	.set _ZL18rocblas_dot_kernelIiLb0ELi512ELi4ELb1EfPKPKddEviT5_lT_lS4_lS5_liPT6_PT4_.has_recursion, 0
	.set _ZL18rocblas_dot_kernelIiLb0ELi512ELi4ELb1EfPKPKddEviT5_lT_lS4_lS5_liPT6_PT4_.has_indirect_call, 0
	.section	.AMDGPU.csdata,"",@progbits
; Kernel info:
; codeLenInByte = 1088
; TotalNumSgprs: 32
; NumVgprs: 14
; ScratchSize: 0
; MemoryBound: 0
; FloatMode: 240
; IeeeMode: 1
; LDSByteSize: 512 bytes/workgroup (compile time only)
; SGPRBlocks: 3
; VGPRBlocks: 3
; NumSGPRsForWavesPerEU: 32
; NumVGPRsForWavesPerEU: 14
; Occupancy: 10
; WaveLimiterHint : 0
; COMPUTE_PGM_RSRC2:SCRATCH_EN: 0
; COMPUTE_PGM_RSRC2:USER_SGPR: 6
; COMPUTE_PGM_RSRC2:TRAP_HANDLER: 0
; COMPUTE_PGM_RSRC2:TGID_X_EN: 1
; COMPUTE_PGM_RSRC2:TGID_Y_EN: 0
; COMPUTE_PGM_RSRC2:TGID_Z_EN: 1
; COMPUTE_PGM_RSRC2:TIDIG_COMP_CNT: 0
	.section	.text._ZL24rocblas_dot_kernel_magsqIiLb0ELi512ELi4ELb1EfPKPKddEviT5_lT_liPT6_PT4_,"axG",@progbits,_ZL24rocblas_dot_kernel_magsqIiLb0ELi512ELi4ELb1EfPKPKddEviT5_lT_liPT6_PT4_,comdat
	.globl	_ZL24rocblas_dot_kernel_magsqIiLb0ELi512ELi4ELb1EfPKPKddEviT5_lT_liPT6_PT4_ ; -- Begin function _ZL24rocblas_dot_kernel_magsqIiLb0ELi512ELi4ELb1EfPKPKddEviT5_lT_liPT6_PT4_
	.p2align	8
	.type	_ZL24rocblas_dot_kernel_magsqIiLb0ELi512ELi4ELb1EfPKPKddEviT5_lT_liPT6_PT4_,@function
_ZL24rocblas_dot_kernel_magsqIiLb0ELi512ELi4ELb1EfPKPKddEviT5_lT_liPT6_PT4_: ; @_ZL24rocblas_dot_kernel_magsqIiLb0ELi512ELi4ELb1EfPKPKddEviT5_lT_liPT6_PT4_
; %bb.0:
	s_mov_b32 s2, s7
	s_load_dword s7, s[4:5], 0x0
	s_load_dwordx4 s[8:11], s[4:5], 0x30
	s_load_dword s16, s[4:5], 0x40
	v_lshl_or_b32 v3, s6, 9, v0
	v_mov_b32_e32 v1, 0
	s_mov_b32 s3, 0
	v_mov_b32_e32 v2, 0
	s_waitcnt lgkmcnt(0)
	v_cmp_gt_i32_e32 vcc, s7, v3
	s_and_saveexec_b64 s[12:13], vcc
	s_cbranch_execz .LBB251_4
; %bb.1:
	s_load_dwordx4 s[20:23], s[4:5], 0x8
	s_load_dword s14, s[4:5], 0x18
	s_lshl_b64 s[0:1], s[2:3], 3
	s_waitcnt lgkmcnt(0)
	s_add_u32 s0, s20, s0
	s_addc_u32 s1, s21, s1
	s_load_dwordx2 s[0:1], s[0:1], 0x0
	v_mad_i64_i32 v[1:2], s[4:5], s14, v3, 0
	s_lshl_b32 s17, s16, 9
	s_lshl_b64 s[4:5], s[22:23], 3
	v_lshlrev_b64 v[1:2], 3, v[1:2]
	s_waitcnt lgkmcnt(0)
	s_add_u32 s0, s0, s4
	s_addc_u32 s1, s1, s5
	v_add_u32_e32 v5, s17, v3
	v_mov_b32_e32 v4, s1
	v_add_co_u32_e32 v3, vcc, s0, v1
	s_mul_hi_i32 s1, s14, s17
	s_mul_i32 s0, s14, s17
	v_addc_co_u32_e32 v4, vcc, v4, v2, vcc
	s_lshl_b64 s[4:5], s[0:1], 3
	v_mov_b32_e32 v1, 0
	v_mov_b32_e32 v2, 0
	s_mov_b64 s[14:15], 0
	v_mov_b32_e32 v6, s5
	s_mov_b32 s5, s3
.LBB251_2:                              ; =>This Inner Loop Header: Depth=1
	flat_load_dwordx2 v[7:8], v[3:4]
	s_add_i32 s18, s5, 1
	v_add_co_u32_e64 v3, s[0:1], s4, v3
	v_addc_co_u32_e64 v4, s[0:1], v4, v6, s[0:1]
	s_cmp_gt_u32 s5, 2
	v_cmp_le_i32_e32 vcc, s7, v5
	s_cselect_b64 s[0:1], -1, 0
	s_or_b64 s[0:1], s[0:1], vcc
	s_and_b64 s[0:1], exec, s[0:1]
	v_add_u32_e32 v5, s17, v5
	s_or_b64 s[14:15], s[0:1], s[14:15]
	s_mov_b32 s5, s18
	s_waitcnt vmcnt(0) lgkmcnt(0)
	v_fma_f64 v[1:2], v[7:8], v[7:8], v[1:2]
	s_andn2_b64 exec, exec, s[14:15]
	s_cbranch_execnz .LBB251_2
; %bb.3:
	s_or_b64 exec, exec, s[14:15]
.LBB251_4:
	s_or_b64 exec, exec, s[12:13]
	v_and_b32_e32 v6, 63, v0
	v_cmp_gt_u32_e32 vcc, 64, v0
	v_lshlrev_b32_e32 v5, 3, v6
	s_and_saveexec_b64 s[0:1], vcc
; %bb.5:
	v_mov_b32_e32 v3, 0
	v_mov_b32_e32 v4, v3
	ds_write_b64 v5, v[3:4]
; %bb.6:
	s_or_b64 exec, exec, s[0:1]
	v_mbcnt_lo_u32_b32 v3, -1, 0
	v_mbcnt_hi_u32_b32 v9, -1, v3
	v_mov_b32_e32 v3, 0x80
	v_lshl_or_b32 v4, v9, 2, v3
	ds_bpermute_b32 v3, v4, v1
	ds_bpermute_b32 v4, v4, v2
	v_and_b32_e32 v10, 63, v9
	v_cmp_gt_u32_e64 s[0:1], 48, v10
	s_waitcnt lgkmcnt(0)
	s_barrier
	v_add_f64 v[1:2], v[1:2], v[3:4]
	v_cndmask_b32_e64 v3, 0, 16, s[0:1]
	v_add_lshl_u32 v4, v3, v9, 2
	v_cmp_gt_u32_e64 s[0:1], 56, v10
	ds_bpermute_b32 v3, v4, v1
	ds_bpermute_b32 v4, v4, v2
	s_waitcnt lgkmcnt(0)
	v_add_f64 v[1:2], v[1:2], v[3:4]
	v_cndmask_b32_e64 v3, 0, 8, s[0:1]
	v_add_lshl_u32 v4, v3, v9, 2
	v_cmp_gt_u32_e64 s[0:1], 60, v10
	ds_bpermute_b32 v3, v4, v1
	ds_bpermute_b32 v4, v4, v2
	s_waitcnt lgkmcnt(0)
	;; [unrolled: 7-line block ×3, first 2 shown]
	v_add_f64 v[1:2], v[1:2], v[3:4]
	v_cndmask_b32_e64 v3, 0, 2, s[0:1]
	v_add_lshl_u32 v8, v3, v9, 2
	v_cmp_ne_u32_e64 s[0:1], 63, v10
	ds_bpermute_b32 v3, v8, v1
	ds_bpermute_b32 v4, v8, v2
	s_waitcnt lgkmcnt(0)
	v_add_f64 v[1:2], v[1:2], v[3:4]
	v_addc_co_u32_e64 v3, s[0:1], 0, v9, s[0:1]
	v_lshlrev_b32_e32 v9, 2, v3
	v_cmp_eq_u32_e64 s[0:1], 0, v6
	ds_bpermute_b32 v3, v9, v1
	ds_bpermute_b32 v4, v9, v2
	s_and_saveexec_b64 s[4:5], s[0:1]
	s_cbranch_execz .LBB251_8
; %bb.7:
	s_waitcnt lgkmcnt(0)
	v_add_f64 v[1:2], v[1:2], v[3:4]
	v_lshrrev_b32_e32 v3, 3, v0
	v_and_b32_e32 v3, 56, v3
	ds_write_b64 v3, v[1:2]
.LBB251_8:
	s_or_b64 exec, exec, s[4:5]
	v_mov_b32_e32 v1, 0
	v_mov_b32_e32 v2, 0
	v_cmp_gt_u32_e64 s[0:1], 8, v0
	s_waitcnt lgkmcnt(0)
	s_barrier
	s_and_saveexec_b64 s[4:5], s[0:1]
	s_cbranch_execnz .LBB251_12
; %bb.9:
	s_or_b64 exec, exec, s[4:5]
	s_and_saveexec_b64 s[0:1], vcc
	s_cbranch_execnz .LBB251_13
.LBB251_10:
	s_or_b64 exec, exec, s[0:1]
	v_cmp_eq_u32_e32 vcc, 0, v0
	s_and_saveexec_b64 s[0:1], vcc
	s_cbranch_execnz .LBB251_14
.LBB251_11:
	s_endpgm
.LBB251_12:
	ds_read_b64 v[1:2], v5
	s_or_b64 exec, exec, s[4:5]
	s_and_saveexec_b64 s[0:1], vcc
	s_cbranch_execz .LBB251_10
.LBB251_13:
	s_waitcnt lgkmcnt(0)
	ds_bpermute_b32 v3, v7, v1
	ds_bpermute_b32 v4, v7, v2
	s_waitcnt lgkmcnt(0)
	v_add_f64 v[1:2], v[1:2], v[3:4]
	ds_bpermute_b32 v3, v8, v1
	ds_bpermute_b32 v4, v8, v2
	s_waitcnt lgkmcnt(0)
	v_add_f64 v[1:2], v[1:2], v[3:4]
	;; [unrolled: 4-line block ×3, first 2 shown]
	s_or_b64 exec, exec, s[0:1]
	v_cmp_eq_u32_e32 vcc, 0, v0
	s_and_saveexec_b64 s[0:1], vcc
	s_cbranch_execz .LBB251_11
.LBB251_14:
	s_cmp_lg_u32 s16, 1
	s_mov_b64 s[0:1], -1
	s_cbranch_scc0 .LBB251_16
; %bb.15:
	s_mul_hi_u32 s1, s16, s2
	s_mul_i32 s0, s16, s2
	s_lshl_b64 s[0:1], s[0:1], 3
	s_mov_b32 s7, 0
	s_add_u32 s4, s8, s0
	s_addc_u32 s5, s9, s1
	s_lshl_b64 s[0:1], s[6:7], 3
	s_add_u32 s0, s4, s0
	s_addc_u32 s1, s5, s1
	v_mov_b32_e32 v0, 0
	s_waitcnt lgkmcnt(0)
	global_store_dwordx2 v0, v[1:2], s[0:1]
	s_mov_b64 s[0:1], 0
.LBB251_16:
	s_andn2_b64 vcc, exec, s[0:1]
	s_cbranch_vccnz .LBB251_11
; %bb.17:
	s_waitcnt lgkmcnt(0)
	v_cvt_f32_f64_e32 v0, v[1:2]
	s_lshl_b64 s[0:1], s[2:3], 2
	s_add_u32 s0, s10, s0
	s_addc_u32 s1, s11, s1
	v_mov_b32_e32 v1, 0
	global_store_dword v1, v0, s[0:1]
	s_endpgm
	.section	.rodata,"a",@progbits
	.p2align	6, 0x0
	.amdhsa_kernel _ZL24rocblas_dot_kernel_magsqIiLb0ELi512ELi4ELb1EfPKPKddEviT5_lT_liPT6_PT4_
		.amdhsa_group_segment_fixed_size 512
		.amdhsa_private_segment_fixed_size 0
		.amdhsa_kernarg_size 320
		.amdhsa_user_sgpr_count 6
		.amdhsa_user_sgpr_private_segment_buffer 1
		.amdhsa_user_sgpr_dispatch_ptr 0
		.amdhsa_user_sgpr_queue_ptr 0
		.amdhsa_user_sgpr_kernarg_segment_ptr 1
		.amdhsa_user_sgpr_dispatch_id 0
		.amdhsa_user_sgpr_flat_scratch_init 0
		.amdhsa_user_sgpr_private_segment_size 0
		.amdhsa_uses_dynamic_stack 0
		.amdhsa_system_sgpr_private_segment_wavefront_offset 0
		.amdhsa_system_sgpr_workgroup_id_x 1
		.amdhsa_system_sgpr_workgroup_id_y 0
		.amdhsa_system_sgpr_workgroup_id_z 1
		.amdhsa_system_sgpr_workgroup_info 0
		.amdhsa_system_vgpr_workitem_id 0
		.amdhsa_next_free_vgpr 11
		.amdhsa_next_free_sgpr 24
		.amdhsa_reserve_vcc 1
		.amdhsa_reserve_flat_scratch 0
		.amdhsa_float_round_mode_32 0
		.amdhsa_float_round_mode_16_64 0
		.amdhsa_float_denorm_mode_32 3
		.amdhsa_float_denorm_mode_16_64 3
		.amdhsa_dx10_clamp 1
		.amdhsa_ieee_mode 1
		.amdhsa_fp16_overflow 0
		.amdhsa_exception_fp_ieee_invalid_op 0
		.amdhsa_exception_fp_denorm_src 0
		.amdhsa_exception_fp_ieee_div_zero 0
		.amdhsa_exception_fp_ieee_overflow 0
		.amdhsa_exception_fp_ieee_underflow 0
		.amdhsa_exception_fp_ieee_inexact 0
		.amdhsa_exception_int_div_zero 0
	.end_amdhsa_kernel
	.section	.text._ZL24rocblas_dot_kernel_magsqIiLb0ELi512ELi4ELb1EfPKPKddEviT5_lT_liPT6_PT4_,"axG",@progbits,_ZL24rocblas_dot_kernel_magsqIiLb0ELi512ELi4ELb1EfPKPKddEviT5_lT_liPT6_PT4_,comdat
.Lfunc_end251:
	.size	_ZL24rocblas_dot_kernel_magsqIiLb0ELi512ELi4ELb1EfPKPKddEviT5_lT_liPT6_PT4_, .Lfunc_end251-_ZL24rocblas_dot_kernel_magsqIiLb0ELi512ELi4ELb1EfPKPKddEviT5_lT_liPT6_PT4_
                                        ; -- End function
	.set _ZL24rocblas_dot_kernel_magsqIiLb0ELi512ELi4ELb1EfPKPKddEviT5_lT_liPT6_PT4_.num_vgpr, 11
	.set _ZL24rocblas_dot_kernel_magsqIiLb0ELi512ELi4ELb1EfPKPKddEviT5_lT_liPT6_PT4_.num_agpr, 0
	.set _ZL24rocblas_dot_kernel_magsqIiLb0ELi512ELi4ELb1EfPKPKddEviT5_lT_liPT6_PT4_.numbered_sgpr, 24
	.set _ZL24rocblas_dot_kernel_magsqIiLb0ELi512ELi4ELb1EfPKPKddEviT5_lT_liPT6_PT4_.num_named_barrier, 0
	.set _ZL24rocblas_dot_kernel_magsqIiLb0ELi512ELi4ELb1EfPKPKddEviT5_lT_liPT6_PT4_.private_seg_size, 0
	.set _ZL24rocblas_dot_kernel_magsqIiLb0ELi512ELi4ELb1EfPKPKddEviT5_lT_liPT6_PT4_.uses_vcc, 1
	.set _ZL24rocblas_dot_kernel_magsqIiLb0ELi512ELi4ELb1EfPKPKddEviT5_lT_liPT6_PT4_.uses_flat_scratch, 0
	.set _ZL24rocblas_dot_kernel_magsqIiLb0ELi512ELi4ELb1EfPKPKddEviT5_lT_liPT6_PT4_.has_dyn_sized_stack, 0
	.set _ZL24rocblas_dot_kernel_magsqIiLb0ELi512ELi4ELb1EfPKPKddEviT5_lT_liPT6_PT4_.has_recursion, 0
	.set _ZL24rocblas_dot_kernel_magsqIiLb0ELi512ELi4ELb1EfPKPKddEviT5_lT_liPT6_PT4_.has_indirect_call, 0
	.section	.AMDGPU.csdata,"",@progbits
; Kernel info:
; codeLenInByte = 972
; TotalNumSgprs: 28
; NumVgprs: 11
; ScratchSize: 0
; MemoryBound: 0
; FloatMode: 240
; IeeeMode: 1
; LDSByteSize: 512 bytes/workgroup (compile time only)
; SGPRBlocks: 3
; VGPRBlocks: 2
; NumSGPRsForWavesPerEU: 28
; NumVGPRsForWavesPerEU: 11
; Occupancy: 10
; WaveLimiterHint : 0
; COMPUTE_PGM_RSRC2:SCRATCH_EN: 0
; COMPUTE_PGM_RSRC2:USER_SGPR: 6
; COMPUTE_PGM_RSRC2:TRAP_HANDLER: 0
; COMPUTE_PGM_RSRC2:TGID_X_EN: 1
; COMPUTE_PGM_RSRC2:TGID_Y_EN: 0
; COMPUTE_PGM_RSRC2:TGID_Z_EN: 1
; COMPUTE_PGM_RSRC2:TIDIG_COMP_CNT: 0
	.section	.text._ZL28rocblas_dot_batched_4_kernelIiLi32ELi4ELb1EddPKdEviT5_lT_lS2_lS3_liPT4_,"axG",@progbits,_ZL28rocblas_dot_batched_4_kernelIiLi32ELi4ELb1EddPKdEviT5_lT_lS2_lS3_liPT4_,comdat
	.globl	_ZL28rocblas_dot_batched_4_kernelIiLi32ELi4ELb1EddPKdEviT5_lT_lS2_lS3_liPT4_ ; -- Begin function _ZL28rocblas_dot_batched_4_kernelIiLi32ELi4ELb1EddPKdEviT5_lT_lS2_lS3_liPT4_
	.p2align	8
	.type	_ZL28rocblas_dot_batched_4_kernelIiLi32ELi4ELb1EddPKdEviT5_lT_lS2_lS3_liPT4_,@function
_ZL28rocblas_dot_batched_4_kernelIiLi32ELi4ELb1EddPKdEviT5_lT_lS2_lS3_liPT4_: ; @_ZL28rocblas_dot_batched_4_kernelIiLi32ELi4ELb1EddPKdEviT5_lT_lS2_lS3_liPT4_
; %bb.0:
	s_load_dword s0, s[4:5], 0x48
	v_lshl_add_u32 v1, s6, 2, v1
	s_waitcnt lgkmcnt(0)
	v_cmp_gt_u32_e32 vcc, s0, v1
	s_and_saveexec_b64 s[0:1], vcc
	s_cbranch_execz .LBB252_7
; %bb.1:
	s_load_dword s12, s[4:5], 0x0
	s_load_dwordx2 s[6:7], s[4:5], 0x50
	v_mov_b32_e32 v3, 0
	v_mov_b32_e32 v2, 0
	;; [unrolled: 1-line block ×3, first 2 shown]
	s_waitcnt lgkmcnt(0)
	v_cmp_gt_i32_e32 vcc, s12, v0
	s_and_saveexec_b64 s[8:9], vcc
	s_cbranch_execz .LBB252_5
; %bb.2:
	s_load_dwordx4 s[0:3], s[4:5], 0x20
	s_load_dwordx4 s[16:19], s[4:5], 0x8
	s_load_dword s10, s[4:5], 0x18
	s_load_dwordx2 s[14:15], s[4:5], 0x30
	s_waitcnt lgkmcnt(0)
	v_mad_u64_u32 v[3:4], s[20:21], s0, v1, 0
	s_load_dword s0, s[4:5], 0x38
	s_load_dwordx2 s[20:21], s[4:5], 0x40
	v_mad_i64_i32 v[5:6], s[4:5], s10, v0, 0
	s_ashr_i32 s11, s10, 31
	v_mad_u64_u32 v[7:8], s[4:5], s1, v1, v[4:5]
	v_lshlrev_b64 v[5:6], 3, v[5:6]
	s_waitcnt lgkmcnt(0)
	s_ashr_i32 s1, s0, 31
	v_mov_b32_e32 v4, v7
	v_lshlrev_b64 v[3:4], 3, v[3:4]
	s_lshl_b64 s[4:5], s[18:19], 3
	v_add_co_u32_e32 v9, vcc, v5, v3
	s_add_u32 s13, s16, s4
	v_addc_co_u32_e32 v6, vcc, v6, v4, vcc
	s_addc_u32 s16, s17, s5
	v_mad_u64_u32 v[3:4], s[4:5], s20, v1, 0
	v_mad_i64_i32 v[7:8], s[4:5], s0, v0, 0
	v_mad_u64_u32 v[4:5], s[4:5], s21, v1, v[4:5]
	v_mov_b32_e32 v10, s16
	v_add_co_u32_e32 v5, vcc, s13, v9
	v_lshlrev_b64 v[7:8], 3, v[7:8]
	v_lshlrev_b64 v[3:4], 3, v[3:4]
	v_addc_co_u32_e32 v6, vcc, v10, v6, vcc
	s_lshl_b64 s[4:5], s[10:11], 8
	s_lshl_b64 s[10:11], s[14:15], 3
	v_add_co_u32_e32 v3, vcc, v7, v3
	s_add_u32 s2, s2, s10
	v_addc_co_u32_e32 v4, vcc, v8, v4, vcc
	s_addc_u32 s3, s3, s11
	v_mov_b32_e32 v8, s3
	v_add_co_u32_e32 v7, vcc, s2, v3
	v_addc_co_u32_e32 v8, vcc, v8, v4, vcc
	v_mov_b32_e32 v3, 0
	s_lshl_b64 s[2:3], s[0:1], 8
	v_mov_b32_e32 v4, 0
	s_mov_b64 s[10:11], 0
	v_mov_b32_e32 v9, v0
.LBB252_3:                              ; =>This Inner Loop Header: Depth=1
	global_load_dwordx2 v[10:11], v[5:6], off
	global_load_dwordx2 v[12:13], v[7:8], off
	v_mov_b32_e32 v14, s5
	v_add_co_u32_e64 v5, s[0:1], s4, v5
	v_add_u32_e32 v9, 32, v9
	v_addc_co_u32_e64 v6, s[0:1], v6, v14, s[0:1]
	v_mov_b32_e32 v15, s3
	v_add_co_u32_e32 v7, vcc, s2, v7
	v_cmp_le_i32_e64 s[0:1], s12, v9
	s_or_b64 s[10:11], s[0:1], s[10:11]
	v_addc_co_u32_e32 v8, vcc, v8, v15, vcc
	s_waitcnt vmcnt(0)
	v_fma_f64 v[3:4], v[10:11], v[12:13], v[3:4]
	s_andn2_b64 exec, exec, s[10:11]
	s_cbranch_execnz .LBB252_3
; %bb.4:
	s_or_b64 exec, exec, s[10:11]
.LBB252_5:
	s_or_b64 exec, exec, s[8:9]
	v_mbcnt_lo_u32_b32 v5, -1, 0
	v_mbcnt_hi_u32_b32 v7, -1, v5
	v_and_b32_e32 v8, 63, v7
	v_cmp_gt_u32_e32 vcc, 48, v8
	v_cndmask_b32_e64 v5, 0, 16, vcc
	v_add_lshl_u32 v6, v5, v7, 2
	ds_bpermute_b32 v5, v6, v3
	ds_bpermute_b32 v6, v6, v4
	v_cmp_gt_u32_e32 vcc, 56, v8
	s_waitcnt lgkmcnt(0)
	s_barrier
	v_add_f64 v[3:4], v[3:4], v[5:6]
	v_cndmask_b32_e64 v5, 0, 8, vcc
	v_add_lshl_u32 v6, v5, v7, 2
	v_cmp_gt_u32_e32 vcc, 60, v8
	ds_bpermute_b32 v5, v6, v3
	ds_bpermute_b32 v6, v6, v4
	s_waitcnt lgkmcnt(0)
	v_add_f64 v[3:4], v[3:4], v[5:6]
	v_cndmask_b32_e64 v5, 0, 4, vcc
	v_add_lshl_u32 v6, v5, v7, 2
	v_cmp_gt_u32_e32 vcc, 62, v8
	ds_bpermute_b32 v5, v6, v3
	ds_bpermute_b32 v6, v6, v4
	s_waitcnt lgkmcnt(0)
	v_add_f64 v[3:4], v[3:4], v[5:6]
	v_cndmask_b32_e64 v5, 0, 2, vcc
	v_add_lshl_u32 v6, v5, v7, 2
	v_cmp_ne_u32_e32 vcc, 63, v8
	ds_bpermute_b32 v5, v6, v3
	ds_bpermute_b32 v6, v6, v4
	s_waitcnt lgkmcnt(0)
	v_add_f64 v[3:4], v[3:4], v[5:6]
	v_addc_co_u32_e32 v5, vcc, 0, v7, vcc
	v_lshlrev_b32_e32 v6, 2, v5
	v_cmp_eq_u32_e32 vcc, 0, v0
	ds_bpermute_b32 v5, v6, v3
	ds_bpermute_b32 v6, v6, v4
	s_and_b64 exec, exec, vcc
	s_cbranch_execz .LBB252_7
; %bb.6:
	s_waitcnt lgkmcnt(0)
	v_add_f64 v[3:4], v[3:4], v[5:6]
	v_lshlrev_b64 v[0:1], 3, v[1:2]
	v_mov_b32_e32 v2, s7
	v_add_co_u32_e32 v0, vcc, s6, v0
	v_addc_co_u32_e32 v1, vcc, v2, v1, vcc
	global_store_dwordx2 v[0:1], v[3:4], off
.LBB252_7:
	s_endpgm
	.section	.rodata,"a",@progbits
	.p2align	6, 0x0
	.amdhsa_kernel _ZL28rocblas_dot_batched_4_kernelIiLi32ELi4ELb1EddPKdEviT5_lT_lS2_lS3_liPT4_
		.amdhsa_group_segment_fixed_size 0
		.amdhsa_private_segment_fixed_size 0
		.amdhsa_kernarg_size 88
		.amdhsa_user_sgpr_count 6
		.amdhsa_user_sgpr_private_segment_buffer 1
		.amdhsa_user_sgpr_dispatch_ptr 0
		.amdhsa_user_sgpr_queue_ptr 0
		.amdhsa_user_sgpr_kernarg_segment_ptr 1
		.amdhsa_user_sgpr_dispatch_id 0
		.amdhsa_user_sgpr_flat_scratch_init 0
		.amdhsa_user_sgpr_private_segment_size 0
		.amdhsa_uses_dynamic_stack 0
		.amdhsa_system_sgpr_private_segment_wavefront_offset 0
		.amdhsa_system_sgpr_workgroup_id_x 1
		.amdhsa_system_sgpr_workgroup_id_y 0
		.amdhsa_system_sgpr_workgroup_id_z 0
		.amdhsa_system_sgpr_workgroup_info 0
		.amdhsa_system_vgpr_workitem_id 1
		.amdhsa_next_free_vgpr 16
		.amdhsa_next_free_sgpr 22
		.amdhsa_reserve_vcc 1
		.amdhsa_reserve_flat_scratch 0
		.amdhsa_float_round_mode_32 0
		.amdhsa_float_round_mode_16_64 0
		.amdhsa_float_denorm_mode_32 3
		.amdhsa_float_denorm_mode_16_64 3
		.amdhsa_dx10_clamp 1
		.amdhsa_ieee_mode 1
		.amdhsa_fp16_overflow 0
		.amdhsa_exception_fp_ieee_invalid_op 0
		.amdhsa_exception_fp_denorm_src 0
		.amdhsa_exception_fp_ieee_div_zero 0
		.amdhsa_exception_fp_ieee_overflow 0
		.amdhsa_exception_fp_ieee_underflow 0
		.amdhsa_exception_fp_ieee_inexact 0
		.amdhsa_exception_int_div_zero 0
	.end_amdhsa_kernel
	.section	.text._ZL28rocblas_dot_batched_4_kernelIiLi32ELi4ELb1EddPKdEviT5_lT_lS2_lS3_liPT4_,"axG",@progbits,_ZL28rocblas_dot_batched_4_kernelIiLi32ELi4ELb1EddPKdEviT5_lT_lS2_lS3_liPT4_,comdat
.Lfunc_end252:
	.size	_ZL28rocblas_dot_batched_4_kernelIiLi32ELi4ELb1EddPKdEviT5_lT_lS2_lS3_liPT4_, .Lfunc_end252-_ZL28rocblas_dot_batched_4_kernelIiLi32ELi4ELb1EddPKdEviT5_lT_lS2_lS3_liPT4_
                                        ; -- End function
	.set _ZL28rocblas_dot_batched_4_kernelIiLi32ELi4ELb1EddPKdEviT5_lT_lS2_lS3_liPT4_.num_vgpr, 16
	.set _ZL28rocblas_dot_batched_4_kernelIiLi32ELi4ELb1EddPKdEviT5_lT_lS2_lS3_liPT4_.num_agpr, 0
	.set _ZL28rocblas_dot_batched_4_kernelIiLi32ELi4ELb1EddPKdEviT5_lT_lS2_lS3_liPT4_.numbered_sgpr, 22
	.set _ZL28rocblas_dot_batched_4_kernelIiLi32ELi4ELb1EddPKdEviT5_lT_lS2_lS3_liPT4_.num_named_barrier, 0
	.set _ZL28rocblas_dot_batched_4_kernelIiLi32ELi4ELb1EddPKdEviT5_lT_lS2_lS3_liPT4_.private_seg_size, 0
	.set _ZL28rocblas_dot_batched_4_kernelIiLi32ELi4ELb1EddPKdEviT5_lT_lS2_lS3_liPT4_.uses_vcc, 1
	.set _ZL28rocblas_dot_batched_4_kernelIiLi32ELi4ELb1EddPKdEviT5_lT_lS2_lS3_liPT4_.uses_flat_scratch, 0
	.set _ZL28rocblas_dot_batched_4_kernelIiLi32ELi4ELb1EddPKdEviT5_lT_lS2_lS3_liPT4_.has_dyn_sized_stack, 0
	.set _ZL28rocblas_dot_batched_4_kernelIiLi32ELi4ELb1EddPKdEviT5_lT_lS2_lS3_liPT4_.has_recursion, 0
	.set _ZL28rocblas_dot_batched_4_kernelIiLi32ELi4ELb1EddPKdEviT5_lT_lS2_lS3_liPT4_.has_indirect_call, 0
	.section	.AMDGPU.csdata,"",@progbits
; Kernel info:
; codeLenInByte = 704
; TotalNumSgprs: 26
; NumVgprs: 16
; ScratchSize: 0
; MemoryBound: 0
; FloatMode: 240
; IeeeMode: 1
; LDSByteSize: 0 bytes/workgroup (compile time only)
; SGPRBlocks: 3
; VGPRBlocks: 3
; NumSGPRsForWavesPerEU: 26
; NumVGPRsForWavesPerEU: 16
; Occupancy: 10
; WaveLimiterHint : 0
; COMPUTE_PGM_RSRC2:SCRATCH_EN: 0
; COMPUTE_PGM_RSRC2:USER_SGPR: 6
; COMPUTE_PGM_RSRC2:TRAP_HANDLER: 0
; COMPUTE_PGM_RSRC2:TGID_X_EN: 1
; COMPUTE_PGM_RSRC2:TGID_Y_EN: 0
; COMPUTE_PGM_RSRC2:TGID_Z_EN: 0
; COMPUTE_PGM_RSRC2:TIDIG_COMP_CNT: 1
	.section	.text._ZL28rocblas_dot_batched_4_kernelIiLi64ELi4ELb1EddPKdEviT5_lT_lS2_lS3_liPT4_,"axG",@progbits,_ZL28rocblas_dot_batched_4_kernelIiLi64ELi4ELb1EddPKdEviT5_lT_lS2_lS3_liPT4_,comdat
	.globl	_ZL28rocblas_dot_batched_4_kernelIiLi64ELi4ELb1EddPKdEviT5_lT_lS2_lS3_liPT4_ ; -- Begin function _ZL28rocblas_dot_batched_4_kernelIiLi64ELi4ELb1EddPKdEviT5_lT_lS2_lS3_liPT4_
	.p2align	8
	.type	_ZL28rocblas_dot_batched_4_kernelIiLi64ELi4ELb1EddPKdEviT5_lT_lS2_lS3_liPT4_,@function
_ZL28rocblas_dot_batched_4_kernelIiLi64ELi4ELb1EddPKdEviT5_lT_lS2_lS3_liPT4_: ; @_ZL28rocblas_dot_batched_4_kernelIiLi64ELi4ELb1EddPKdEviT5_lT_lS2_lS3_liPT4_
; %bb.0:
	s_load_dword s0, s[4:5], 0x48
	v_lshl_add_u32 v1, s6, 2, v1
	s_waitcnt lgkmcnt(0)
	v_cmp_gt_u32_e32 vcc, s0, v1
	s_and_saveexec_b64 s[0:1], vcc
	s_cbranch_execz .LBB253_7
; %bb.1:
	s_load_dword s12, s[4:5], 0x0
	s_load_dwordx2 s[6:7], s[4:5], 0x50
	v_mov_b32_e32 v3, 0
	v_mov_b32_e32 v2, 0
	;; [unrolled: 1-line block ×3, first 2 shown]
	s_waitcnt lgkmcnt(0)
	v_cmp_gt_i32_e32 vcc, s12, v0
	s_and_saveexec_b64 s[8:9], vcc
	s_cbranch_execz .LBB253_5
; %bb.2:
	s_load_dwordx4 s[0:3], s[4:5], 0x20
	s_load_dwordx4 s[16:19], s[4:5], 0x8
	s_load_dword s10, s[4:5], 0x18
	s_load_dwordx2 s[14:15], s[4:5], 0x30
	s_waitcnt lgkmcnt(0)
	v_mad_u64_u32 v[3:4], s[20:21], s0, v1, 0
	s_load_dword s0, s[4:5], 0x38
	s_load_dwordx2 s[20:21], s[4:5], 0x40
	v_mad_i64_i32 v[5:6], s[4:5], s10, v0, 0
	s_ashr_i32 s11, s10, 31
	v_mad_u64_u32 v[7:8], s[4:5], s1, v1, v[4:5]
	v_lshlrev_b64 v[5:6], 3, v[5:6]
	s_waitcnt lgkmcnt(0)
	s_ashr_i32 s1, s0, 31
	v_mov_b32_e32 v4, v7
	v_lshlrev_b64 v[3:4], 3, v[3:4]
	s_lshl_b64 s[4:5], s[18:19], 3
	v_add_co_u32_e32 v9, vcc, v5, v3
	s_add_u32 s13, s16, s4
	v_addc_co_u32_e32 v6, vcc, v6, v4, vcc
	s_addc_u32 s16, s17, s5
	v_mad_u64_u32 v[3:4], s[4:5], s20, v1, 0
	v_mad_i64_i32 v[7:8], s[4:5], s0, v0, 0
	v_mad_u64_u32 v[4:5], s[4:5], s21, v1, v[4:5]
	v_mov_b32_e32 v10, s16
	v_add_co_u32_e32 v5, vcc, s13, v9
	v_lshlrev_b64 v[7:8], 3, v[7:8]
	v_lshlrev_b64 v[3:4], 3, v[3:4]
	v_addc_co_u32_e32 v6, vcc, v10, v6, vcc
	s_lshl_b64 s[4:5], s[10:11], 9
	s_lshl_b64 s[10:11], s[14:15], 3
	v_add_co_u32_e32 v3, vcc, v7, v3
	s_add_u32 s2, s2, s10
	v_addc_co_u32_e32 v4, vcc, v8, v4, vcc
	s_addc_u32 s3, s3, s11
	v_mov_b32_e32 v8, s3
	v_add_co_u32_e32 v7, vcc, s2, v3
	v_addc_co_u32_e32 v8, vcc, v8, v4, vcc
	v_mov_b32_e32 v3, 0
	s_lshl_b64 s[2:3], s[0:1], 9
	v_mov_b32_e32 v4, 0
	s_mov_b64 s[10:11], 0
	v_mov_b32_e32 v9, v0
.LBB253_3:                              ; =>This Inner Loop Header: Depth=1
	global_load_dwordx2 v[10:11], v[5:6], off
	global_load_dwordx2 v[12:13], v[7:8], off
	v_mov_b32_e32 v14, s5
	v_add_co_u32_e64 v5, s[0:1], s4, v5
	v_add_u32_e32 v9, 64, v9
	v_addc_co_u32_e64 v6, s[0:1], v6, v14, s[0:1]
	v_mov_b32_e32 v15, s3
	v_add_co_u32_e32 v7, vcc, s2, v7
	v_cmp_le_i32_e64 s[0:1], s12, v9
	s_or_b64 s[10:11], s[0:1], s[10:11]
	v_addc_co_u32_e32 v8, vcc, v8, v15, vcc
	s_waitcnt vmcnt(0)
	v_fma_f64 v[3:4], v[10:11], v[12:13], v[3:4]
	s_andn2_b64 exec, exec, s[10:11]
	s_cbranch_execnz .LBB253_3
; %bb.4:
	s_or_b64 exec, exec, s[10:11]
.LBB253_5:
	s_or_b64 exec, exec, s[8:9]
	v_mbcnt_lo_u32_b32 v5, -1, 0
	v_mbcnt_hi_u32_b32 v7, -1, v5
	v_mov_b32_e32 v5, 0x80
	v_lshl_or_b32 v6, v7, 2, v5
	ds_bpermute_b32 v5, v6, v3
	ds_bpermute_b32 v6, v6, v4
	v_and_b32_e32 v8, 63, v7
	v_cmp_gt_u32_e32 vcc, 48, v8
	s_waitcnt lgkmcnt(0)
	s_barrier
	v_add_f64 v[3:4], v[3:4], v[5:6]
	v_cndmask_b32_e64 v5, 0, 16, vcc
	v_add_lshl_u32 v6, v5, v7, 2
	v_cmp_gt_u32_e32 vcc, 56, v8
	ds_bpermute_b32 v5, v6, v3
	ds_bpermute_b32 v6, v6, v4
	s_waitcnt lgkmcnt(0)
	v_add_f64 v[3:4], v[3:4], v[5:6]
	v_cndmask_b32_e64 v5, 0, 8, vcc
	v_add_lshl_u32 v6, v5, v7, 2
	v_cmp_gt_u32_e32 vcc, 60, v8
	ds_bpermute_b32 v5, v6, v3
	ds_bpermute_b32 v6, v6, v4
	s_waitcnt lgkmcnt(0)
	;; [unrolled: 7-line block ×3, first 2 shown]
	v_add_f64 v[3:4], v[3:4], v[5:6]
	v_cndmask_b32_e64 v5, 0, 2, vcc
	v_add_lshl_u32 v6, v5, v7, 2
	v_cmp_ne_u32_e32 vcc, 63, v8
	ds_bpermute_b32 v5, v6, v3
	ds_bpermute_b32 v6, v6, v4
	s_waitcnt lgkmcnt(0)
	v_add_f64 v[3:4], v[3:4], v[5:6]
	v_addc_co_u32_e32 v5, vcc, 0, v7, vcc
	v_lshlrev_b32_e32 v6, 2, v5
	v_cmp_eq_u32_e32 vcc, 0, v0
	ds_bpermute_b32 v5, v6, v3
	ds_bpermute_b32 v6, v6, v4
	s_and_b64 exec, exec, vcc
	s_cbranch_execz .LBB253_7
; %bb.6:
	s_waitcnt lgkmcnt(0)
	v_add_f64 v[3:4], v[3:4], v[5:6]
	v_lshlrev_b64 v[0:1], 3, v[1:2]
	v_mov_b32_e32 v2, s7
	v_add_co_u32_e32 v0, vcc, s6, v0
	v_addc_co_u32_e32 v1, vcc, v2, v1, vcc
	global_store_dwordx2 v[0:1], v[3:4], off
.LBB253_7:
	s_endpgm
	.section	.rodata,"a",@progbits
	.p2align	6, 0x0
	.amdhsa_kernel _ZL28rocblas_dot_batched_4_kernelIiLi64ELi4ELb1EddPKdEviT5_lT_lS2_lS3_liPT4_
		.amdhsa_group_segment_fixed_size 0
		.amdhsa_private_segment_fixed_size 0
		.amdhsa_kernarg_size 88
		.amdhsa_user_sgpr_count 6
		.amdhsa_user_sgpr_private_segment_buffer 1
		.amdhsa_user_sgpr_dispatch_ptr 0
		.amdhsa_user_sgpr_queue_ptr 0
		.amdhsa_user_sgpr_kernarg_segment_ptr 1
		.amdhsa_user_sgpr_dispatch_id 0
		.amdhsa_user_sgpr_flat_scratch_init 0
		.amdhsa_user_sgpr_private_segment_size 0
		.amdhsa_uses_dynamic_stack 0
		.amdhsa_system_sgpr_private_segment_wavefront_offset 0
		.amdhsa_system_sgpr_workgroup_id_x 1
		.amdhsa_system_sgpr_workgroup_id_y 0
		.amdhsa_system_sgpr_workgroup_id_z 0
		.amdhsa_system_sgpr_workgroup_info 0
		.amdhsa_system_vgpr_workitem_id 1
		.amdhsa_next_free_vgpr 16
		.amdhsa_next_free_sgpr 22
		.amdhsa_reserve_vcc 1
		.amdhsa_reserve_flat_scratch 0
		.amdhsa_float_round_mode_32 0
		.amdhsa_float_round_mode_16_64 0
		.amdhsa_float_denorm_mode_32 3
		.amdhsa_float_denorm_mode_16_64 3
		.amdhsa_dx10_clamp 1
		.amdhsa_ieee_mode 1
		.amdhsa_fp16_overflow 0
		.amdhsa_exception_fp_ieee_invalid_op 0
		.amdhsa_exception_fp_denorm_src 0
		.amdhsa_exception_fp_ieee_div_zero 0
		.amdhsa_exception_fp_ieee_overflow 0
		.amdhsa_exception_fp_ieee_underflow 0
		.amdhsa_exception_fp_ieee_inexact 0
		.amdhsa_exception_int_div_zero 0
	.end_amdhsa_kernel
	.section	.text._ZL28rocblas_dot_batched_4_kernelIiLi64ELi4ELb1EddPKdEviT5_lT_lS2_lS3_liPT4_,"axG",@progbits,_ZL28rocblas_dot_batched_4_kernelIiLi64ELi4ELb1EddPKdEviT5_lT_lS2_lS3_liPT4_,comdat
.Lfunc_end253:
	.size	_ZL28rocblas_dot_batched_4_kernelIiLi64ELi4ELb1EddPKdEviT5_lT_lS2_lS3_liPT4_, .Lfunc_end253-_ZL28rocblas_dot_batched_4_kernelIiLi64ELi4ELb1EddPKdEviT5_lT_lS2_lS3_liPT4_
                                        ; -- End function
	.set _ZL28rocblas_dot_batched_4_kernelIiLi64ELi4ELb1EddPKdEviT5_lT_lS2_lS3_liPT4_.num_vgpr, 16
	.set _ZL28rocblas_dot_batched_4_kernelIiLi64ELi4ELb1EddPKdEviT5_lT_lS2_lS3_liPT4_.num_agpr, 0
	.set _ZL28rocblas_dot_batched_4_kernelIiLi64ELi4ELb1EddPKdEviT5_lT_lS2_lS3_liPT4_.numbered_sgpr, 22
	.set _ZL28rocblas_dot_batched_4_kernelIiLi64ELi4ELb1EddPKdEviT5_lT_lS2_lS3_liPT4_.num_named_barrier, 0
	.set _ZL28rocblas_dot_batched_4_kernelIiLi64ELi4ELb1EddPKdEviT5_lT_lS2_lS3_liPT4_.private_seg_size, 0
	.set _ZL28rocblas_dot_batched_4_kernelIiLi64ELi4ELb1EddPKdEviT5_lT_lS2_lS3_liPT4_.uses_vcc, 1
	.set _ZL28rocblas_dot_batched_4_kernelIiLi64ELi4ELb1EddPKdEviT5_lT_lS2_lS3_liPT4_.uses_flat_scratch, 0
	.set _ZL28rocblas_dot_batched_4_kernelIiLi64ELi4ELb1EddPKdEviT5_lT_lS2_lS3_liPT4_.has_dyn_sized_stack, 0
	.set _ZL28rocblas_dot_batched_4_kernelIiLi64ELi4ELb1EddPKdEviT5_lT_lS2_lS3_liPT4_.has_recursion, 0
	.set _ZL28rocblas_dot_batched_4_kernelIiLi64ELi4ELb1EddPKdEviT5_lT_lS2_lS3_liPT4_.has_indirect_call, 0
	.section	.AMDGPU.csdata,"",@progbits
; Kernel info:
; codeLenInByte = 748
; TotalNumSgprs: 26
; NumVgprs: 16
; ScratchSize: 0
; MemoryBound: 0
; FloatMode: 240
; IeeeMode: 1
; LDSByteSize: 0 bytes/workgroup (compile time only)
; SGPRBlocks: 3
; VGPRBlocks: 3
; NumSGPRsForWavesPerEU: 26
; NumVGPRsForWavesPerEU: 16
; Occupancy: 10
; WaveLimiterHint : 0
; COMPUTE_PGM_RSRC2:SCRATCH_EN: 0
; COMPUTE_PGM_RSRC2:USER_SGPR: 6
; COMPUTE_PGM_RSRC2:TRAP_HANDLER: 0
; COMPUTE_PGM_RSRC2:TGID_X_EN: 1
; COMPUTE_PGM_RSRC2:TGID_Y_EN: 0
; COMPUTE_PGM_RSRC2:TGID_Z_EN: 0
; COMPUTE_PGM_RSRC2:TIDIG_COMP_CNT: 1
	.section	.text._ZL26rocblas_dot_kernel_inc1by2ILb1ELi1024ELi32ELb1EdPKddEviT4_llS2_lliPT5_PT3_,"axG",@progbits,_ZL26rocblas_dot_kernel_inc1by2ILb1ELi1024ELi32ELb1EdPKddEviT4_llS2_lliPT5_PT3_,comdat
	.globl	_ZL26rocblas_dot_kernel_inc1by2ILb1ELi1024ELi32ELb1EdPKddEviT4_llS2_lliPT5_PT3_ ; -- Begin function _ZL26rocblas_dot_kernel_inc1by2ILb1ELi1024ELi32ELb1EdPKddEviT4_llS2_lliPT5_PT3_
	.p2align	8
	.type	_ZL26rocblas_dot_kernel_inc1by2ILb1ELi1024ELi32ELb1EdPKddEviT4_llS2_lliPT5_PT3_,@function
_ZL26rocblas_dot_kernel_inc1by2ILb1ELi1024ELi32ELb1EdPKddEviT4_llS2_lliPT5_PT3_: ; @_ZL26rocblas_dot_kernel_inc1by2ILb1ELi1024ELi32ELb1EdPKddEviT4_llS2_lliPT5_PT3_
; %bb.0:
	s_mov_b32 s2, s7
	s_load_dword s10, s[4:5], 0x0
	s_load_dwordx2 s[6:7], s[4:5], 0x48
	v_mov_b32_e32 v1, 0
	s_mov_b32 s3, 0
	v_mov_b32_e32 v2, 0
	s_waitcnt lgkmcnt(0)
	v_cmp_gt_i32_e32 vcc, s10, v0
	s_and_saveexec_b64 s[8:9], vcc
	s_cbranch_execz .LBB254_4
; %bb.1:
	s_load_dwordx4 s[12:15], s[4:5], 0x28
	s_load_dwordx2 s[0:1], s[4:5], 0x20
	s_load_dwordx2 s[20:21], s[4:5], 0x8
	s_load_dwordx4 s[16:19], s[4:5], 0x10
	v_lshlrev_b32_e32 v1, 3, v0
	s_waitcnt lgkmcnt(0)
	s_mul_i32 s4, s15, s2
	s_mul_hi_u32 s5, s14, s2
	s_add_i32 s5, s5, s4
	s_mul_i32 s4, s14, s2
	s_lshl_b64 s[4:5], s[4:5], 3
	s_lshl_b64 s[12:13], s[12:13], 3
	s_add_u32 s4, s4, s12
	s_addc_u32 s5, s5, s13
	s_add_u32 s0, s0, s4
	s_addc_u32 s1, s1, s5
	v_mov_b32_e32 v2, s1
	v_add_co_u32_e32 v3, vcc, s0, v1
	s_mul_i32 s0, s19, s2
	s_mul_hi_u32 s1, s18, s2
	s_add_i32 s1, s1, s0
	s_mul_i32 s0, s18, s2
	s_lshl_b64 s[0:1], s[0:1], 3
	s_lshl_b64 s[4:5], s[16:17], 3
	s_add_u32 s0, s0, s4
	s_addc_u32 s1, s1, s5
	s_add_u32 s0, s20, s0
	v_addc_co_u32_e32 v4, vcc, 0, v2, vcc
	s_addc_u32 s1, s21, s1
	v_mov_b32_e32 v2, s1
	v_add_co_u32_e32 v5, vcc, s0, v1
	v_addc_co_u32_e32 v6, vcc, 0, v2, vcc
	v_mov_b32_e32 v1, 0
	v_or_b32_e32 v7, 0x400, v0
	v_mov_b32_e32 v2, 0
	s_mov_b64 s[4:5], 0
	s_mov_b32 s11, s3
.LBB254_2:                              ; =>This Inner Loop Header: Depth=1
	global_load_dwordx2 v[8:9], v[3:4], off
	global_load_dwordx2 v[10:11], v[5:6], off
	s_add_i32 s12, s11, 1
	s_cmp_gt_u32 s11, 30
	v_cmp_le_i32_e64 s[0:1], s10, v7
	v_add_co_u32_e32 v3, vcc, 0x2000, v3
	s_mov_b32 s11, s12
	s_cselect_b64 s[12:13], -1, 0
	v_addc_co_u32_e32 v4, vcc, 0, v4, vcc
	s_or_b64 s[0:1], s[12:13], s[0:1]
	v_add_co_u32_e32 v5, vcc, 0x2000, v5
	s_and_b64 s[0:1], exec, s[0:1]
	v_add_u32_e32 v7, 0x400, v7
	s_or_b64 s[4:5], s[0:1], s[4:5]
	v_addc_co_u32_e32 v6, vcc, 0, v6, vcc
	s_waitcnt vmcnt(0)
	v_fma_f64 v[1:2], v[8:9], v[10:11], v[1:2]
	s_andn2_b64 exec, exec, s[4:5]
	s_cbranch_execnz .LBB254_2
; %bb.3:
	s_or_b64 exec, exec, s[4:5]
.LBB254_4:
	s_or_b64 exec, exec, s[8:9]
	v_and_b32_e32 v8, 63, v0
	v_cmp_gt_u32_e32 vcc, 64, v0
	v_lshlrev_b32_e32 v5, 3, v8
	s_and_saveexec_b64 s[0:1], vcc
; %bb.5:
	v_mov_b32_e32 v3, 0
	v_mov_b32_e32 v4, v3
	ds_write_b64 v5, v[3:4]
; %bb.6:
	s_or_b64 exec, exec, s[0:1]
	v_mbcnt_lo_u32_b32 v3, -1, 0
	v_mbcnt_hi_u32_b32 v10, -1, v3
	v_mov_b32_e32 v3, 0x80
	v_lshl_or_b32 v4, v10, 2, v3
	ds_bpermute_b32 v3, v4, v1
	ds_bpermute_b32 v4, v4, v2
	v_and_b32_e32 v11, 63, v10
	v_cmp_gt_u32_e64 s[0:1], 48, v11
	s_waitcnt lgkmcnt(0)
	s_barrier
	v_add_f64 v[1:2], v[1:2], v[3:4]
	v_cndmask_b32_e64 v3, 0, 16, s[0:1]
	v_add_lshl_u32 v4, v3, v10, 2
	v_cmp_gt_u32_e64 s[0:1], 56, v11
	ds_bpermute_b32 v3, v4, v1
	ds_bpermute_b32 v4, v4, v2
	s_waitcnt lgkmcnt(0)
	v_add_f64 v[1:2], v[1:2], v[3:4]
	v_cndmask_b32_e64 v3, 0, 8, s[0:1]
	v_add_lshl_u32 v6, v3, v10, 2
	v_cmp_gt_u32_e64 s[0:1], 60, v11
	ds_bpermute_b32 v3, v6, v1
	ds_bpermute_b32 v4, v6, v2
	s_waitcnt lgkmcnt(0)
	;; [unrolled: 7-line block ×3, first 2 shown]
	v_add_f64 v[1:2], v[1:2], v[3:4]
	v_cndmask_b32_e64 v3, 0, 2, s[0:1]
	v_add_lshl_u32 v9, v3, v10, 2
	v_cmp_ne_u32_e64 s[0:1], 63, v11
	ds_bpermute_b32 v3, v9, v1
	ds_bpermute_b32 v4, v9, v2
	s_waitcnt lgkmcnt(0)
	v_add_f64 v[1:2], v[1:2], v[3:4]
	v_addc_co_u32_e64 v3, s[0:1], 0, v10, s[0:1]
	v_lshlrev_b32_e32 v10, 2, v3
	v_cmp_eq_u32_e64 s[0:1], 0, v8
	ds_bpermute_b32 v3, v10, v1
	ds_bpermute_b32 v4, v10, v2
	s_and_saveexec_b64 s[4:5], s[0:1]
	s_cbranch_execz .LBB254_8
; %bb.7:
	s_waitcnt lgkmcnt(0)
	v_add_f64 v[1:2], v[1:2], v[3:4]
	v_lshrrev_b32_e32 v3, 3, v0
	v_and_b32_e32 v3, 0x78, v3
	ds_write_b64 v3, v[1:2]
.LBB254_8:
	s_or_b64 exec, exec, s[4:5]
	v_mov_b32_e32 v1, 0
	v_mov_b32_e32 v2, 0
	v_cmp_gt_u32_e64 s[0:1], 16, v0
	s_waitcnt lgkmcnt(0)
	s_barrier
	s_and_saveexec_b64 s[4:5], s[0:1]
	s_cbranch_execnz .LBB254_12
; %bb.9:
	s_or_b64 exec, exec, s[4:5]
	s_and_saveexec_b64 s[0:1], vcc
	s_cbranch_execnz .LBB254_13
.LBB254_10:
	s_or_b64 exec, exec, s[0:1]
	v_cmp_eq_u32_e32 vcc, 0, v0
	s_and_saveexec_b64 s[0:1], vcc
	s_cbranch_execnz .LBB254_14
.LBB254_11:
	s_endpgm
.LBB254_12:
	ds_read_b64 v[1:2], v5
	s_or_b64 exec, exec, s[4:5]
	s_and_saveexec_b64 s[0:1], vcc
	s_cbranch_execz .LBB254_10
.LBB254_13:
	s_waitcnt lgkmcnt(0)
	ds_bpermute_b32 v3, v6, v1
	ds_bpermute_b32 v4, v6, v2
	s_waitcnt lgkmcnt(0)
	v_add_f64 v[1:2], v[1:2], v[3:4]
	ds_bpermute_b32 v3, v7, v1
	ds_bpermute_b32 v4, v7, v2
	s_waitcnt lgkmcnt(0)
	v_add_f64 v[1:2], v[1:2], v[3:4]
	ds_bpermute_b32 v3, v9, v1
	ds_bpermute_b32 v4, v9, v2
	s_waitcnt lgkmcnt(0)
	v_add_f64 v[1:2], v[1:2], v[3:4]
	ds_bpermute_b32 v3, v10, v1
	ds_bpermute_b32 v4, v10, v2
	s_waitcnt lgkmcnt(0)
	v_add_f64 v[1:2], v[1:2], v[3:4]
	s_or_b64 exec, exec, s[0:1]
	v_cmp_eq_u32_e32 vcc, 0, v0
	s_and_saveexec_b64 s[0:1], vcc
	s_cbranch_execz .LBB254_11
.LBB254_14:
	s_lshl_b64 s[0:1], s[2:3], 3
	s_add_u32 s0, s6, s0
	s_addc_u32 s1, s7, s1
	v_mov_b32_e32 v0, 0
	s_waitcnt lgkmcnt(0)
	global_store_dwordx2 v0, v[1:2], s[0:1]
	s_endpgm
	.section	.rodata,"a",@progbits
	.p2align	6, 0x0
	.amdhsa_kernel _ZL26rocblas_dot_kernel_inc1by2ILb1ELi1024ELi32ELb1EdPKddEviT4_llS2_lliPT5_PT3_
		.amdhsa_group_segment_fixed_size 512
		.amdhsa_private_segment_fixed_size 0
		.amdhsa_kernarg_size 80
		.amdhsa_user_sgpr_count 6
		.amdhsa_user_sgpr_private_segment_buffer 1
		.amdhsa_user_sgpr_dispatch_ptr 0
		.amdhsa_user_sgpr_queue_ptr 0
		.amdhsa_user_sgpr_kernarg_segment_ptr 1
		.amdhsa_user_sgpr_dispatch_id 0
		.amdhsa_user_sgpr_flat_scratch_init 0
		.amdhsa_user_sgpr_private_segment_size 0
		.amdhsa_uses_dynamic_stack 0
		.amdhsa_system_sgpr_private_segment_wavefront_offset 0
		.amdhsa_system_sgpr_workgroup_id_x 1
		.amdhsa_system_sgpr_workgroup_id_y 0
		.amdhsa_system_sgpr_workgroup_id_z 1
		.amdhsa_system_sgpr_workgroup_info 0
		.amdhsa_system_vgpr_workitem_id 0
		.amdhsa_next_free_vgpr 12
		.amdhsa_next_free_sgpr 22
		.amdhsa_reserve_vcc 1
		.amdhsa_reserve_flat_scratch 0
		.amdhsa_float_round_mode_32 0
		.amdhsa_float_round_mode_16_64 0
		.amdhsa_float_denorm_mode_32 3
		.amdhsa_float_denorm_mode_16_64 3
		.amdhsa_dx10_clamp 1
		.amdhsa_ieee_mode 1
		.amdhsa_fp16_overflow 0
		.amdhsa_exception_fp_ieee_invalid_op 0
		.amdhsa_exception_fp_denorm_src 0
		.amdhsa_exception_fp_ieee_div_zero 0
		.amdhsa_exception_fp_ieee_overflow 0
		.amdhsa_exception_fp_ieee_underflow 0
		.amdhsa_exception_fp_ieee_inexact 0
		.amdhsa_exception_int_div_zero 0
	.end_amdhsa_kernel
	.section	.text._ZL26rocblas_dot_kernel_inc1by2ILb1ELi1024ELi32ELb1EdPKddEviT4_llS2_lliPT5_PT3_,"axG",@progbits,_ZL26rocblas_dot_kernel_inc1by2ILb1ELi1024ELi32ELb1EdPKddEviT4_llS2_lliPT5_PT3_,comdat
.Lfunc_end254:
	.size	_ZL26rocblas_dot_kernel_inc1by2ILb1ELi1024ELi32ELb1EdPKddEviT4_llS2_lliPT5_PT3_, .Lfunc_end254-_ZL26rocblas_dot_kernel_inc1by2ILb1ELi1024ELi32ELb1EdPKddEviT4_llS2_lliPT5_PT3_
                                        ; -- End function
	.set _ZL26rocblas_dot_kernel_inc1by2ILb1ELi1024ELi32ELb1EdPKddEviT4_llS2_lliPT5_PT3_.num_vgpr, 12
	.set _ZL26rocblas_dot_kernel_inc1by2ILb1ELi1024ELi32ELb1EdPKddEviT4_llS2_lliPT5_PT3_.num_agpr, 0
	.set _ZL26rocblas_dot_kernel_inc1by2ILb1ELi1024ELi32ELb1EdPKddEviT4_llS2_lliPT5_PT3_.numbered_sgpr, 22
	.set _ZL26rocblas_dot_kernel_inc1by2ILb1ELi1024ELi32ELb1EdPKddEviT4_llS2_lliPT5_PT3_.num_named_barrier, 0
	.set _ZL26rocblas_dot_kernel_inc1by2ILb1ELi1024ELi32ELb1EdPKddEviT4_llS2_lliPT5_PT3_.private_seg_size, 0
	.set _ZL26rocblas_dot_kernel_inc1by2ILb1ELi1024ELi32ELb1EdPKddEviT4_llS2_lliPT5_PT3_.uses_vcc, 1
	.set _ZL26rocblas_dot_kernel_inc1by2ILb1ELi1024ELi32ELb1EdPKddEviT4_llS2_lliPT5_PT3_.uses_flat_scratch, 0
	.set _ZL26rocblas_dot_kernel_inc1by2ILb1ELi1024ELi32ELb1EdPKddEviT4_llS2_lliPT5_PT3_.has_dyn_sized_stack, 0
	.set _ZL26rocblas_dot_kernel_inc1by2ILb1ELi1024ELi32ELb1EdPKddEviT4_llS2_lliPT5_PT3_.has_recursion, 0
	.set _ZL26rocblas_dot_kernel_inc1by2ILb1ELi1024ELi32ELb1EdPKddEviT4_llS2_lliPT5_PT3_.has_indirect_call, 0
	.section	.AMDGPU.csdata,"",@progbits
; Kernel info:
; codeLenInByte = 976
; TotalNumSgprs: 26
; NumVgprs: 12
; ScratchSize: 0
; MemoryBound: 0
; FloatMode: 240
; IeeeMode: 1
; LDSByteSize: 512 bytes/workgroup (compile time only)
; SGPRBlocks: 3
; VGPRBlocks: 2
; NumSGPRsForWavesPerEU: 26
; NumVGPRsForWavesPerEU: 12
; Occupancy: 10
; WaveLimiterHint : 0
; COMPUTE_PGM_RSRC2:SCRATCH_EN: 0
; COMPUTE_PGM_RSRC2:USER_SGPR: 6
; COMPUTE_PGM_RSRC2:TRAP_HANDLER: 0
; COMPUTE_PGM_RSRC2:TGID_X_EN: 1
; COMPUTE_PGM_RSRC2:TGID_Y_EN: 0
; COMPUTE_PGM_RSRC2:TGID_Z_EN: 1
; COMPUTE_PGM_RSRC2:TIDIG_COMP_CNT: 0
	.section	.text._ZL18rocblas_dot_kernelIiLb1ELi1024ELi32ELb1EdPKddEviT5_lT_lS2_lS3_liPT6_PT4_,"axG",@progbits,_ZL18rocblas_dot_kernelIiLb1ELi1024ELi32ELb1EdPKddEviT5_lT_lS2_lS3_liPT6_PT4_,comdat
	.globl	_ZL18rocblas_dot_kernelIiLb1ELi1024ELi32ELb1EdPKddEviT5_lT_lS2_lS3_liPT6_PT4_ ; -- Begin function _ZL18rocblas_dot_kernelIiLb1ELi1024ELi32ELb1EdPKddEviT5_lT_lS2_lS3_liPT6_PT4_
	.p2align	8
	.type	_ZL18rocblas_dot_kernelIiLb1ELi1024ELi32ELb1EdPKddEviT5_lT_lS2_lS3_liPT6_PT4_,@function
_ZL18rocblas_dot_kernelIiLb1ELi1024ELi32ELb1EdPKddEviT5_lT_lS2_lS3_liPT6_PT4_: ; @_ZL18rocblas_dot_kernelIiLb1ELi1024ELi32ELb1EdPKddEviT5_lT_lS2_lS3_liPT6_PT4_
; %bb.0:
	s_load_dword s14, s[4:5], 0x0
	s_load_dwordx2 s[8:9], s[4:5], 0x58
	v_mov_b32_e32 v1, 0
	s_mov_b32 s6, s7
	s_mov_b32 s7, 0
	v_mov_b32_e32 v2, 0
	s_waitcnt lgkmcnt(0)
	v_cmp_gt_i32_e32 vcc, s14, v0
	s_and_saveexec_b64 s[10:11], vcc
	s_cbranch_execz .LBB255_4
; %bb.1:
	s_load_dword s22, s[4:5], 0x38
	s_load_dwordx2 s[12:13], s[4:5], 0x40
	s_load_dword s15, s[4:5], 0x60
	s_load_dwordx4 s[0:3], s[4:5], 0x20
	s_load_dwordx4 s[16:19], s[4:5], 0x8
	s_load_dword s23, s[4:5], 0x18
	s_load_dwordx2 s[20:21], s[4:5], 0x30
	s_waitcnt lgkmcnt(0)
	s_lshl_b32 s15, s15, 10
	s_mul_i32 s1, s1, s6
	s_mul_hi_u32 s24, s0, s6
	v_mad_i64_i32 v[1:2], s[4:5], s23, v0, 0
	s_add_i32 s1, s24, s1
	s_mul_i32 s0, s0, s6
	s_lshl_b64 s[0:1], s[0:1], 3
	s_lshl_b64 s[4:5], s[18:19], 3
	s_add_u32 s4, s16, s4
	s_addc_u32 s5, s17, s5
	v_lshlrev_b64 v[1:2], 3, v[1:2]
	s_add_u32 s0, s4, s0
	s_addc_u32 s1, s5, s1
	v_mov_b32_e32 v4, s1
	v_add_co_u32_e32 v3, vcc, s0, v1
	s_mul_hi_i32 s1, s23, s15
	s_mul_i32 s0, s23, s15
	v_addc_co_u32_e32 v4, vcc, v4, v2, vcc
	s_lshl_b64 s[4:5], s[0:1], 3
	s_mul_i32 s13, s13, s6
	s_mul_hi_u32 s16, s12, s6
	v_mad_i64_i32 v[1:2], s[0:1], s22, v0, 0
	s_add_i32 s1, s16, s13
	s_mul_i32 s0, s12, s6
	s_lshl_b64 s[0:1], s[0:1], 3
	s_lshl_b64 s[12:13], s[20:21], 3
	s_add_u32 s2, s2, s12
	s_addc_u32 s3, s3, s13
	v_lshlrev_b64 v[1:2], 3, v[1:2]
	s_add_u32 s0, s2, s0
	s_addc_u32 s1, s3, s1
	v_mov_b32_e32 v6, s1
	v_add_co_u32_e32 v5, vcc, s0, v1
	s_mul_hi_i32 s1, s22, s15
	s_mul_i32 s0, s22, s15
	v_addc_co_u32_e32 v6, vcc, v6, v2, vcc
	s_lshl_b64 s[2:3], s[0:1], 3
	v_mov_b32_e32 v1, 0
	v_or_b32_e32 v7, s15, v0
	v_mov_b32_e32 v2, 0
	s_mov_b64 s[12:13], 0
	v_mov_b32_e32 v8, s5
	v_mov_b32_e32 v9, s3
	s_mov_b32 s3, s7
.LBB255_2:                              ; =>This Inner Loop Header: Depth=1
	global_load_dwordx2 v[10:11], v[5:6], off
	global_load_dwordx2 v[12:13], v[3:4], off
	v_add_co_u32_e64 v3, s[0:1], s4, v3
	v_addc_co_u32_e64 v4, s[0:1], v4, v8, s[0:1]
	s_add_i32 s5, s3, 1
	v_add_co_u32_e64 v5, s[0:1], s2, v5
	v_addc_co_u32_e64 v6, s[0:1], v6, v9, s[0:1]
	s_cmp_gt_u32 s3, 30
	v_cmp_le_i32_e32 vcc, s14, v7
	s_cselect_b64 s[0:1], -1, 0
	s_or_b64 s[0:1], s[0:1], vcc
	s_and_b64 s[0:1], exec, s[0:1]
	v_add_u32_e32 v7, s15, v7
	s_or_b64 s[12:13], s[0:1], s[12:13]
	s_mov_b32 s3, s5
	s_waitcnt vmcnt(0)
	v_fma_f64 v[1:2], v[10:11], v[12:13], v[1:2]
	s_andn2_b64 exec, exec, s[12:13]
	s_cbranch_execnz .LBB255_2
; %bb.3:
	s_or_b64 exec, exec, s[12:13]
.LBB255_4:
	s_or_b64 exec, exec, s[10:11]
	v_and_b32_e32 v8, 63, v0
	v_cmp_gt_u32_e32 vcc, 64, v0
	v_lshlrev_b32_e32 v5, 3, v8
	s_and_saveexec_b64 s[0:1], vcc
; %bb.5:
	v_mov_b32_e32 v3, 0
	v_mov_b32_e32 v4, v3
	ds_write_b64 v5, v[3:4]
; %bb.6:
	s_or_b64 exec, exec, s[0:1]
	v_mbcnt_lo_u32_b32 v3, -1, 0
	v_mbcnt_hi_u32_b32 v10, -1, v3
	v_mov_b32_e32 v3, 0x80
	v_lshl_or_b32 v4, v10, 2, v3
	ds_bpermute_b32 v3, v4, v1
	ds_bpermute_b32 v4, v4, v2
	v_and_b32_e32 v11, 63, v10
	v_cmp_gt_u32_e64 s[0:1], 48, v11
	s_waitcnt lgkmcnt(0)
	s_barrier
	v_add_f64 v[1:2], v[1:2], v[3:4]
	v_cndmask_b32_e64 v3, 0, 16, s[0:1]
	v_add_lshl_u32 v4, v3, v10, 2
	v_cmp_gt_u32_e64 s[0:1], 56, v11
	ds_bpermute_b32 v3, v4, v1
	ds_bpermute_b32 v4, v4, v2
	s_waitcnt lgkmcnt(0)
	v_add_f64 v[1:2], v[1:2], v[3:4]
	v_cndmask_b32_e64 v3, 0, 8, s[0:1]
	v_add_lshl_u32 v6, v3, v10, 2
	v_cmp_gt_u32_e64 s[0:1], 60, v11
	ds_bpermute_b32 v3, v6, v1
	ds_bpermute_b32 v4, v6, v2
	s_waitcnt lgkmcnt(0)
	;; [unrolled: 7-line block ×3, first 2 shown]
	v_add_f64 v[1:2], v[1:2], v[3:4]
	v_cndmask_b32_e64 v3, 0, 2, s[0:1]
	v_add_lshl_u32 v9, v3, v10, 2
	v_cmp_ne_u32_e64 s[0:1], 63, v11
	ds_bpermute_b32 v3, v9, v1
	ds_bpermute_b32 v4, v9, v2
	s_waitcnt lgkmcnt(0)
	v_add_f64 v[1:2], v[1:2], v[3:4]
	v_addc_co_u32_e64 v3, s[0:1], 0, v10, s[0:1]
	v_lshlrev_b32_e32 v10, 2, v3
	v_cmp_eq_u32_e64 s[0:1], 0, v8
	ds_bpermute_b32 v3, v10, v1
	ds_bpermute_b32 v4, v10, v2
	s_and_saveexec_b64 s[2:3], s[0:1]
	s_cbranch_execz .LBB255_8
; %bb.7:
	s_waitcnt lgkmcnt(0)
	v_add_f64 v[1:2], v[1:2], v[3:4]
	v_lshrrev_b32_e32 v3, 3, v0
	v_and_b32_e32 v3, 0x78, v3
	ds_write_b64 v3, v[1:2]
.LBB255_8:
	s_or_b64 exec, exec, s[2:3]
	v_mov_b32_e32 v1, 0
	v_mov_b32_e32 v2, 0
	v_cmp_gt_u32_e64 s[0:1], 16, v0
	s_waitcnt lgkmcnt(0)
	s_barrier
	s_and_saveexec_b64 s[2:3], s[0:1]
	s_cbranch_execnz .LBB255_12
; %bb.9:
	s_or_b64 exec, exec, s[2:3]
	s_and_saveexec_b64 s[0:1], vcc
	s_cbranch_execnz .LBB255_13
.LBB255_10:
	s_or_b64 exec, exec, s[0:1]
	v_cmp_eq_u32_e32 vcc, 0, v0
	s_and_saveexec_b64 s[0:1], vcc
	s_cbranch_execnz .LBB255_14
.LBB255_11:
	s_endpgm
.LBB255_12:
	ds_read_b64 v[1:2], v5
	s_or_b64 exec, exec, s[2:3]
	s_and_saveexec_b64 s[0:1], vcc
	s_cbranch_execz .LBB255_10
.LBB255_13:
	s_waitcnt lgkmcnt(0)
	ds_bpermute_b32 v3, v6, v1
	ds_bpermute_b32 v4, v6, v2
	s_waitcnt lgkmcnt(0)
	v_add_f64 v[1:2], v[1:2], v[3:4]
	ds_bpermute_b32 v3, v7, v1
	ds_bpermute_b32 v4, v7, v2
	s_waitcnt lgkmcnt(0)
	v_add_f64 v[1:2], v[1:2], v[3:4]
	ds_bpermute_b32 v3, v9, v1
	ds_bpermute_b32 v4, v9, v2
	s_waitcnt lgkmcnt(0)
	v_add_f64 v[1:2], v[1:2], v[3:4]
	ds_bpermute_b32 v3, v10, v1
	ds_bpermute_b32 v4, v10, v2
	s_waitcnt lgkmcnt(0)
	v_add_f64 v[1:2], v[1:2], v[3:4]
	s_or_b64 exec, exec, s[0:1]
	v_cmp_eq_u32_e32 vcc, 0, v0
	s_and_saveexec_b64 s[0:1], vcc
	s_cbranch_execz .LBB255_11
.LBB255_14:
	s_lshl_b64 s[0:1], s[6:7], 3
	s_add_u32 s0, s8, s0
	s_addc_u32 s1, s9, s1
	v_mov_b32_e32 v0, 0
	s_waitcnt lgkmcnt(0)
	global_store_dwordx2 v0, v[1:2], s[0:1]
	s_endpgm
	.section	.rodata,"a",@progbits
	.p2align	6, 0x0
	.amdhsa_kernel _ZL18rocblas_dot_kernelIiLb1ELi1024ELi32ELb1EdPKddEviT5_lT_lS2_lS3_liPT6_PT4_
		.amdhsa_group_segment_fixed_size 512
		.amdhsa_private_segment_fixed_size 0
		.amdhsa_kernarg_size 352
		.amdhsa_user_sgpr_count 6
		.amdhsa_user_sgpr_private_segment_buffer 1
		.amdhsa_user_sgpr_dispatch_ptr 0
		.amdhsa_user_sgpr_queue_ptr 0
		.amdhsa_user_sgpr_kernarg_segment_ptr 1
		.amdhsa_user_sgpr_dispatch_id 0
		.amdhsa_user_sgpr_flat_scratch_init 0
		.amdhsa_user_sgpr_private_segment_size 0
		.amdhsa_uses_dynamic_stack 0
		.amdhsa_system_sgpr_private_segment_wavefront_offset 0
		.amdhsa_system_sgpr_workgroup_id_x 1
		.amdhsa_system_sgpr_workgroup_id_y 0
		.amdhsa_system_sgpr_workgroup_id_z 1
		.amdhsa_system_sgpr_workgroup_info 0
		.amdhsa_system_vgpr_workitem_id 0
		.amdhsa_next_free_vgpr 14
		.amdhsa_next_free_sgpr 25
		.amdhsa_reserve_vcc 1
		.amdhsa_reserve_flat_scratch 0
		.amdhsa_float_round_mode_32 0
		.amdhsa_float_round_mode_16_64 0
		.amdhsa_float_denorm_mode_32 3
		.amdhsa_float_denorm_mode_16_64 3
		.amdhsa_dx10_clamp 1
		.amdhsa_ieee_mode 1
		.amdhsa_fp16_overflow 0
		.amdhsa_exception_fp_ieee_invalid_op 0
		.amdhsa_exception_fp_denorm_src 0
		.amdhsa_exception_fp_ieee_div_zero 0
		.amdhsa_exception_fp_ieee_overflow 0
		.amdhsa_exception_fp_ieee_underflow 0
		.amdhsa_exception_fp_ieee_inexact 0
		.amdhsa_exception_int_div_zero 0
	.end_amdhsa_kernel
	.section	.text._ZL18rocblas_dot_kernelIiLb1ELi1024ELi32ELb1EdPKddEviT5_lT_lS2_lS3_liPT6_PT4_,"axG",@progbits,_ZL18rocblas_dot_kernelIiLb1ELi1024ELi32ELb1EdPKddEviT5_lT_lS2_lS3_liPT6_PT4_,comdat
.Lfunc_end255:
	.size	_ZL18rocblas_dot_kernelIiLb1ELi1024ELi32ELb1EdPKddEviT5_lT_lS2_lS3_liPT6_PT4_, .Lfunc_end255-_ZL18rocblas_dot_kernelIiLb1ELi1024ELi32ELb1EdPKddEviT5_lT_lS2_lS3_liPT6_PT4_
                                        ; -- End function
	.set _ZL18rocblas_dot_kernelIiLb1ELi1024ELi32ELb1EdPKddEviT5_lT_lS2_lS3_liPT6_PT4_.num_vgpr, 14
	.set _ZL18rocblas_dot_kernelIiLb1ELi1024ELi32ELb1EdPKddEviT5_lT_lS2_lS3_liPT6_PT4_.num_agpr, 0
	.set _ZL18rocblas_dot_kernelIiLb1ELi1024ELi32ELb1EdPKddEviT5_lT_lS2_lS3_liPT6_PT4_.numbered_sgpr, 25
	.set _ZL18rocblas_dot_kernelIiLb1ELi1024ELi32ELb1EdPKddEviT5_lT_lS2_lS3_liPT6_PT4_.num_named_barrier, 0
	.set _ZL18rocblas_dot_kernelIiLb1ELi1024ELi32ELb1EdPKddEviT5_lT_lS2_lS3_liPT6_PT4_.private_seg_size, 0
	.set _ZL18rocblas_dot_kernelIiLb1ELi1024ELi32ELb1EdPKddEviT5_lT_lS2_lS3_liPT6_PT4_.uses_vcc, 1
	.set _ZL18rocblas_dot_kernelIiLb1ELi1024ELi32ELb1EdPKddEviT5_lT_lS2_lS3_liPT6_PT4_.uses_flat_scratch, 0
	.set _ZL18rocblas_dot_kernelIiLb1ELi1024ELi32ELb1EdPKddEviT5_lT_lS2_lS3_liPT6_PT4_.has_dyn_sized_stack, 0
	.set _ZL18rocblas_dot_kernelIiLb1ELi1024ELi32ELb1EdPKddEviT5_lT_lS2_lS3_liPT6_PT4_.has_recursion, 0
	.set _ZL18rocblas_dot_kernelIiLb1ELi1024ELi32ELb1EdPKddEviT5_lT_lS2_lS3_liPT6_PT4_.has_indirect_call, 0
	.section	.AMDGPU.csdata,"",@progbits
; Kernel info:
; codeLenInByte = 1060
; TotalNumSgprs: 29
; NumVgprs: 14
; ScratchSize: 0
; MemoryBound: 0
; FloatMode: 240
; IeeeMode: 1
; LDSByteSize: 512 bytes/workgroup (compile time only)
; SGPRBlocks: 3
; VGPRBlocks: 3
; NumSGPRsForWavesPerEU: 29
; NumVGPRsForWavesPerEU: 14
; Occupancy: 10
; WaveLimiterHint : 0
; COMPUTE_PGM_RSRC2:SCRATCH_EN: 0
; COMPUTE_PGM_RSRC2:USER_SGPR: 6
; COMPUTE_PGM_RSRC2:TRAP_HANDLER: 0
; COMPUTE_PGM_RSRC2:TGID_X_EN: 1
; COMPUTE_PGM_RSRC2:TGID_Y_EN: 0
; COMPUTE_PGM_RSRC2:TGID_Z_EN: 1
; COMPUTE_PGM_RSRC2:TIDIG_COMP_CNT: 0
	.section	.text._ZL24rocblas_dot_kernel_magsqIiLb1ELi1024ELi32ELb1EdPKddEviT5_lT_liPT6_PT4_,"axG",@progbits,_ZL24rocblas_dot_kernel_magsqIiLb1ELi1024ELi32ELb1EdPKddEviT5_lT_liPT6_PT4_,comdat
	.globl	_ZL24rocblas_dot_kernel_magsqIiLb1ELi1024ELi32ELb1EdPKddEviT5_lT_liPT6_PT4_ ; -- Begin function _ZL24rocblas_dot_kernel_magsqIiLb1ELi1024ELi32ELb1EdPKddEviT5_lT_liPT6_PT4_
	.p2align	8
	.type	_ZL24rocblas_dot_kernel_magsqIiLb1ELi1024ELi32ELb1EdPKddEviT5_lT_liPT6_PT4_,@function
_ZL24rocblas_dot_kernel_magsqIiLb1ELi1024ELi32ELb1EdPKddEviT5_lT_liPT6_PT4_: ; @_ZL24rocblas_dot_kernel_magsqIiLb1ELi1024ELi32ELb1EdPKddEviT5_lT_liPT6_PT4_
; %bb.0:
	s_mov_b32 s2, s7
	s_load_dword s12, s[4:5], 0x0
	s_load_dwordx2 s[6:7], s[4:5], 0x38
	v_mov_b32_e32 v1, 0
	s_mov_b32 s3, 0
	v_mov_b32_e32 v2, 0
	s_waitcnt lgkmcnt(0)
	v_cmp_gt_i32_e32 vcc, s12, v0
	s_and_saveexec_b64 s[8:9], vcc
	s_cbranch_execz .LBB256_4
; %bb.1:
	s_load_dword s10, s[4:5], 0x40
	s_load_dwordx2 s[0:1], s[4:5], 0x20
	s_load_dwordx4 s[16:19], s[4:5], 0x8
	s_load_dword s11, s[4:5], 0x18
	s_waitcnt lgkmcnt(0)
	s_lshl_b32 s13, s10, 10
	s_mul_i32 s1, s1, s2
	s_mul_hi_u32 s10, s0, s2
	v_mad_i64_i32 v[1:2], s[4:5], s11, v0, 0
	s_add_i32 s1, s10, s1
	s_mul_i32 s0, s0, s2
	s_lshl_b64 s[0:1], s[0:1], 3
	s_lshl_b64 s[4:5], s[18:19], 3
	s_add_u32 s4, s16, s4
	s_addc_u32 s5, s17, s5
	v_lshlrev_b64 v[1:2], 3, v[1:2]
	s_add_u32 s0, s4, s0
	s_addc_u32 s1, s5, s1
	v_mov_b32_e32 v4, s1
	v_add_co_u32_e32 v3, vcc, s0, v1
	s_mul_hi_i32 s1, s11, s13
	s_mul_i32 s0, s11, s13
	v_addc_co_u32_e32 v4, vcc, v4, v2, vcc
	s_lshl_b64 s[4:5], s[0:1], 3
	v_mov_b32_e32 v1, 0
	v_or_b32_e32 v5, s13, v0
	v_mov_b32_e32 v2, 0
	s_mov_b64 s[10:11], 0
	v_mov_b32_e32 v6, s5
	s_mov_b32 s5, s3
.LBB256_2:                              ; =>This Inner Loop Header: Depth=1
	global_load_dwordx2 v[7:8], v[3:4], off
	s_add_i32 s14, s5, 1
	v_add_co_u32_e64 v3, s[0:1], s4, v3
	v_addc_co_u32_e64 v4, s[0:1], v4, v6, s[0:1]
	s_cmp_gt_u32 s5, 30
	v_cmp_le_i32_e32 vcc, s12, v5
	s_cselect_b64 s[0:1], -1, 0
	s_or_b64 s[0:1], s[0:1], vcc
	s_and_b64 s[0:1], exec, s[0:1]
	v_add_u32_e32 v5, s13, v5
	s_or_b64 s[10:11], s[0:1], s[10:11]
	s_mov_b32 s5, s14
	s_waitcnt vmcnt(0)
	v_fma_f64 v[1:2], v[7:8], v[7:8], v[1:2]
	s_andn2_b64 exec, exec, s[10:11]
	s_cbranch_execnz .LBB256_2
; %bb.3:
	s_or_b64 exec, exec, s[10:11]
.LBB256_4:
	s_or_b64 exec, exec, s[8:9]
	v_and_b32_e32 v8, 63, v0
	v_cmp_gt_u32_e32 vcc, 64, v0
	v_lshlrev_b32_e32 v5, 3, v8
	s_and_saveexec_b64 s[0:1], vcc
; %bb.5:
	v_mov_b32_e32 v3, 0
	v_mov_b32_e32 v4, v3
	ds_write_b64 v5, v[3:4]
; %bb.6:
	s_or_b64 exec, exec, s[0:1]
	v_mbcnt_lo_u32_b32 v3, -1, 0
	v_mbcnt_hi_u32_b32 v10, -1, v3
	v_mov_b32_e32 v3, 0x80
	v_lshl_or_b32 v4, v10, 2, v3
	ds_bpermute_b32 v3, v4, v1
	ds_bpermute_b32 v4, v4, v2
	v_and_b32_e32 v11, 63, v10
	v_cmp_gt_u32_e64 s[0:1], 48, v11
	s_waitcnt lgkmcnt(0)
	s_barrier
	v_add_f64 v[1:2], v[1:2], v[3:4]
	v_cndmask_b32_e64 v3, 0, 16, s[0:1]
	v_add_lshl_u32 v4, v3, v10, 2
	v_cmp_gt_u32_e64 s[0:1], 56, v11
	ds_bpermute_b32 v3, v4, v1
	ds_bpermute_b32 v4, v4, v2
	s_waitcnt lgkmcnt(0)
	v_add_f64 v[1:2], v[1:2], v[3:4]
	v_cndmask_b32_e64 v3, 0, 8, s[0:1]
	v_add_lshl_u32 v6, v3, v10, 2
	v_cmp_gt_u32_e64 s[0:1], 60, v11
	ds_bpermute_b32 v3, v6, v1
	ds_bpermute_b32 v4, v6, v2
	s_waitcnt lgkmcnt(0)
	;; [unrolled: 7-line block ×3, first 2 shown]
	v_add_f64 v[1:2], v[1:2], v[3:4]
	v_cndmask_b32_e64 v3, 0, 2, s[0:1]
	v_add_lshl_u32 v9, v3, v10, 2
	v_cmp_ne_u32_e64 s[0:1], 63, v11
	ds_bpermute_b32 v3, v9, v1
	ds_bpermute_b32 v4, v9, v2
	s_waitcnt lgkmcnt(0)
	v_add_f64 v[1:2], v[1:2], v[3:4]
	v_addc_co_u32_e64 v3, s[0:1], 0, v10, s[0:1]
	v_lshlrev_b32_e32 v10, 2, v3
	v_cmp_eq_u32_e64 s[0:1], 0, v8
	ds_bpermute_b32 v3, v10, v1
	ds_bpermute_b32 v4, v10, v2
	s_and_saveexec_b64 s[4:5], s[0:1]
	s_cbranch_execz .LBB256_8
; %bb.7:
	s_waitcnt lgkmcnt(0)
	v_add_f64 v[1:2], v[1:2], v[3:4]
	v_lshrrev_b32_e32 v3, 3, v0
	v_and_b32_e32 v3, 0x78, v3
	ds_write_b64 v3, v[1:2]
.LBB256_8:
	s_or_b64 exec, exec, s[4:5]
	v_mov_b32_e32 v1, 0
	v_mov_b32_e32 v2, 0
	v_cmp_gt_u32_e64 s[0:1], 16, v0
	s_waitcnt lgkmcnt(0)
	s_barrier
	s_and_saveexec_b64 s[4:5], s[0:1]
	s_cbranch_execnz .LBB256_12
; %bb.9:
	s_or_b64 exec, exec, s[4:5]
	s_and_saveexec_b64 s[0:1], vcc
	s_cbranch_execnz .LBB256_13
.LBB256_10:
	s_or_b64 exec, exec, s[0:1]
	v_cmp_eq_u32_e32 vcc, 0, v0
	s_and_saveexec_b64 s[0:1], vcc
	s_cbranch_execnz .LBB256_14
.LBB256_11:
	s_endpgm
.LBB256_12:
	ds_read_b64 v[1:2], v5
	s_or_b64 exec, exec, s[4:5]
	s_and_saveexec_b64 s[0:1], vcc
	s_cbranch_execz .LBB256_10
.LBB256_13:
	s_waitcnt lgkmcnt(0)
	ds_bpermute_b32 v3, v6, v1
	ds_bpermute_b32 v4, v6, v2
	s_waitcnt lgkmcnt(0)
	v_add_f64 v[1:2], v[1:2], v[3:4]
	ds_bpermute_b32 v3, v7, v1
	ds_bpermute_b32 v4, v7, v2
	s_waitcnt lgkmcnt(0)
	v_add_f64 v[1:2], v[1:2], v[3:4]
	;; [unrolled: 4-line block ×4, first 2 shown]
	s_or_b64 exec, exec, s[0:1]
	v_cmp_eq_u32_e32 vcc, 0, v0
	s_and_saveexec_b64 s[0:1], vcc
	s_cbranch_execz .LBB256_11
.LBB256_14:
	s_lshl_b64 s[0:1], s[2:3], 3
	s_add_u32 s0, s6, s0
	s_addc_u32 s1, s7, s1
	v_mov_b32_e32 v0, 0
	s_waitcnt lgkmcnt(0)
	global_store_dwordx2 v0, v[1:2], s[0:1]
	s_endpgm
	.section	.rodata,"a",@progbits
	.p2align	6, 0x0
	.amdhsa_kernel _ZL24rocblas_dot_kernel_magsqIiLb1ELi1024ELi32ELb1EdPKddEviT5_lT_liPT6_PT4_
		.amdhsa_group_segment_fixed_size 512
		.amdhsa_private_segment_fixed_size 0
		.amdhsa_kernarg_size 320
		.amdhsa_user_sgpr_count 6
		.amdhsa_user_sgpr_private_segment_buffer 1
		.amdhsa_user_sgpr_dispatch_ptr 0
		.amdhsa_user_sgpr_queue_ptr 0
		.amdhsa_user_sgpr_kernarg_segment_ptr 1
		.amdhsa_user_sgpr_dispatch_id 0
		.amdhsa_user_sgpr_flat_scratch_init 0
		.amdhsa_user_sgpr_private_segment_size 0
		.amdhsa_uses_dynamic_stack 0
		.amdhsa_system_sgpr_private_segment_wavefront_offset 0
		.amdhsa_system_sgpr_workgroup_id_x 1
		.amdhsa_system_sgpr_workgroup_id_y 0
		.amdhsa_system_sgpr_workgroup_id_z 1
		.amdhsa_system_sgpr_workgroup_info 0
		.amdhsa_system_vgpr_workitem_id 0
		.amdhsa_next_free_vgpr 12
		.amdhsa_next_free_sgpr 20
		.amdhsa_reserve_vcc 1
		.amdhsa_reserve_flat_scratch 0
		.amdhsa_float_round_mode_32 0
		.amdhsa_float_round_mode_16_64 0
		.amdhsa_float_denorm_mode_32 3
		.amdhsa_float_denorm_mode_16_64 3
		.amdhsa_dx10_clamp 1
		.amdhsa_ieee_mode 1
		.amdhsa_fp16_overflow 0
		.amdhsa_exception_fp_ieee_invalid_op 0
		.amdhsa_exception_fp_denorm_src 0
		.amdhsa_exception_fp_ieee_div_zero 0
		.amdhsa_exception_fp_ieee_overflow 0
		.amdhsa_exception_fp_ieee_underflow 0
		.amdhsa_exception_fp_ieee_inexact 0
		.amdhsa_exception_int_div_zero 0
	.end_amdhsa_kernel
	.section	.text._ZL24rocblas_dot_kernel_magsqIiLb1ELi1024ELi32ELb1EdPKddEviT5_lT_liPT6_PT4_,"axG",@progbits,_ZL24rocblas_dot_kernel_magsqIiLb1ELi1024ELi32ELb1EdPKddEviT5_lT_liPT6_PT4_,comdat
.Lfunc_end256:
	.size	_ZL24rocblas_dot_kernel_magsqIiLb1ELi1024ELi32ELb1EdPKddEviT5_lT_liPT6_PT4_, .Lfunc_end256-_ZL24rocblas_dot_kernel_magsqIiLb1ELi1024ELi32ELb1EdPKddEviT5_lT_liPT6_PT4_
                                        ; -- End function
	.set _ZL24rocblas_dot_kernel_magsqIiLb1ELi1024ELi32ELb1EdPKddEviT5_lT_liPT6_PT4_.num_vgpr, 12
	.set _ZL24rocblas_dot_kernel_magsqIiLb1ELi1024ELi32ELb1EdPKddEviT5_lT_liPT6_PT4_.num_agpr, 0
	.set _ZL24rocblas_dot_kernel_magsqIiLb1ELi1024ELi32ELb1EdPKddEviT5_lT_liPT6_PT4_.numbered_sgpr, 20
	.set _ZL24rocblas_dot_kernel_magsqIiLb1ELi1024ELi32ELb1EdPKddEviT5_lT_liPT6_PT4_.num_named_barrier, 0
	.set _ZL24rocblas_dot_kernel_magsqIiLb1ELi1024ELi32ELb1EdPKddEviT5_lT_liPT6_PT4_.private_seg_size, 0
	.set _ZL24rocblas_dot_kernel_magsqIiLb1ELi1024ELi32ELb1EdPKddEviT5_lT_liPT6_PT4_.uses_vcc, 1
	.set _ZL24rocblas_dot_kernel_magsqIiLb1ELi1024ELi32ELb1EdPKddEviT5_lT_liPT6_PT4_.uses_flat_scratch, 0
	.set _ZL24rocblas_dot_kernel_magsqIiLb1ELi1024ELi32ELb1EdPKddEviT5_lT_liPT6_PT4_.has_dyn_sized_stack, 0
	.set _ZL24rocblas_dot_kernel_magsqIiLb1ELi1024ELi32ELb1EdPKddEviT5_lT_liPT6_PT4_.has_recursion, 0
	.set _ZL24rocblas_dot_kernel_magsqIiLb1ELi1024ELi32ELb1EdPKddEviT5_lT_liPT6_PT4_.has_indirect_call, 0
	.section	.AMDGPU.csdata,"",@progbits
; Kernel info:
; codeLenInByte = 928
; TotalNumSgprs: 24
; NumVgprs: 12
; ScratchSize: 0
; MemoryBound: 0
; FloatMode: 240
; IeeeMode: 1
; LDSByteSize: 512 bytes/workgroup (compile time only)
; SGPRBlocks: 2
; VGPRBlocks: 2
; NumSGPRsForWavesPerEU: 24
; NumVGPRsForWavesPerEU: 12
; Occupancy: 10
; WaveLimiterHint : 0
; COMPUTE_PGM_RSRC2:SCRATCH_EN: 0
; COMPUTE_PGM_RSRC2:USER_SGPR: 6
; COMPUTE_PGM_RSRC2:TRAP_HANDLER: 0
; COMPUTE_PGM_RSRC2:TGID_X_EN: 1
; COMPUTE_PGM_RSRC2:TGID_Y_EN: 0
; COMPUTE_PGM_RSRC2:TGID_Z_EN: 1
; COMPUTE_PGM_RSRC2:TIDIG_COMP_CNT: 0
	.section	.text._ZL38rocblas_dot_kernel_gfx942_float_doubleIiLi1024EdPKddEviT2_lT_lS2_lS3_lPT3_PT1_,"axG",@progbits,_ZL38rocblas_dot_kernel_gfx942_float_doubleIiLi1024EdPKddEviT2_lT_lS2_lS3_lPT3_PT1_,comdat
	.globl	_ZL38rocblas_dot_kernel_gfx942_float_doubleIiLi1024EdPKddEviT2_lT_lS2_lS3_lPT3_PT1_ ; -- Begin function _ZL38rocblas_dot_kernel_gfx942_float_doubleIiLi1024EdPKddEviT2_lT_lS2_lS3_lPT3_PT1_
	.p2align	8
	.type	_ZL38rocblas_dot_kernel_gfx942_float_doubleIiLi1024EdPKddEviT2_lT_lS2_lS3_lPT3_PT1_,@function
_ZL38rocblas_dot_kernel_gfx942_float_doubleIiLi1024EdPKddEviT2_lT_lS2_lS3_lPT3_PT1_: ; @_ZL38rocblas_dot_kernel_gfx942_float_doubleIiLi1024EdPKddEviT2_lT_lS2_lS3_lPT3_PT1_
; %bb.0:
	s_endpgm
	.section	.rodata,"a",@progbits
	.p2align	6, 0x0
	.amdhsa_kernel _ZL38rocblas_dot_kernel_gfx942_float_doubleIiLi1024EdPKddEviT2_lT_lS2_lS3_lPT3_PT1_
		.amdhsa_group_segment_fixed_size 0
		.amdhsa_private_segment_fixed_size 0
		.amdhsa_kernarg_size 88
		.amdhsa_user_sgpr_count 6
		.amdhsa_user_sgpr_private_segment_buffer 1
		.amdhsa_user_sgpr_dispatch_ptr 0
		.amdhsa_user_sgpr_queue_ptr 0
		.amdhsa_user_sgpr_kernarg_segment_ptr 1
		.amdhsa_user_sgpr_dispatch_id 0
		.amdhsa_user_sgpr_flat_scratch_init 0
		.amdhsa_user_sgpr_private_segment_size 0
		.amdhsa_uses_dynamic_stack 0
		.amdhsa_system_sgpr_private_segment_wavefront_offset 0
		.amdhsa_system_sgpr_workgroup_id_x 1
		.amdhsa_system_sgpr_workgroup_id_y 0
		.amdhsa_system_sgpr_workgroup_id_z 0
		.amdhsa_system_sgpr_workgroup_info 0
		.amdhsa_system_vgpr_workitem_id 0
		.amdhsa_next_free_vgpr 1
		.amdhsa_next_free_sgpr 0
		.amdhsa_reserve_vcc 0
		.amdhsa_reserve_flat_scratch 0
		.amdhsa_float_round_mode_32 0
		.amdhsa_float_round_mode_16_64 0
		.amdhsa_float_denorm_mode_32 3
		.amdhsa_float_denorm_mode_16_64 3
		.amdhsa_dx10_clamp 1
		.amdhsa_ieee_mode 1
		.amdhsa_fp16_overflow 0
		.amdhsa_exception_fp_ieee_invalid_op 0
		.amdhsa_exception_fp_denorm_src 0
		.amdhsa_exception_fp_ieee_div_zero 0
		.amdhsa_exception_fp_ieee_overflow 0
		.amdhsa_exception_fp_ieee_underflow 0
		.amdhsa_exception_fp_ieee_inexact 0
		.amdhsa_exception_int_div_zero 0
	.end_amdhsa_kernel
	.section	.text._ZL38rocblas_dot_kernel_gfx942_float_doubleIiLi1024EdPKddEviT2_lT_lS2_lS3_lPT3_PT1_,"axG",@progbits,_ZL38rocblas_dot_kernel_gfx942_float_doubleIiLi1024EdPKddEviT2_lT_lS2_lS3_lPT3_PT1_,comdat
.Lfunc_end257:
	.size	_ZL38rocblas_dot_kernel_gfx942_float_doubleIiLi1024EdPKddEviT2_lT_lS2_lS3_lPT3_PT1_, .Lfunc_end257-_ZL38rocblas_dot_kernel_gfx942_float_doubleIiLi1024EdPKddEviT2_lT_lS2_lS3_lPT3_PT1_
                                        ; -- End function
	.set _ZL38rocblas_dot_kernel_gfx942_float_doubleIiLi1024EdPKddEviT2_lT_lS2_lS3_lPT3_PT1_.num_vgpr, 0
	.set _ZL38rocblas_dot_kernel_gfx942_float_doubleIiLi1024EdPKddEviT2_lT_lS2_lS3_lPT3_PT1_.num_agpr, 0
	.set _ZL38rocblas_dot_kernel_gfx942_float_doubleIiLi1024EdPKddEviT2_lT_lS2_lS3_lPT3_PT1_.numbered_sgpr, 0
	.set _ZL38rocblas_dot_kernel_gfx942_float_doubleIiLi1024EdPKddEviT2_lT_lS2_lS3_lPT3_PT1_.num_named_barrier, 0
	.set _ZL38rocblas_dot_kernel_gfx942_float_doubleIiLi1024EdPKddEviT2_lT_lS2_lS3_lPT3_PT1_.private_seg_size, 0
	.set _ZL38rocblas_dot_kernel_gfx942_float_doubleIiLi1024EdPKddEviT2_lT_lS2_lS3_lPT3_PT1_.uses_vcc, 0
	.set _ZL38rocblas_dot_kernel_gfx942_float_doubleIiLi1024EdPKddEviT2_lT_lS2_lS3_lPT3_PT1_.uses_flat_scratch, 0
	.set _ZL38rocblas_dot_kernel_gfx942_float_doubleIiLi1024EdPKddEviT2_lT_lS2_lS3_lPT3_PT1_.has_dyn_sized_stack, 0
	.set _ZL38rocblas_dot_kernel_gfx942_float_doubleIiLi1024EdPKddEviT2_lT_lS2_lS3_lPT3_PT1_.has_recursion, 0
	.set _ZL38rocblas_dot_kernel_gfx942_float_doubleIiLi1024EdPKddEviT2_lT_lS2_lS3_lPT3_PT1_.has_indirect_call, 0
	.section	.AMDGPU.csdata,"",@progbits
; Kernel info:
; codeLenInByte = 4
; TotalNumSgprs: 4
; NumVgprs: 0
; ScratchSize: 0
; MemoryBound: 0
; FloatMode: 240
; IeeeMode: 1
; LDSByteSize: 0 bytes/workgroup (compile time only)
; SGPRBlocks: 0
; VGPRBlocks: 0
; NumSGPRsForWavesPerEU: 4
; NumVGPRsForWavesPerEU: 1
; Occupancy: 10
; WaveLimiterHint : 0
; COMPUTE_PGM_RSRC2:SCRATCH_EN: 0
; COMPUTE_PGM_RSRC2:USER_SGPR: 6
; COMPUTE_PGM_RSRC2:TRAP_HANDLER: 0
; COMPUTE_PGM_RSRC2:TGID_X_EN: 1
; COMPUTE_PGM_RSRC2:TGID_Y_EN: 0
; COMPUTE_PGM_RSRC2:TGID_Z_EN: 0
; COMPUTE_PGM_RSRC2:TIDIG_COMP_CNT: 0
	.section	.text._ZL30rocblas_reduction_kernel_part2ILi1024ELi4E25rocblas_finalize_identityddEviPT2_PT3_,"axG",@progbits,_ZL30rocblas_reduction_kernel_part2ILi1024ELi4E25rocblas_finalize_identityddEviPT2_PT3_,comdat
	.globl	_ZL30rocblas_reduction_kernel_part2ILi1024ELi4E25rocblas_finalize_identityddEviPT2_PT3_ ; -- Begin function _ZL30rocblas_reduction_kernel_part2ILi1024ELi4E25rocblas_finalize_identityddEviPT2_PT3_
	.p2align	8
	.type	_ZL30rocblas_reduction_kernel_part2ILi1024ELi4E25rocblas_finalize_identityddEviPT2_PT3_,@function
_ZL30rocblas_reduction_kernel_part2ILi1024ELi4E25rocblas_finalize_identityddEviPT2_PT3_: ; @_ZL30rocblas_reduction_kernel_part2ILi1024ELi4E25rocblas_finalize_identityddEviPT2_PT3_
; %bb.0:
	s_load_dword s14, s[4:5], 0x0
	s_load_dwordx4 s[8:11], s[4:5], 0x8
	v_lshlrev_b32_e32 v5, 2, v0
	v_mov_b32_e32 v1, 0
	s_mov_b32 s7, 0
	s_waitcnt lgkmcnt(0)
	s_ashr_i32 s0, s14, 31
	s_mul_i32 s2, s0, s6
	s_lshr_b32 s0, s0, 30
	s_add_i32 s0, s14, s0
	s_mul_hi_u32 s1, s14, s6
	s_and_b32 s15, s0, -4
	s_add_i32 s3, s1, s2
	s_mul_i32 s2, s14, s6
	v_mov_b32_e32 v2, 0
	v_cmp_gt_i32_e32 vcc, s15, v5
	s_and_saveexec_b64 s[4:5], vcc
	s_cbranch_execz .LBB258_4
; %bb.1:
	s_lshl_b64 s[0:1], s[2:3], 3
	s_add_u32 s0, s8, s0
	v_lshlrev_b32_e32 v1, 5, v0
	s_addc_u32 s1, s9, s1
	v_mov_b32_e32 v2, s1
	v_add_co_u32_e32 v1, vcc, s0, v1
	v_addc_co_u32_e32 v2, vcc, 0, v2, vcc
	v_add_co_u32_e32 v3, vcc, 16, v1
	v_addc_co_u32_e32 v4, vcc, 0, v2, vcc
	v_mov_b32_e32 v1, 0
	v_mov_b32_e32 v2, 0
	s_mov_b64 s[12:13], 0
.LBB258_2:                              ; =>This Inner Loop Header: Depth=1
	global_load_dwordx4 v[6:9], v[3:4], off offset:-16
	global_load_dwordx4 v[10:13], v[3:4], off
	v_add_u32_e32 v5, 0x1000, v5
	v_add_co_u32_e32 v3, vcc, 0x8000, v3
	v_cmp_le_i32_e64 s[0:1], s15, v5
	s_or_b64 s[12:13], s[0:1], s[12:13]
	v_addc_co_u32_e32 v4, vcc, 0, v4, vcc
	s_waitcnt vmcnt(1)
	v_add_f64 v[1:2], v[1:2], v[6:7]
	v_add_f64 v[1:2], v[1:2], v[8:9]
	s_waitcnt vmcnt(0)
	v_add_f64 v[1:2], v[1:2], v[10:11]
	v_add_f64 v[1:2], v[1:2], v[12:13]
	s_andn2_b64 exec, exec, s[12:13]
	s_cbranch_execnz .LBB258_2
; %bb.3:
	s_or_b64 exec, exec, s[12:13]
.LBB258_4:
	s_or_b64 exec, exec, s[4:5]
	s_sub_i32 s0, s14, s15
	v_cmp_gt_u32_e32 vcc, s0, v0
	s_and_saveexec_b64 s[0:1], vcc
	s_cbranch_execz .LBB258_6
; %bb.5:
	s_lshl_b64 s[2:3], s[2:3], 3
	v_xad_u32 v3, v0, -1, s14
	v_mov_b32_e32 v4, 0
	s_add_u32 s2, s8, s2
	v_lshlrev_b64 v[3:4], 3, v[3:4]
	s_addc_u32 s3, s9, s3
	v_mov_b32_e32 v5, s3
	v_add_co_u32_e32 v3, vcc, s2, v3
	v_addc_co_u32_e32 v4, vcc, v5, v4, vcc
	global_load_dwordx2 v[3:4], v[3:4], off
	s_waitcnt vmcnt(0)
	v_add_f64 v[1:2], v[1:2], v[3:4]
.LBB258_6:
	s_or_b64 exec, exec, s[0:1]
	v_and_b32_e32 v8, 63, v0
	v_cmp_gt_u32_e32 vcc, 64, v0
	v_lshlrev_b32_e32 v5, 3, v8
	s_and_saveexec_b64 s[0:1], vcc
; %bb.7:
	v_mov_b32_e32 v3, 0
	v_mov_b32_e32 v4, v3
	ds_write_b64 v5, v[3:4]
; %bb.8:
	s_or_b64 exec, exec, s[0:1]
	v_mbcnt_lo_u32_b32 v3, -1, 0
	v_mbcnt_hi_u32_b32 v10, -1, v3
	v_mov_b32_e32 v3, 0x80
	v_lshl_or_b32 v4, v10, 2, v3
	ds_bpermute_b32 v3, v4, v1
	ds_bpermute_b32 v4, v4, v2
	v_and_b32_e32 v11, 63, v10
	v_cmp_gt_u32_e64 s[0:1], 48, v11
	s_waitcnt lgkmcnt(0)
	s_barrier
	v_add_f64 v[1:2], v[1:2], v[3:4]
	v_cndmask_b32_e64 v3, 0, 16, s[0:1]
	v_add_lshl_u32 v4, v3, v10, 2
	v_cmp_gt_u32_e64 s[0:1], 56, v11
	ds_bpermute_b32 v3, v4, v1
	ds_bpermute_b32 v4, v4, v2
	s_waitcnt lgkmcnt(0)
	v_add_f64 v[1:2], v[1:2], v[3:4]
	v_cndmask_b32_e64 v3, 0, 8, s[0:1]
	v_add_lshl_u32 v6, v3, v10, 2
	v_cmp_gt_u32_e64 s[0:1], 60, v11
	ds_bpermute_b32 v3, v6, v1
	ds_bpermute_b32 v4, v6, v2
	s_waitcnt lgkmcnt(0)
	;; [unrolled: 7-line block ×3, first 2 shown]
	v_add_f64 v[1:2], v[1:2], v[3:4]
	v_cndmask_b32_e64 v3, 0, 2, s[0:1]
	v_add_lshl_u32 v9, v3, v10, 2
	v_cmp_ne_u32_e64 s[0:1], 63, v11
	ds_bpermute_b32 v3, v9, v1
	ds_bpermute_b32 v4, v9, v2
	s_waitcnt lgkmcnt(0)
	v_add_f64 v[1:2], v[1:2], v[3:4]
	v_addc_co_u32_e64 v3, s[0:1], 0, v10, s[0:1]
	v_lshlrev_b32_e32 v10, 2, v3
	v_cmp_eq_u32_e64 s[0:1], 0, v8
	ds_bpermute_b32 v3, v10, v1
	ds_bpermute_b32 v4, v10, v2
	s_and_saveexec_b64 s[2:3], s[0:1]
	s_cbranch_execz .LBB258_10
; %bb.9:
	s_waitcnt lgkmcnt(0)
	v_add_f64 v[1:2], v[1:2], v[3:4]
	v_lshrrev_b32_e32 v3, 3, v0
	v_and_b32_e32 v3, 0x78, v3
	ds_write_b64 v3, v[1:2]
.LBB258_10:
	s_or_b64 exec, exec, s[2:3]
	v_mov_b32_e32 v1, 0
	v_mov_b32_e32 v2, 0
	v_cmp_gt_u32_e64 s[0:1], 16, v0
	s_waitcnt lgkmcnt(0)
	s_barrier
	s_and_saveexec_b64 s[2:3], s[0:1]
	s_cbranch_execnz .LBB258_14
; %bb.11:
	s_or_b64 exec, exec, s[2:3]
	s_and_saveexec_b64 s[0:1], vcc
	s_cbranch_execnz .LBB258_15
.LBB258_12:
	s_or_b64 exec, exec, s[0:1]
	v_cmp_eq_u32_e32 vcc, 0, v0
	s_and_saveexec_b64 s[0:1], vcc
	s_cbranch_execnz .LBB258_16
.LBB258_13:
	s_endpgm
.LBB258_14:
	ds_read_b64 v[1:2], v5
	s_or_b64 exec, exec, s[2:3]
	s_and_saveexec_b64 s[0:1], vcc
	s_cbranch_execz .LBB258_12
.LBB258_15:
	s_waitcnt lgkmcnt(0)
	ds_bpermute_b32 v3, v6, v1
	ds_bpermute_b32 v4, v6, v2
	s_waitcnt lgkmcnt(0)
	v_add_f64 v[1:2], v[1:2], v[3:4]
	ds_bpermute_b32 v3, v7, v1
	ds_bpermute_b32 v4, v7, v2
	s_waitcnt lgkmcnt(0)
	v_add_f64 v[1:2], v[1:2], v[3:4]
	;; [unrolled: 4-line block ×4, first 2 shown]
	s_or_b64 exec, exec, s[0:1]
	v_cmp_eq_u32_e32 vcc, 0, v0
	s_and_saveexec_b64 s[0:1], vcc
	s_cbranch_execz .LBB258_13
.LBB258_16:
	s_lshl_b64 s[0:1], s[6:7], 3
	s_add_u32 s0, s10, s0
	s_addc_u32 s1, s11, s1
	v_mov_b32_e32 v0, 0
	s_waitcnt lgkmcnt(0)
	global_store_dwordx2 v0, v[1:2], s[0:1]
	s_endpgm
	.section	.rodata,"a",@progbits
	.p2align	6, 0x0
	.amdhsa_kernel _ZL30rocblas_reduction_kernel_part2ILi1024ELi4E25rocblas_finalize_identityddEviPT2_PT3_
		.amdhsa_group_segment_fixed_size 512
		.amdhsa_private_segment_fixed_size 0
		.amdhsa_kernarg_size 24
		.amdhsa_user_sgpr_count 6
		.amdhsa_user_sgpr_private_segment_buffer 1
		.amdhsa_user_sgpr_dispatch_ptr 0
		.amdhsa_user_sgpr_queue_ptr 0
		.amdhsa_user_sgpr_kernarg_segment_ptr 1
		.amdhsa_user_sgpr_dispatch_id 0
		.amdhsa_user_sgpr_flat_scratch_init 0
		.amdhsa_user_sgpr_private_segment_size 0
		.amdhsa_uses_dynamic_stack 0
		.amdhsa_system_sgpr_private_segment_wavefront_offset 0
		.amdhsa_system_sgpr_workgroup_id_x 1
		.amdhsa_system_sgpr_workgroup_id_y 0
		.amdhsa_system_sgpr_workgroup_id_z 0
		.amdhsa_system_sgpr_workgroup_info 0
		.amdhsa_system_vgpr_workitem_id 0
		.amdhsa_next_free_vgpr 14
		.amdhsa_next_free_sgpr 16
		.amdhsa_reserve_vcc 1
		.amdhsa_reserve_flat_scratch 0
		.amdhsa_float_round_mode_32 0
		.amdhsa_float_round_mode_16_64 0
		.amdhsa_float_denorm_mode_32 3
		.amdhsa_float_denorm_mode_16_64 3
		.amdhsa_dx10_clamp 1
		.amdhsa_ieee_mode 1
		.amdhsa_fp16_overflow 0
		.amdhsa_exception_fp_ieee_invalid_op 0
		.amdhsa_exception_fp_denorm_src 0
		.amdhsa_exception_fp_ieee_div_zero 0
		.amdhsa_exception_fp_ieee_overflow 0
		.amdhsa_exception_fp_ieee_underflow 0
		.amdhsa_exception_fp_ieee_inexact 0
		.amdhsa_exception_int_div_zero 0
	.end_amdhsa_kernel
	.section	.text._ZL30rocblas_reduction_kernel_part2ILi1024ELi4E25rocblas_finalize_identityddEviPT2_PT3_,"axG",@progbits,_ZL30rocblas_reduction_kernel_part2ILi1024ELi4E25rocblas_finalize_identityddEviPT2_PT3_,comdat
.Lfunc_end258:
	.size	_ZL30rocblas_reduction_kernel_part2ILi1024ELi4E25rocblas_finalize_identityddEviPT2_PT3_, .Lfunc_end258-_ZL30rocblas_reduction_kernel_part2ILi1024ELi4E25rocblas_finalize_identityddEviPT2_PT3_
                                        ; -- End function
	.set _ZL30rocblas_reduction_kernel_part2ILi1024ELi4E25rocblas_finalize_identityddEviPT2_PT3_.num_vgpr, 14
	.set _ZL30rocblas_reduction_kernel_part2ILi1024ELi4E25rocblas_finalize_identityddEviPT2_PT3_.num_agpr, 0
	.set _ZL30rocblas_reduction_kernel_part2ILi1024ELi4E25rocblas_finalize_identityddEviPT2_PT3_.numbered_sgpr, 16
	.set _ZL30rocblas_reduction_kernel_part2ILi1024ELi4E25rocblas_finalize_identityddEviPT2_PT3_.num_named_barrier, 0
	.set _ZL30rocblas_reduction_kernel_part2ILi1024ELi4E25rocblas_finalize_identityddEviPT2_PT3_.private_seg_size, 0
	.set _ZL30rocblas_reduction_kernel_part2ILi1024ELi4E25rocblas_finalize_identityddEviPT2_PT3_.uses_vcc, 1
	.set _ZL30rocblas_reduction_kernel_part2ILi1024ELi4E25rocblas_finalize_identityddEviPT2_PT3_.uses_flat_scratch, 0
	.set _ZL30rocblas_reduction_kernel_part2ILi1024ELi4E25rocblas_finalize_identityddEviPT2_PT3_.has_dyn_sized_stack, 0
	.set _ZL30rocblas_reduction_kernel_part2ILi1024ELi4E25rocblas_finalize_identityddEviPT2_PT3_.has_recursion, 0
	.set _ZL30rocblas_reduction_kernel_part2ILi1024ELi4E25rocblas_finalize_identityddEviPT2_PT3_.has_indirect_call, 0
	.section	.AMDGPU.csdata,"",@progbits
; Kernel info:
; codeLenInByte = 964
; TotalNumSgprs: 20
; NumVgprs: 14
; ScratchSize: 0
; MemoryBound: 0
; FloatMode: 240
; IeeeMode: 1
; LDSByteSize: 512 bytes/workgroup (compile time only)
; SGPRBlocks: 2
; VGPRBlocks: 3
; NumSGPRsForWavesPerEU: 20
; NumVGPRsForWavesPerEU: 14
; Occupancy: 10
; WaveLimiterHint : 0
; COMPUTE_PGM_RSRC2:SCRATCH_EN: 0
; COMPUTE_PGM_RSRC2:USER_SGPR: 6
; COMPUTE_PGM_RSRC2:TRAP_HANDLER: 0
; COMPUTE_PGM_RSRC2:TGID_X_EN: 1
; COMPUTE_PGM_RSRC2:TGID_Y_EN: 0
; COMPUTE_PGM_RSRC2:TGID_Z_EN: 0
; COMPUTE_PGM_RSRC2:TIDIG_COMP_CNT: 0
	.section	.text._ZL23rocblas_dot_kernel_inc1ILb0ELi512ELi2ELb1EdPKddEviT4_llS2_lliPT5_PT3_,"axG",@progbits,_ZL23rocblas_dot_kernel_inc1ILb0ELi512ELi2ELb1EdPKddEviT4_llS2_lliPT5_PT3_,comdat
	.globl	_ZL23rocblas_dot_kernel_inc1ILb0ELi512ELi2ELb1EdPKddEviT4_llS2_lliPT5_PT3_ ; -- Begin function _ZL23rocblas_dot_kernel_inc1ILb0ELi512ELi2ELb1EdPKddEviT4_llS2_lliPT5_PT3_
	.p2align	8
	.type	_ZL23rocblas_dot_kernel_inc1ILb0ELi512ELi2ELb1EdPKddEviT4_llS2_lliPT5_PT3_,@function
_ZL23rocblas_dot_kernel_inc1ILb0ELi512ELi2ELb1EdPKddEviT4_llS2_lliPT5_PT3_: ; @_ZL23rocblas_dot_kernel_inc1ILb0ELi512ELi2ELb1EdPKddEviT4_llS2_lliPT5_PT3_
; %bb.0:
	s_mov_b32 s2, s7
	s_load_dword s7, s[4:5], 0x0
	s_load_dword s10, s[4:5], 0x50
	v_lshl_or_b32 v3, s6, 9, v0
	v_mov_b32_e32 v1, 0
	s_mov_b32 s3, 0
	v_mov_b32_e32 v2, 0
	s_waitcnt lgkmcnt(0)
	v_cmp_gt_i32_e32 vcc, s7, v3
	s_and_saveexec_b64 s[0:1], vcc
	s_cbranch_execz .LBB259_4
; %bb.1:
	s_load_dwordx4 s[12:15], s[4:5], 0x10
	s_load_dwordx2 s[8:9], s[4:5], 0x8
	s_load_dwordx2 s[20:21], s[4:5], 0x20
	s_load_dwordx4 s[16:19], s[4:5], 0x28
	v_ashrrev_i32_e32 v4, 31, v3
	s_waitcnt lgkmcnt(0)
	s_mul_i32 s11, s15, s2
	s_mul_hi_u32 s15, s14, s2
	s_add_i32 s15, s15, s11
	s_mul_i32 s14, s14, s2
	s_lshl_b64 s[14:15], s[14:15], 3
	s_add_u32 s11, s8, s14
	s_addc_u32 s14, s9, s15
	s_lshl_b64 s[8:9], s[12:13], 3
	s_add_u32 s11, s11, s8
	s_addc_u32 s12, s14, s9
	s_mul_i32 s8, s19, s2
	s_mul_hi_u32 s9, s18, s2
	s_add_i32 s9, s9, s8
	s_mul_i32 s8, s18, s2
	s_lshl_b64 s[8:9], s[8:9], 3
	s_add_u32 s13, s20, s8
	s_addc_u32 s14, s21, s9
	s_lshl_b64 s[8:9], s[16:17], 3
	s_add_u32 s13, s13, s8
	v_lshlrev_b64 v[1:2], 3, v[3:4]
	s_addc_u32 s14, s14, s9
	v_mov_b32_e32 v4, s14
	v_add_co_u32_e32 v3, vcc, s13, v1
	v_addc_co_u32_e32 v4, vcc, v4, v2, vcc
	v_mov_b32_e32 v5, s12
	v_add_co_u32_e32 v1, vcc, s11, v1
	v_addc_co_u32_e32 v2, vcc, v5, v2, vcc
	global_load_dwordx2 v[3:4], v[3:4], off
	s_add_i32 s8, s6, s10
	global_load_dwordx2 v[1:2], v[1:2], off
	s_waitcnt vmcnt(0)
	v_fma_f64 v[1:2], v[3:4], v[1:2], 0
	v_lshl_or_b32 v3, s8, 9, v0
	v_cmp_gt_i32_e32 vcc, s7, v3
	s_and_saveexec_b64 s[8:9], vcc
	s_cbranch_execz .LBB259_3
; %bb.2:
	v_ashrrev_i32_e32 v4, 31, v3
	v_lshlrev_b64 v[3:4], 3, v[3:4]
	v_mov_b32_e32 v6, s14
	v_add_co_u32_e32 v5, vcc, s13, v3
	v_addc_co_u32_e32 v6, vcc, v6, v4, vcc
	v_mov_b32_e32 v7, s12
	v_add_co_u32_e32 v3, vcc, s11, v3
	v_addc_co_u32_e32 v4, vcc, v7, v4, vcc
	global_load_dwordx2 v[5:6], v[5:6], off
	s_nop 0
	global_load_dwordx2 v[3:4], v[3:4], off
	s_waitcnt vmcnt(0)
	v_fma_f64 v[1:2], v[5:6], v[3:4], v[1:2]
.LBB259_3:
	s_or_b64 exec, exec, s[8:9]
.LBB259_4:
	s_or_b64 exec, exec, s[0:1]
	v_and_b32_e32 v6, 63, v0
	v_cmp_gt_u32_e32 vcc, 64, v0
	v_lshlrev_b32_e32 v5, 3, v6
	s_and_saveexec_b64 s[0:1], vcc
; %bb.5:
	v_mov_b32_e32 v3, 0
	v_mov_b32_e32 v4, v3
	ds_write_b64 v5, v[3:4]
; %bb.6:
	s_or_b64 exec, exec, s[0:1]
	v_mbcnt_lo_u32_b32 v3, -1, 0
	v_mbcnt_hi_u32_b32 v9, -1, v3
	v_mov_b32_e32 v3, 0x80
	v_lshl_or_b32 v4, v9, 2, v3
	ds_bpermute_b32 v3, v4, v1
	ds_bpermute_b32 v4, v4, v2
	v_and_b32_e32 v10, 63, v9
	v_cmp_gt_u32_e64 s[0:1], 48, v10
	s_waitcnt lgkmcnt(0)
	s_barrier
	v_add_f64 v[1:2], v[1:2], v[3:4]
	v_cndmask_b32_e64 v3, 0, 16, s[0:1]
	v_add_lshl_u32 v4, v3, v9, 2
	v_cmp_gt_u32_e64 s[0:1], 56, v10
	ds_bpermute_b32 v3, v4, v1
	ds_bpermute_b32 v4, v4, v2
	s_waitcnt lgkmcnt(0)
	v_add_f64 v[1:2], v[1:2], v[3:4]
	v_cndmask_b32_e64 v3, 0, 8, s[0:1]
	v_add_lshl_u32 v4, v3, v9, 2
	v_cmp_gt_u32_e64 s[0:1], 60, v10
	ds_bpermute_b32 v3, v4, v1
	ds_bpermute_b32 v4, v4, v2
	s_waitcnt lgkmcnt(0)
	;; [unrolled: 7-line block ×3, first 2 shown]
	v_add_f64 v[1:2], v[1:2], v[3:4]
	v_cndmask_b32_e64 v3, 0, 2, s[0:1]
	v_add_lshl_u32 v8, v3, v9, 2
	v_cmp_ne_u32_e64 s[0:1], 63, v10
	ds_bpermute_b32 v3, v8, v1
	ds_bpermute_b32 v4, v8, v2
	s_waitcnt lgkmcnt(0)
	v_add_f64 v[1:2], v[1:2], v[3:4]
	v_addc_co_u32_e64 v3, s[0:1], 0, v9, s[0:1]
	v_lshlrev_b32_e32 v9, 2, v3
	v_cmp_eq_u32_e64 s[0:1], 0, v6
	ds_bpermute_b32 v3, v9, v1
	ds_bpermute_b32 v4, v9, v2
	s_and_saveexec_b64 s[8:9], s[0:1]
	s_cbranch_execz .LBB259_8
; %bb.7:
	s_waitcnt lgkmcnt(0)
	v_add_f64 v[1:2], v[1:2], v[3:4]
	v_lshrrev_b32_e32 v3, 3, v0
	v_and_b32_e32 v3, 56, v3
	ds_write_b64 v3, v[1:2]
.LBB259_8:
	s_or_b64 exec, exec, s[8:9]
	v_mov_b32_e32 v1, 0
	v_mov_b32_e32 v2, 0
	v_cmp_gt_u32_e64 s[0:1], 8, v0
	s_waitcnt lgkmcnt(0)
	s_barrier
	s_and_saveexec_b64 s[8:9], s[0:1]
	s_cbranch_execnz .LBB259_12
; %bb.9:
	s_or_b64 exec, exec, s[8:9]
	s_and_saveexec_b64 s[0:1], vcc
	s_cbranch_execnz .LBB259_13
.LBB259_10:
	s_or_b64 exec, exec, s[0:1]
	v_cmp_eq_u32_e32 vcc, 0, v0
	s_and_saveexec_b64 s[0:1], vcc
	s_cbranch_execnz .LBB259_14
.LBB259_11:
	s_endpgm
.LBB259_12:
	ds_read_b64 v[1:2], v5
	s_or_b64 exec, exec, s[8:9]
	s_and_saveexec_b64 s[0:1], vcc
	s_cbranch_execz .LBB259_10
.LBB259_13:
	s_waitcnt lgkmcnt(0)
	ds_bpermute_b32 v3, v7, v1
	ds_bpermute_b32 v4, v7, v2
	s_waitcnt lgkmcnt(0)
	v_add_f64 v[1:2], v[1:2], v[3:4]
	ds_bpermute_b32 v3, v8, v1
	ds_bpermute_b32 v4, v8, v2
	s_waitcnt lgkmcnt(0)
	v_add_f64 v[1:2], v[1:2], v[3:4]
	ds_bpermute_b32 v3, v9, v1
	ds_bpermute_b32 v4, v9, v2
	s_waitcnt lgkmcnt(0)
	v_add_f64 v[1:2], v[1:2], v[3:4]
	s_or_b64 exec, exec, s[0:1]
	v_cmp_eq_u32_e32 vcc, 0, v0
	s_and_saveexec_b64 s[0:1], vcc
	s_cbranch_execz .LBB259_11
.LBB259_14:
	s_cmp_lg_u32 s10, 1
	s_mov_b64 s[0:1], -1
	s_cbranch_scc0 .LBB259_16
; %bb.15:
	s_load_dwordx2 s[0:1], s[4:5], 0x40
	s_mul_hi_u32 s9, s10, s2
	s_mul_i32 s8, s10, s2
	s_lshl_b64 s[8:9], s[8:9], 3
	s_mov_b32 s7, 0
	s_waitcnt lgkmcnt(0)
	s_add_u32 s8, s0, s8
	s_addc_u32 s9, s1, s9
	s_lshl_b64 s[0:1], s[6:7], 3
	s_add_u32 s0, s8, s0
	s_addc_u32 s1, s9, s1
	v_mov_b32_e32 v0, 0
	global_store_dwordx2 v0, v[1:2], s[0:1]
	s_mov_b64 s[0:1], 0
.LBB259_16:
	s_andn2_b64 vcc, exec, s[0:1]
	s_cbranch_vccnz .LBB259_11
; %bb.17:
	s_load_dwordx2 s[0:1], s[4:5], 0x48
	s_lshl_b64 s[2:3], s[2:3], 3
	v_mov_b32_e32 v0, 0
	s_waitcnt lgkmcnt(0)
	s_add_u32 s0, s0, s2
	s_addc_u32 s1, s1, s3
	global_store_dwordx2 v0, v[1:2], s[0:1]
	s_endpgm
	.section	.rodata,"a",@progbits
	.p2align	6, 0x0
	.amdhsa_kernel _ZL23rocblas_dot_kernel_inc1ILb0ELi512ELi2ELb1EdPKddEviT4_llS2_lliPT5_PT3_
		.amdhsa_group_segment_fixed_size 512
		.amdhsa_private_segment_fixed_size 0
		.amdhsa_kernarg_size 336
		.amdhsa_user_sgpr_count 6
		.amdhsa_user_sgpr_private_segment_buffer 1
		.amdhsa_user_sgpr_dispatch_ptr 0
		.amdhsa_user_sgpr_queue_ptr 0
		.amdhsa_user_sgpr_kernarg_segment_ptr 1
		.amdhsa_user_sgpr_dispatch_id 0
		.amdhsa_user_sgpr_flat_scratch_init 0
		.amdhsa_user_sgpr_private_segment_size 0
		.amdhsa_uses_dynamic_stack 0
		.amdhsa_system_sgpr_private_segment_wavefront_offset 0
		.amdhsa_system_sgpr_workgroup_id_x 1
		.amdhsa_system_sgpr_workgroup_id_y 0
		.amdhsa_system_sgpr_workgroup_id_z 1
		.amdhsa_system_sgpr_workgroup_info 0
		.amdhsa_system_vgpr_workitem_id 0
		.amdhsa_next_free_vgpr 11
		.amdhsa_next_free_sgpr 22
		.amdhsa_reserve_vcc 1
		.amdhsa_reserve_flat_scratch 0
		.amdhsa_float_round_mode_32 0
		.amdhsa_float_round_mode_16_64 0
		.amdhsa_float_denorm_mode_32 3
		.amdhsa_float_denorm_mode_16_64 3
		.amdhsa_dx10_clamp 1
		.amdhsa_ieee_mode 1
		.amdhsa_fp16_overflow 0
		.amdhsa_exception_fp_ieee_invalid_op 0
		.amdhsa_exception_fp_denorm_src 0
		.amdhsa_exception_fp_ieee_div_zero 0
		.amdhsa_exception_fp_ieee_overflow 0
		.amdhsa_exception_fp_ieee_underflow 0
		.amdhsa_exception_fp_ieee_inexact 0
		.amdhsa_exception_int_div_zero 0
	.end_amdhsa_kernel
	.section	.text._ZL23rocblas_dot_kernel_inc1ILb0ELi512ELi2ELb1EdPKddEviT4_llS2_lliPT5_PT3_,"axG",@progbits,_ZL23rocblas_dot_kernel_inc1ILb0ELi512ELi2ELb1EdPKddEviT4_llS2_lliPT5_PT3_,comdat
.Lfunc_end259:
	.size	_ZL23rocblas_dot_kernel_inc1ILb0ELi512ELi2ELb1EdPKddEviT4_llS2_lliPT5_PT3_, .Lfunc_end259-_ZL23rocblas_dot_kernel_inc1ILb0ELi512ELi2ELb1EdPKddEviT4_llS2_lliPT5_PT3_
                                        ; -- End function
	.set _ZL23rocblas_dot_kernel_inc1ILb0ELi512ELi2ELb1EdPKddEviT4_llS2_lliPT5_PT3_.num_vgpr, 11
	.set _ZL23rocblas_dot_kernel_inc1ILb0ELi512ELi2ELb1EdPKddEviT4_llS2_lliPT5_PT3_.num_agpr, 0
	.set _ZL23rocblas_dot_kernel_inc1ILb0ELi512ELi2ELb1EdPKddEviT4_llS2_lliPT5_PT3_.numbered_sgpr, 22
	.set _ZL23rocblas_dot_kernel_inc1ILb0ELi512ELi2ELb1EdPKddEviT4_llS2_lliPT5_PT3_.num_named_barrier, 0
	.set _ZL23rocblas_dot_kernel_inc1ILb0ELi512ELi2ELb1EdPKddEviT4_llS2_lliPT5_PT3_.private_seg_size, 0
	.set _ZL23rocblas_dot_kernel_inc1ILb0ELi512ELi2ELb1EdPKddEviT4_llS2_lliPT5_PT3_.uses_vcc, 1
	.set _ZL23rocblas_dot_kernel_inc1ILb0ELi512ELi2ELb1EdPKddEviT4_llS2_lliPT5_PT3_.uses_flat_scratch, 0
	.set _ZL23rocblas_dot_kernel_inc1ILb0ELi512ELi2ELb1EdPKddEviT4_llS2_lliPT5_PT3_.has_dyn_sized_stack, 0
	.set _ZL23rocblas_dot_kernel_inc1ILb0ELi512ELi2ELb1EdPKddEviT4_llS2_lliPT5_PT3_.has_recursion, 0
	.set _ZL23rocblas_dot_kernel_inc1ILb0ELi512ELi2ELb1EdPKddEviT4_llS2_lliPT5_PT3_.has_indirect_call, 0
	.section	.AMDGPU.csdata,"",@progbits
; Kernel info:
; codeLenInByte = 1044
; TotalNumSgprs: 26
; NumVgprs: 11
; ScratchSize: 0
; MemoryBound: 0
; FloatMode: 240
; IeeeMode: 1
; LDSByteSize: 512 bytes/workgroup (compile time only)
; SGPRBlocks: 3
; VGPRBlocks: 2
; NumSGPRsForWavesPerEU: 26
; NumVGPRsForWavesPerEU: 11
; Occupancy: 10
; WaveLimiterHint : 0
; COMPUTE_PGM_RSRC2:SCRATCH_EN: 0
; COMPUTE_PGM_RSRC2:USER_SGPR: 6
; COMPUTE_PGM_RSRC2:TRAP_HANDLER: 0
; COMPUTE_PGM_RSRC2:TGID_X_EN: 1
; COMPUTE_PGM_RSRC2:TGID_Y_EN: 0
; COMPUTE_PGM_RSRC2:TGID_Z_EN: 1
; COMPUTE_PGM_RSRC2:TIDIG_COMP_CNT: 0
	.section	.text._ZL18rocblas_dot_kernelIiLb0ELi512ELi2ELb1EdPKddEviT5_lT_lS2_lS3_liPT6_PT4_,"axG",@progbits,_ZL18rocblas_dot_kernelIiLb0ELi512ELi2ELb1EdPKddEviT5_lT_lS2_lS3_liPT6_PT4_,comdat
	.globl	_ZL18rocblas_dot_kernelIiLb0ELi512ELi2ELb1EdPKddEviT5_lT_lS2_lS3_liPT6_PT4_ ; -- Begin function _ZL18rocblas_dot_kernelIiLb0ELi512ELi2ELb1EdPKddEviT5_lT_lS2_lS3_liPT6_PT4_
	.p2align	8
	.type	_ZL18rocblas_dot_kernelIiLb0ELi512ELi2ELb1EdPKddEviT5_lT_lS2_lS3_liPT6_PT4_,@function
_ZL18rocblas_dot_kernelIiLb0ELi512ELi2ELb1EdPKddEviT5_lT_lS2_lS3_liPT6_PT4_: ; @_ZL18rocblas_dot_kernelIiLb0ELi512ELi2ELb1EdPKddEviT5_lT_lS2_lS3_liPT6_PT4_
; %bb.0:
	s_mov_b32 s2, s7
	s_load_dword s7, s[4:5], 0x0
	s_load_dword s10, s[4:5], 0x60
	v_lshl_or_b32 v3, s6, 9, v0
	v_mov_b32_e32 v1, 0
	s_mov_b32 s3, 0
	v_mov_b32_e32 v2, 0
	s_waitcnt lgkmcnt(0)
	v_cmp_gt_i32_e32 vcc, s7, v3
	s_and_saveexec_b64 s[0:1], vcc
	s_cbranch_execz .LBB260_4
; %bb.1:
	s_load_dwordx4 s[16:19], s[4:5], 0x20
	s_load_dwordx4 s[20:23], s[4:5], 0x8
	s_load_dword s11, s[4:5], 0x18
	s_load_dwordx2 s[8:9], s[4:5], 0x30
	s_load_dword s14, s[4:5], 0x38
	s_load_dwordx2 s[24:25], s[4:5], 0x40
	s_waitcnt lgkmcnt(0)
	s_mul_i32 s12, s17, s2
	s_mul_hi_u32 s13, s16, s2
	s_add_i32 s13, s13, s12
	s_mul_i32 s12, s16, s2
	s_lshl_b64 s[12:13], s[12:13], 3
	s_add_u32 s15, s20, s12
	s_addc_u32 s16, s21, s13
	s_lshl_b64 s[12:13], s[22:23], 3
	s_add_u32 s12, s15, s12
	s_addc_u32 s13, s16, s13
	s_mul_i32 s15, s25, s2
	s_mul_hi_u32 s16, s24, s2
	s_add_i32 s17, s16, s15
	s_mul_i32 s16, s24, s2
	s_lshl_b64 s[16:17], s[16:17], 3
	s_add_u32 s15, s18, s16
	s_addc_u32 s18, s19, s17
	v_mad_i64_i32 v[1:2], s[16:17], v3, s14, 0
	s_lshl_b64 s[8:9], s[8:9], 3
	s_add_u32 s15, s15, s8
	s_addc_u32 s16, s18, s9
	v_mad_i64_i32 v[3:4], s[8:9], v3, s11, 0
	v_lshlrev_b64 v[1:2], 3, v[1:2]
	v_mov_b32_e32 v5, s16
	v_add_co_u32_e32 v1, vcc, s15, v1
	v_lshlrev_b64 v[3:4], 3, v[3:4]
	v_addc_co_u32_e32 v2, vcc, v5, v2, vcc
	v_mov_b32_e32 v5, s13
	v_add_co_u32_e32 v3, vcc, s12, v3
	v_addc_co_u32_e32 v4, vcc, v5, v4, vcc
	global_load_dwordx2 v[1:2], v[1:2], off
	s_add_i32 s8, s6, s10
	global_load_dwordx2 v[3:4], v[3:4], off
	s_waitcnt vmcnt(0)
	v_fma_f64 v[1:2], v[1:2], v[3:4], 0
	v_lshl_or_b32 v3, s8, 9, v0
	v_cmp_gt_i32_e32 vcc, s7, v3
	s_and_saveexec_b64 s[8:9], vcc
	s_cbranch_execz .LBB260_3
; %bb.2:
	v_mad_i64_i32 v[4:5], s[18:19], v3, s14, 0
	v_mov_b32_e32 v8, s16
	v_mad_i64_i32 v[6:7], s[16:17], v3, s11, 0
	v_lshlrev_b64 v[4:5], 3, v[4:5]
	v_add_co_u32_e32 v3, vcc, s15, v4
	v_addc_co_u32_e32 v4, vcc, v8, v5, vcc
	v_lshlrev_b64 v[5:6], 3, v[6:7]
	v_mov_b32_e32 v7, s13
	v_add_co_u32_e32 v5, vcc, s12, v5
	v_addc_co_u32_e32 v6, vcc, v7, v6, vcc
	global_load_dwordx2 v[3:4], v[3:4], off
	s_nop 0
	global_load_dwordx2 v[5:6], v[5:6], off
	s_waitcnt vmcnt(0)
	v_fma_f64 v[1:2], v[3:4], v[5:6], v[1:2]
.LBB260_3:
	s_or_b64 exec, exec, s[8:9]
.LBB260_4:
	s_or_b64 exec, exec, s[0:1]
	v_and_b32_e32 v6, 63, v0
	v_cmp_gt_u32_e32 vcc, 64, v0
	v_lshlrev_b32_e32 v5, 3, v6
	s_and_saveexec_b64 s[0:1], vcc
; %bb.5:
	v_mov_b32_e32 v3, 0
	v_mov_b32_e32 v4, v3
	ds_write_b64 v5, v[3:4]
; %bb.6:
	s_or_b64 exec, exec, s[0:1]
	v_mbcnt_lo_u32_b32 v3, -1, 0
	v_mbcnt_hi_u32_b32 v9, -1, v3
	v_mov_b32_e32 v3, 0x80
	v_lshl_or_b32 v4, v9, 2, v3
	ds_bpermute_b32 v3, v4, v1
	ds_bpermute_b32 v4, v4, v2
	v_and_b32_e32 v10, 63, v9
	v_cmp_gt_u32_e64 s[0:1], 48, v10
	s_waitcnt lgkmcnt(0)
	s_barrier
	v_add_f64 v[1:2], v[1:2], v[3:4]
	v_cndmask_b32_e64 v3, 0, 16, s[0:1]
	v_add_lshl_u32 v4, v3, v9, 2
	v_cmp_gt_u32_e64 s[0:1], 56, v10
	ds_bpermute_b32 v3, v4, v1
	ds_bpermute_b32 v4, v4, v2
	s_waitcnt lgkmcnt(0)
	v_add_f64 v[1:2], v[1:2], v[3:4]
	v_cndmask_b32_e64 v3, 0, 8, s[0:1]
	v_add_lshl_u32 v4, v3, v9, 2
	v_cmp_gt_u32_e64 s[0:1], 60, v10
	ds_bpermute_b32 v3, v4, v1
	ds_bpermute_b32 v4, v4, v2
	s_waitcnt lgkmcnt(0)
	v_add_f64 v[1:2], v[1:2], v[3:4]
	v_cndmask_b32_e64 v3, 0, 4, s[0:1]
	v_add_lshl_u32 v7, v3, v9, 2
	v_cmp_gt_u32_e64 s[0:1], 62, v10
	ds_bpermute_b32 v3, v7, v1
	ds_bpermute_b32 v4, v7, v2
	s_waitcnt lgkmcnt(0)
	v_add_f64 v[1:2], v[1:2], v[3:4]
	v_cndmask_b32_e64 v3, 0, 2, s[0:1]
	v_add_lshl_u32 v8, v3, v9, 2
	v_cmp_ne_u32_e64 s[0:1], 63, v10
	ds_bpermute_b32 v3, v8, v1
	ds_bpermute_b32 v4, v8, v2
	s_waitcnt lgkmcnt(0)
	v_add_f64 v[1:2], v[1:2], v[3:4]
	v_addc_co_u32_e64 v3, s[0:1], 0, v9, s[0:1]
	v_lshlrev_b32_e32 v9, 2, v3
	v_cmp_eq_u32_e64 s[0:1], 0, v6
	ds_bpermute_b32 v3, v9, v1
	ds_bpermute_b32 v4, v9, v2
	s_and_saveexec_b64 s[8:9], s[0:1]
	s_cbranch_execz .LBB260_8
; %bb.7:
	s_waitcnt lgkmcnt(0)
	v_add_f64 v[1:2], v[1:2], v[3:4]
	v_lshrrev_b32_e32 v3, 3, v0
	v_and_b32_e32 v3, 56, v3
	ds_write_b64 v3, v[1:2]
.LBB260_8:
	s_or_b64 exec, exec, s[8:9]
	v_mov_b32_e32 v1, 0
	v_mov_b32_e32 v2, 0
	v_cmp_gt_u32_e64 s[0:1], 8, v0
	s_waitcnt lgkmcnt(0)
	s_barrier
	s_and_saveexec_b64 s[8:9], s[0:1]
	s_cbranch_execnz .LBB260_12
; %bb.9:
	s_or_b64 exec, exec, s[8:9]
	s_and_saveexec_b64 s[0:1], vcc
	s_cbranch_execnz .LBB260_13
.LBB260_10:
	s_or_b64 exec, exec, s[0:1]
	v_cmp_eq_u32_e32 vcc, 0, v0
	s_and_saveexec_b64 s[0:1], vcc
	s_cbranch_execnz .LBB260_14
.LBB260_11:
	s_endpgm
.LBB260_12:
	ds_read_b64 v[1:2], v5
	s_or_b64 exec, exec, s[8:9]
	s_and_saveexec_b64 s[0:1], vcc
	s_cbranch_execz .LBB260_10
.LBB260_13:
	s_waitcnt lgkmcnt(0)
	ds_bpermute_b32 v3, v7, v1
	ds_bpermute_b32 v4, v7, v2
	s_waitcnt lgkmcnt(0)
	v_add_f64 v[1:2], v[1:2], v[3:4]
	ds_bpermute_b32 v3, v8, v1
	ds_bpermute_b32 v4, v8, v2
	s_waitcnt lgkmcnt(0)
	v_add_f64 v[1:2], v[1:2], v[3:4]
	;; [unrolled: 4-line block ×3, first 2 shown]
	s_or_b64 exec, exec, s[0:1]
	v_cmp_eq_u32_e32 vcc, 0, v0
	s_and_saveexec_b64 s[0:1], vcc
	s_cbranch_execz .LBB260_11
.LBB260_14:
	s_cmp_lg_u32 s10, 1
	s_mov_b64 s[0:1], -1
	s_cbranch_scc0 .LBB260_16
; %bb.15:
	s_load_dwordx2 s[0:1], s[4:5], 0x50
	s_mul_hi_u32 s9, s10, s2
	s_mul_i32 s8, s10, s2
	s_lshl_b64 s[8:9], s[8:9], 3
	s_mov_b32 s7, 0
	s_waitcnt lgkmcnt(0)
	s_add_u32 s8, s0, s8
	s_addc_u32 s9, s1, s9
	s_lshl_b64 s[0:1], s[6:7], 3
	s_add_u32 s0, s8, s0
	s_addc_u32 s1, s9, s1
	v_mov_b32_e32 v0, 0
	global_store_dwordx2 v0, v[1:2], s[0:1]
	s_mov_b64 s[0:1], 0
.LBB260_16:
	s_andn2_b64 vcc, exec, s[0:1]
	s_cbranch_vccnz .LBB260_11
; %bb.17:
	s_load_dwordx2 s[0:1], s[4:5], 0x58
	s_lshl_b64 s[2:3], s[2:3], 3
	v_mov_b32_e32 v0, 0
	s_waitcnt lgkmcnt(0)
	s_add_u32 s0, s0, s2
	s_addc_u32 s1, s1, s3
	global_store_dwordx2 v0, v[1:2], s[0:1]
	s_endpgm
	.section	.rodata,"a",@progbits
	.p2align	6, 0x0
	.amdhsa_kernel _ZL18rocblas_dot_kernelIiLb0ELi512ELi2ELb1EdPKddEviT5_lT_lS2_lS3_liPT6_PT4_
		.amdhsa_group_segment_fixed_size 512
		.amdhsa_private_segment_fixed_size 0
		.amdhsa_kernarg_size 352
		.amdhsa_user_sgpr_count 6
		.amdhsa_user_sgpr_private_segment_buffer 1
		.amdhsa_user_sgpr_dispatch_ptr 0
		.amdhsa_user_sgpr_queue_ptr 0
		.amdhsa_user_sgpr_kernarg_segment_ptr 1
		.amdhsa_user_sgpr_dispatch_id 0
		.amdhsa_user_sgpr_flat_scratch_init 0
		.amdhsa_user_sgpr_private_segment_size 0
		.amdhsa_uses_dynamic_stack 0
		.amdhsa_system_sgpr_private_segment_wavefront_offset 0
		.amdhsa_system_sgpr_workgroup_id_x 1
		.amdhsa_system_sgpr_workgroup_id_y 0
		.amdhsa_system_sgpr_workgroup_id_z 1
		.amdhsa_system_sgpr_workgroup_info 0
		.amdhsa_system_vgpr_workitem_id 0
		.amdhsa_next_free_vgpr 11
		.amdhsa_next_free_sgpr 26
		.amdhsa_reserve_vcc 1
		.amdhsa_reserve_flat_scratch 0
		.amdhsa_float_round_mode_32 0
		.amdhsa_float_round_mode_16_64 0
		.amdhsa_float_denorm_mode_32 3
		.amdhsa_float_denorm_mode_16_64 3
		.amdhsa_dx10_clamp 1
		.amdhsa_ieee_mode 1
		.amdhsa_fp16_overflow 0
		.amdhsa_exception_fp_ieee_invalid_op 0
		.amdhsa_exception_fp_denorm_src 0
		.amdhsa_exception_fp_ieee_div_zero 0
		.amdhsa_exception_fp_ieee_overflow 0
		.amdhsa_exception_fp_ieee_underflow 0
		.amdhsa_exception_fp_ieee_inexact 0
		.amdhsa_exception_int_div_zero 0
	.end_amdhsa_kernel
	.section	.text._ZL18rocblas_dot_kernelIiLb0ELi512ELi2ELb1EdPKddEviT5_lT_lS2_lS3_liPT6_PT4_,"axG",@progbits,_ZL18rocblas_dot_kernelIiLb0ELi512ELi2ELb1EdPKddEviT5_lT_lS2_lS3_liPT6_PT4_,comdat
.Lfunc_end260:
	.size	_ZL18rocblas_dot_kernelIiLb0ELi512ELi2ELb1EdPKddEviT5_lT_lS2_lS3_liPT6_PT4_, .Lfunc_end260-_ZL18rocblas_dot_kernelIiLb0ELi512ELi2ELb1EdPKddEviT5_lT_lS2_lS3_liPT6_PT4_
                                        ; -- End function
	.set _ZL18rocblas_dot_kernelIiLb0ELi512ELi2ELb1EdPKddEviT5_lT_lS2_lS3_liPT6_PT4_.num_vgpr, 11
	.set _ZL18rocblas_dot_kernelIiLb0ELi512ELi2ELb1EdPKddEviT5_lT_lS2_lS3_liPT6_PT4_.num_agpr, 0
	.set _ZL18rocblas_dot_kernelIiLb0ELi512ELi2ELb1EdPKddEviT5_lT_lS2_lS3_liPT6_PT4_.numbered_sgpr, 26
	.set _ZL18rocblas_dot_kernelIiLb0ELi512ELi2ELb1EdPKddEviT5_lT_lS2_lS3_liPT6_PT4_.num_named_barrier, 0
	.set _ZL18rocblas_dot_kernelIiLb0ELi512ELi2ELb1EdPKddEviT5_lT_lS2_lS3_liPT6_PT4_.private_seg_size, 0
	.set _ZL18rocblas_dot_kernelIiLb0ELi512ELi2ELb1EdPKddEviT5_lT_lS2_lS3_liPT6_PT4_.uses_vcc, 1
	.set _ZL18rocblas_dot_kernelIiLb0ELi512ELi2ELb1EdPKddEviT5_lT_lS2_lS3_liPT6_PT4_.uses_flat_scratch, 0
	.set _ZL18rocblas_dot_kernelIiLb0ELi512ELi2ELb1EdPKddEviT5_lT_lS2_lS3_liPT6_PT4_.has_dyn_sized_stack, 0
	.set _ZL18rocblas_dot_kernelIiLb0ELi512ELi2ELb1EdPKddEviT5_lT_lS2_lS3_liPT6_PT4_.has_recursion, 0
	.set _ZL18rocblas_dot_kernelIiLb0ELi512ELi2ELb1EdPKddEviT5_lT_lS2_lS3_liPT6_PT4_.has_indirect_call, 0
	.section	.AMDGPU.csdata,"",@progbits
; Kernel info:
; codeLenInByte = 1100
; TotalNumSgprs: 30
; NumVgprs: 11
; ScratchSize: 0
; MemoryBound: 0
; FloatMode: 240
; IeeeMode: 1
; LDSByteSize: 512 bytes/workgroup (compile time only)
; SGPRBlocks: 3
; VGPRBlocks: 2
; NumSGPRsForWavesPerEU: 30
; NumVGPRsForWavesPerEU: 11
; Occupancy: 10
; WaveLimiterHint : 0
; COMPUTE_PGM_RSRC2:SCRATCH_EN: 0
; COMPUTE_PGM_RSRC2:USER_SGPR: 6
; COMPUTE_PGM_RSRC2:TRAP_HANDLER: 0
; COMPUTE_PGM_RSRC2:TGID_X_EN: 1
; COMPUTE_PGM_RSRC2:TGID_Y_EN: 0
; COMPUTE_PGM_RSRC2:TGID_Z_EN: 1
; COMPUTE_PGM_RSRC2:TIDIG_COMP_CNT: 0
	.section	.text._ZL24rocblas_dot_kernel_magsqIiLb0ELi512ELi2ELb1EdPKddEviT5_lT_liPT6_PT4_,"axG",@progbits,_ZL24rocblas_dot_kernel_magsqIiLb0ELi512ELi2ELb1EdPKddEviT5_lT_liPT6_PT4_,comdat
	.globl	_ZL24rocblas_dot_kernel_magsqIiLb0ELi512ELi2ELb1EdPKddEviT5_lT_liPT6_PT4_ ; -- Begin function _ZL24rocblas_dot_kernel_magsqIiLb0ELi512ELi2ELb1EdPKddEviT5_lT_liPT6_PT4_
	.p2align	8
	.type	_ZL24rocblas_dot_kernel_magsqIiLb0ELi512ELi2ELb1EdPKddEviT5_lT_liPT6_PT4_,@function
_ZL24rocblas_dot_kernel_magsqIiLb0ELi512ELi2ELb1EdPKddEviT5_lT_liPT6_PT4_: ; @_ZL24rocblas_dot_kernel_magsqIiLb0ELi512ELi2ELb1EdPKddEviT5_lT_liPT6_PT4_
; %bb.0:
	s_mov_b32 s2, s7
	s_load_dword s7, s[4:5], 0x0
	s_load_dword s10, s[4:5], 0x40
	v_lshl_or_b32 v3, s6, 9, v0
	v_mov_b32_e32 v1, 0
	s_mov_b32 s3, 0
	v_mov_b32_e32 v2, 0
	s_waitcnt lgkmcnt(0)
	v_cmp_gt_i32_e32 vcc, s7, v3
	s_and_saveexec_b64 s[0:1], vcc
	s_cbranch_execz .LBB261_4
; %bb.1:
	s_load_dwordx2 s[8:9], s[4:5], 0x20
	s_load_dwordx4 s[12:15], s[4:5], 0x8
	s_load_dword s11, s[4:5], 0x18
	s_waitcnt lgkmcnt(0)
	s_mul_i32 s9, s9, s2
	s_mul_hi_u32 s16, s8, s2
	s_mul_i32 s8, s8, s2
	s_add_i32 s9, s16, s9
	s_lshl_b64 s[8:9], s[8:9], 3
	s_add_u32 s12, s12, s8
	s_addc_u32 s13, s13, s9
	v_mad_i64_i32 v[1:2], s[8:9], v3, s11, 0
	s_lshl_b64 s[8:9], s[14:15], 3
	s_add_u32 s12, s12, s8
	v_lshlrev_b64 v[1:2], 3, v[1:2]
	s_addc_u32 s13, s13, s9
	v_mov_b32_e32 v3, s13
	v_add_co_u32_e32 v1, vcc, s12, v1
	v_addc_co_u32_e32 v2, vcc, v3, v2, vcc
	global_load_dwordx2 v[1:2], v[1:2], off
	s_add_i32 s8, s6, s10
	v_lshl_or_b32 v3, s8, 9, v0
	v_cmp_gt_i32_e32 vcc, s7, v3
	s_waitcnt vmcnt(0)
	v_mul_f64 v[1:2], v[1:2], v[1:2]
	s_and_saveexec_b64 s[8:9], vcc
	s_cbranch_execz .LBB261_3
; %bb.2:
	v_mad_i64_i32 v[3:4], s[14:15], v3, s11, 0
	v_mov_b32_e32 v5, s13
	v_lshlrev_b64 v[3:4], 3, v[3:4]
	v_add_co_u32_e32 v3, vcc, s12, v3
	v_addc_co_u32_e32 v4, vcc, v5, v4, vcc
	global_load_dwordx2 v[3:4], v[3:4], off
	s_waitcnt vmcnt(0)
	v_fma_f64 v[1:2], v[3:4], v[3:4], v[1:2]
.LBB261_3:
	s_or_b64 exec, exec, s[8:9]
.LBB261_4:
	s_or_b64 exec, exec, s[0:1]
	v_and_b32_e32 v6, 63, v0
	v_cmp_gt_u32_e32 vcc, 64, v0
	v_lshlrev_b32_e32 v5, 3, v6
	s_and_saveexec_b64 s[0:1], vcc
; %bb.5:
	v_mov_b32_e32 v3, 0
	v_mov_b32_e32 v4, v3
	ds_write_b64 v5, v[3:4]
; %bb.6:
	s_or_b64 exec, exec, s[0:1]
	v_mbcnt_lo_u32_b32 v3, -1, 0
	v_mbcnt_hi_u32_b32 v9, -1, v3
	v_mov_b32_e32 v3, 0x80
	v_lshl_or_b32 v4, v9, 2, v3
	ds_bpermute_b32 v3, v4, v1
	ds_bpermute_b32 v4, v4, v2
	v_and_b32_e32 v10, 63, v9
	v_cmp_gt_u32_e64 s[0:1], 48, v10
	s_waitcnt lgkmcnt(0)
	s_barrier
	v_add_f64 v[1:2], v[1:2], v[3:4]
	v_cndmask_b32_e64 v3, 0, 16, s[0:1]
	v_add_lshl_u32 v4, v3, v9, 2
	v_cmp_gt_u32_e64 s[0:1], 56, v10
	ds_bpermute_b32 v3, v4, v1
	ds_bpermute_b32 v4, v4, v2
	s_waitcnt lgkmcnt(0)
	v_add_f64 v[1:2], v[1:2], v[3:4]
	v_cndmask_b32_e64 v3, 0, 8, s[0:1]
	v_add_lshl_u32 v4, v3, v9, 2
	v_cmp_gt_u32_e64 s[0:1], 60, v10
	ds_bpermute_b32 v3, v4, v1
	ds_bpermute_b32 v4, v4, v2
	s_waitcnt lgkmcnt(0)
	;; [unrolled: 7-line block ×3, first 2 shown]
	v_add_f64 v[1:2], v[1:2], v[3:4]
	v_cndmask_b32_e64 v3, 0, 2, s[0:1]
	v_add_lshl_u32 v8, v3, v9, 2
	v_cmp_ne_u32_e64 s[0:1], 63, v10
	ds_bpermute_b32 v3, v8, v1
	ds_bpermute_b32 v4, v8, v2
	s_waitcnt lgkmcnt(0)
	v_add_f64 v[1:2], v[1:2], v[3:4]
	v_addc_co_u32_e64 v3, s[0:1], 0, v9, s[0:1]
	v_lshlrev_b32_e32 v9, 2, v3
	v_cmp_eq_u32_e64 s[0:1], 0, v6
	ds_bpermute_b32 v3, v9, v1
	ds_bpermute_b32 v4, v9, v2
	s_and_saveexec_b64 s[8:9], s[0:1]
	s_cbranch_execz .LBB261_8
; %bb.7:
	s_waitcnt lgkmcnt(0)
	v_add_f64 v[1:2], v[1:2], v[3:4]
	v_lshrrev_b32_e32 v3, 3, v0
	v_and_b32_e32 v3, 56, v3
	ds_write_b64 v3, v[1:2]
.LBB261_8:
	s_or_b64 exec, exec, s[8:9]
	v_mov_b32_e32 v1, 0
	v_mov_b32_e32 v2, 0
	v_cmp_gt_u32_e64 s[0:1], 8, v0
	s_waitcnt lgkmcnt(0)
	s_barrier
	s_and_saveexec_b64 s[8:9], s[0:1]
	s_cbranch_execnz .LBB261_12
; %bb.9:
	s_or_b64 exec, exec, s[8:9]
	s_and_saveexec_b64 s[0:1], vcc
	s_cbranch_execnz .LBB261_13
.LBB261_10:
	s_or_b64 exec, exec, s[0:1]
	v_cmp_eq_u32_e32 vcc, 0, v0
	s_and_saveexec_b64 s[0:1], vcc
	s_cbranch_execnz .LBB261_14
.LBB261_11:
	s_endpgm
.LBB261_12:
	ds_read_b64 v[1:2], v5
	s_or_b64 exec, exec, s[8:9]
	s_and_saveexec_b64 s[0:1], vcc
	s_cbranch_execz .LBB261_10
.LBB261_13:
	s_waitcnt lgkmcnt(0)
	ds_bpermute_b32 v3, v7, v1
	ds_bpermute_b32 v4, v7, v2
	s_waitcnt lgkmcnt(0)
	v_add_f64 v[1:2], v[1:2], v[3:4]
	ds_bpermute_b32 v3, v8, v1
	ds_bpermute_b32 v4, v8, v2
	s_waitcnt lgkmcnt(0)
	v_add_f64 v[1:2], v[1:2], v[3:4]
	;; [unrolled: 4-line block ×3, first 2 shown]
	s_or_b64 exec, exec, s[0:1]
	v_cmp_eq_u32_e32 vcc, 0, v0
	s_and_saveexec_b64 s[0:1], vcc
	s_cbranch_execz .LBB261_11
.LBB261_14:
	s_cmp_lg_u32 s10, 1
	s_mov_b64 s[0:1], -1
	s_cbranch_scc0 .LBB261_16
; %bb.15:
	s_load_dwordx2 s[0:1], s[4:5], 0x30
	s_mul_hi_u32 s9, s10, s2
	s_mul_i32 s8, s10, s2
	s_lshl_b64 s[8:9], s[8:9], 3
	s_mov_b32 s7, 0
	s_waitcnt lgkmcnt(0)
	s_add_u32 s8, s0, s8
	s_addc_u32 s9, s1, s9
	s_lshl_b64 s[0:1], s[6:7], 3
	s_add_u32 s0, s8, s0
	s_addc_u32 s1, s9, s1
	v_mov_b32_e32 v0, 0
	global_store_dwordx2 v0, v[1:2], s[0:1]
	s_mov_b64 s[0:1], 0
.LBB261_16:
	s_andn2_b64 vcc, exec, s[0:1]
	s_cbranch_vccnz .LBB261_11
; %bb.17:
	s_load_dwordx2 s[0:1], s[4:5], 0x38
	s_lshl_b64 s[2:3], s[2:3], 3
	v_mov_b32_e32 v0, 0
	s_waitcnt lgkmcnt(0)
	s_add_u32 s0, s0, s2
	s_addc_u32 s1, s1, s3
	global_store_dwordx2 v0, v[1:2], s[0:1]
	s_endpgm
	.section	.rodata,"a",@progbits
	.p2align	6, 0x0
	.amdhsa_kernel _ZL24rocblas_dot_kernel_magsqIiLb0ELi512ELi2ELb1EdPKddEviT5_lT_liPT6_PT4_
		.amdhsa_group_segment_fixed_size 512
		.amdhsa_private_segment_fixed_size 0
		.amdhsa_kernarg_size 320
		.amdhsa_user_sgpr_count 6
		.amdhsa_user_sgpr_private_segment_buffer 1
		.amdhsa_user_sgpr_dispatch_ptr 0
		.amdhsa_user_sgpr_queue_ptr 0
		.amdhsa_user_sgpr_kernarg_segment_ptr 1
		.amdhsa_user_sgpr_dispatch_id 0
		.amdhsa_user_sgpr_flat_scratch_init 0
		.amdhsa_user_sgpr_private_segment_size 0
		.amdhsa_uses_dynamic_stack 0
		.amdhsa_system_sgpr_private_segment_wavefront_offset 0
		.amdhsa_system_sgpr_workgroup_id_x 1
		.amdhsa_system_sgpr_workgroup_id_y 0
		.amdhsa_system_sgpr_workgroup_id_z 1
		.amdhsa_system_sgpr_workgroup_info 0
		.amdhsa_system_vgpr_workitem_id 0
		.amdhsa_next_free_vgpr 11
		.amdhsa_next_free_sgpr 17
		.amdhsa_reserve_vcc 1
		.amdhsa_reserve_flat_scratch 0
		.amdhsa_float_round_mode_32 0
		.amdhsa_float_round_mode_16_64 0
		.amdhsa_float_denorm_mode_32 3
		.amdhsa_float_denorm_mode_16_64 3
		.amdhsa_dx10_clamp 1
		.amdhsa_ieee_mode 1
		.amdhsa_fp16_overflow 0
		.amdhsa_exception_fp_ieee_invalid_op 0
		.amdhsa_exception_fp_denorm_src 0
		.amdhsa_exception_fp_ieee_div_zero 0
		.amdhsa_exception_fp_ieee_overflow 0
		.amdhsa_exception_fp_ieee_underflow 0
		.amdhsa_exception_fp_ieee_inexact 0
		.amdhsa_exception_int_div_zero 0
	.end_amdhsa_kernel
	.section	.text._ZL24rocblas_dot_kernel_magsqIiLb0ELi512ELi2ELb1EdPKddEviT5_lT_liPT6_PT4_,"axG",@progbits,_ZL24rocblas_dot_kernel_magsqIiLb0ELi512ELi2ELb1EdPKddEviT5_lT_liPT6_PT4_,comdat
.Lfunc_end261:
	.size	_ZL24rocblas_dot_kernel_magsqIiLb0ELi512ELi2ELb1EdPKddEviT5_lT_liPT6_PT4_, .Lfunc_end261-_ZL24rocblas_dot_kernel_magsqIiLb0ELi512ELi2ELb1EdPKddEviT5_lT_liPT6_PT4_
                                        ; -- End function
	.set _ZL24rocblas_dot_kernel_magsqIiLb0ELi512ELi2ELb1EdPKddEviT5_lT_liPT6_PT4_.num_vgpr, 11
	.set _ZL24rocblas_dot_kernel_magsqIiLb0ELi512ELi2ELb1EdPKddEviT5_lT_liPT6_PT4_.num_agpr, 0
	.set _ZL24rocblas_dot_kernel_magsqIiLb0ELi512ELi2ELb1EdPKddEviT5_lT_liPT6_PT4_.numbered_sgpr, 17
	.set _ZL24rocblas_dot_kernel_magsqIiLb0ELi512ELi2ELb1EdPKddEviT5_lT_liPT6_PT4_.num_named_barrier, 0
	.set _ZL24rocblas_dot_kernel_magsqIiLb0ELi512ELi2ELb1EdPKddEviT5_lT_liPT6_PT4_.private_seg_size, 0
	.set _ZL24rocblas_dot_kernel_magsqIiLb0ELi512ELi2ELb1EdPKddEviT5_lT_liPT6_PT4_.uses_vcc, 1
	.set _ZL24rocblas_dot_kernel_magsqIiLb0ELi512ELi2ELb1EdPKddEviT5_lT_liPT6_PT4_.uses_flat_scratch, 0
	.set _ZL24rocblas_dot_kernel_magsqIiLb0ELi512ELi2ELb1EdPKddEviT5_lT_liPT6_PT4_.has_dyn_sized_stack, 0
	.set _ZL24rocblas_dot_kernel_magsqIiLb0ELi512ELi2ELb1EdPKddEviT5_lT_liPT6_PT4_.has_recursion, 0
	.set _ZL24rocblas_dot_kernel_magsqIiLb0ELi512ELi2ELb1EdPKddEviT5_lT_liPT6_PT4_.has_indirect_call, 0
	.section	.AMDGPU.csdata,"",@progbits
; Kernel info:
; codeLenInByte = 960
; TotalNumSgprs: 21
; NumVgprs: 11
; ScratchSize: 0
; MemoryBound: 0
; FloatMode: 240
; IeeeMode: 1
; LDSByteSize: 512 bytes/workgroup (compile time only)
; SGPRBlocks: 2
; VGPRBlocks: 2
; NumSGPRsForWavesPerEU: 21
; NumVGPRsForWavesPerEU: 11
; Occupancy: 10
; WaveLimiterHint : 0
; COMPUTE_PGM_RSRC2:SCRATCH_EN: 0
; COMPUTE_PGM_RSRC2:USER_SGPR: 6
; COMPUTE_PGM_RSRC2:TRAP_HANDLER: 0
; COMPUTE_PGM_RSRC2:TGID_X_EN: 1
; COMPUTE_PGM_RSRC2:TGID_Y_EN: 0
; COMPUTE_PGM_RSRC2:TGID_Z_EN: 1
; COMPUTE_PGM_RSRC2:TIDIG_COMP_CNT: 0
	.section	.text._ZL30rocblas_reduction_kernel_part2ILi512ELi2E25rocblas_finalize_identityddEviPT2_PT3_,"axG",@progbits,_ZL30rocblas_reduction_kernel_part2ILi512ELi2E25rocblas_finalize_identityddEviPT2_PT3_,comdat
	.globl	_ZL30rocblas_reduction_kernel_part2ILi512ELi2E25rocblas_finalize_identityddEviPT2_PT3_ ; -- Begin function _ZL30rocblas_reduction_kernel_part2ILi512ELi2E25rocblas_finalize_identityddEviPT2_PT3_
	.p2align	8
	.type	_ZL30rocblas_reduction_kernel_part2ILi512ELi2E25rocblas_finalize_identityddEviPT2_PT3_,@function
_ZL30rocblas_reduction_kernel_part2ILi512ELi2E25rocblas_finalize_identityddEviPT2_PT3_: ; @_ZL30rocblas_reduction_kernel_part2ILi512ELi2E25rocblas_finalize_identityddEviPT2_PT3_
; %bb.0:
	s_load_dword s14, s[4:5], 0x0
	s_load_dwordx4 s[8:11], s[4:5], 0x8
	v_lshlrev_b32_e32 v5, 1, v0
	v_mov_b32_e32 v1, 0
	s_mov_b32 s7, 0
	s_waitcnt lgkmcnt(0)
	s_ashr_i32 s0, s14, 31
	s_mul_hi_u32 s1, s14, s6
	s_mul_i32 s0, s0, s6
	s_add_i32 s3, s1, s0
	s_lshr_b32 s0, s14, 31
	s_add_i32 s0, s14, s0
	s_and_b32 s15, s0, -2
	s_mul_i32 s2, s14, s6
	v_mov_b32_e32 v2, 0
	v_cmp_gt_i32_e32 vcc, s15, v5
	s_and_saveexec_b64 s[4:5], vcc
	s_cbranch_execz .LBB262_4
; %bb.1:
	s_lshl_b64 s[0:1], s[2:3], 3
	s_add_u32 s0, s8, s0
	v_lshlrev_b32_e32 v1, 4, v0
	s_addc_u32 s1, s9, s1
	v_mov_b32_e32 v2, s1
	v_add_co_u32_e32 v1, vcc, s0, v1
	v_addc_co_u32_e32 v2, vcc, 0, v2, vcc
	v_add_co_u32_e32 v3, vcc, 8, v1
	v_addc_co_u32_e32 v4, vcc, 0, v2, vcc
	v_mov_b32_e32 v1, 0
	v_mov_b32_e32 v2, 0
	s_mov_b64 s[12:13], 0
.LBB262_2:                              ; =>This Inner Loop Header: Depth=1
	global_load_dwordx4 v[6:9], v[3:4], off offset:-8
	v_add_u32_e32 v5, 0x400, v5
	v_add_co_u32_e32 v3, vcc, 0x2000, v3
	v_cmp_le_i32_e64 s[0:1], s15, v5
	s_or_b64 s[12:13], s[0:1], s[12:13]
	v_addc_co_u32_e32 v4, vcc, 0, v4, vcc
	s_waitcnt vmcnt(0)
	v_add_f64 v[1:2], v[1:2], v[6:7]
	v_add_f64 v[1:2], v[1:2], v[8:9]
	s_andn2_b64 exec, exec, s[12:13]
	s_cbranch_execnz .LBB262_2
; %bb.3:
	s_or_b64 exec, exec, s[12:13]
.LBB262_4:
	s_or_b64 exec, exec, s[4:5]
	s_sub_i32 s0, s14, s15
	v_cmp_gt_u32_e32 vcc, s0, v0
	s_and_saveexec_b64 s[0:1], vcc
	s_cbranch_execz .LBB262_6
; %bb.5:
	s_lshl_b64 s[2:3], s[2:3], 3
	v_xad_u32 v3, v0, -1, s14
	v_mov_b32_e32 v4, 0
	s_add_u32 s2, s8, s2
	v_lshlrev_b64 v[3:4], 3, v[3:4]
	s_addc_u32 s3, s9, s3
	v_mov_b32_e32 v5, s3
	v_add_co_u32_e32 v3, vcc, s2, v3
	v_addc_co_u32_e32 v4, vcc, v5, v4, vcc
	global_load_dwordx2 v[3:4], v[3:4], off
	s_waitcnt vmcnt(0)
	v_add_f64 v[1:2], v[1:2], v[3:4]
.LBB262_6:
	s_or_b64 exec, exec, s[0:1]
	v_and_b32_e32 v6, 63, v0
	v_cmp_gt_u32_e32 vcc, 64, v0
	v_lshlrev_b32_e32 v5, 3, v6
	s_and_saveexec_b64 s[0:1], vcc
; %bb.7:
	v_mov_b32_e32 v3, 0
	v_mov_b32_e32 v4, v3
	ds_write_b64 v5, v[3:4]
; %bb.8:
	s_or_b64 exec, exec, s[0:1]
	v_mbcnt_lo_u32_b32 v3, -1, 0
	v_mbcnt_hi_u32_b32 v9, -1, v3
	v_mov_b32_e32 v3, 0x80
	v_lshl_or_b32 v4, v9, 2, v3
	ds_bpermute_b32 v3, v4, v1
	ds_bpermute_b32 v4, v4, v2
	v_and_b32_e32 v10, 63, v9
	v_cmp_gt_u32_e64 s[0:1], 48, v10
	s_waitcnt lgkmcnt(0)
	s_barrier
	v_add_f64 v[1:2], v[1:2], v[3:4]
	v_cndmask_b32_e64 v3, 0, 16, s[0:1]
	v_add_lshl_u32 v4, v3, v9, 2
	v_cmp_gt_u32_e64 s[0:1], 56, v10
	ds_bpermute_b32 v3, v4, v1
	ds_bpermute_b32 v4, v4, v2
	s_waitcnt lgkmcnt(0)
	v_add_f64 v[1:2], v[1:2], v[3:4]
	v_cndmask_b32_e64 v3, 0, 8, s[0:1]
	v_add_lshl_u32 v4, v3, v9, 2
	v_cmp_gt_u32_e64 s[0:1], 60, v10
	ds_bpermute_b32 v3, v4, v1
	ds_bpermute_b32 v4, v4, v2
	s_waitcnt lgkmcnt(0)
	;; [unrolled: 7-line block ×3, first 2 shown]
	v_add_f64 v[1:2], v[1:2], v[3:4]
	v_cndmask_b32_e64 v3, 0, 2, s[0:1]
	v_add_lshl_u32 v8, v3, v9, 2
	v_cmp_ne_u32_e64 s[0:1], 63, v10
	ds_bpermute_b32 v3, v8, v1
	ds_bpermute_b32 v4, v8, v2
	s_waitcnt lgkmcnt(0)
	v_add_f64 v[1:2], v[1:2], v[3:4]
	v_addc_co_u32_e64 v3, s[0:1], 0, v9, s[0:1]
	v_lshlrev_b32_e32 v9, 2, v3
	v_cmp_eq_u32_e64 s[0:1], 0, v6
	ds_bpermute_b32 v3, v9, v1
	ds_bpermute_b32 v4, v9, v2
	s_and_saveexec_b64 s[2:3], s[0:1]
	s_cbranch_execz .LBB262_10
; %bb.9:
	s_waitcnt lgkmcnt(0)
	v_add_f64 v[1:2], v[1:2], v[3:4]
	v_lshrrev_b32_e32 v3, 3, v0
	v_and_b32_e32 v3, 56, v3
	ds_write_b64 v3, v[1:2]
.LBB262_10:
	s_or_b64 exec, exec, s[2:3]
	v_mov_b32_e32 v1, 0
	v_mov_b32_e32 v2, 0
	v_cmp_gt_u32_e64 s[0:1], 8, v0
	s_waitcnt lgkmcnt(0)
	s_barrier
	s_and_saveexec_b64 s[2:3], s[0:1]
	s_cbranch_execnz .LBB262_14
; %bb.11:
	s_or_b64 exec, exec, s[2:3]
	s_and_saveexec_b64 s[0:1], vcc
	s_cbranch_execnz .LBB262_15
.LBB262_12:
	s_or_b64 exec, exec, s[0:1]
	v_cmp_eq_u32_e32 vcc, 0, v0
	s_and_saveexec_b64 s[0:1], vcc
	s_cbranch_execnz .LBB262_16
.LBB262_13:
	s_endpgm
.LBB262_14:
	ds_read_b64 v[1:2], v5
	s_or_b64 exec, exec, s[2:3]
	s_and_saveexec_b64 s[0:1], vcc
	s_cbranch_execz .LBB262_12
.LBB262_15:
	s_waitcnt lgkmcnt(0)
	ds_bpermute_b32 v3, v7, v1
	ds_bpermute_b32 v4, v7, v2
	s_waitcnt lgkmcnt(0)
	v_add_f64 v[1:2], v[1:2], v[3:4]
	ds_bpermute_b32 v3, v8, v1
	ds_bpermute_b32 v4, v8, v2
	s_waitcnt lgkmcnt(0)
	v_add_f64 v[1:2], v[1:2], v[3:4]
	;; [unrolled: 4-line block ×3, first 2 shown]
	s_or_b64 exec, exec, s[0:1]
	v_cmp_eq_u32_e32 vcc, 0, v0
	s_and_saveexec_b64 s[0:1], vcc
	s_cbranch_execz .LBB262_13
.LBB262_16:
	s_lshl_b64 s[0:1], s[6:7], 3
	s_add_u32 s0, s10, s0
	s_addc_u32 s1, s11, s1
	v_mov_b32_e32 v0, 0
	s_waitcnt lgkmcnt(0)
	global_store_dwordx2 v0, v[1:2], s[0:1]
	s_endpgm
	.section	.rodata,"a",@progbits
	.p2align	6, 0x0
	.amdhsa_kernel _ZL30rocblas_reduction_kernel_part2ILi512ELi2E25rocblas_finalize_identityddEviPT2_PT3_
		.amdhsa_group_segment_fixed_size 512
		.amdhsa_private_segment_fixed_size 0
		.amdhsa_kernarg_size 24
		.amdhsa_user_sgpr_count 6
		.amdhsa_user_sgpr_private_segment_buffer 1
		.amdhsa_user_sgpr_dispatch_ptr 0
		.amdhsa_user_sgpr_queue_ptr 0
		.amdhsa_user_sgpr_kernarg_segment_ptr 1
		.amdhsa_user_sgpr_dispatch_id 0
		.amdhsa_user_sgpr_flat_scratch_init 0
		.amdhsa_user_sgpr_private_segment_size 0
		.amdhsa_uses_dynamic_stack 0
		.amdhsa_system_sgpr_private_segment_wavefront_offset 0
		.amdhsa_system_sgpr_workgroup_id_x 1
		.amdhsa_system_sgpr_workgroup_id_y 0
		.amdhsa_system_sgpr_workgroup_id_z 0
		.amdhsa_system_sgpr_workgroup_info 0
		.amdhsa_system_vgpr_workitem_id 0
		.amdhsa_next_free_vgpr 11
		.amdhsa_next_free_sgpr 16
		.amdhsa_reserve_vcc 1
		.amdhsa_reserve_flat_scratch 0
		.amdhsa_float_round_mode_32 0
		.amdhsa_float_round_mode_16_64 0
		.amdhsa_float_denorm_mode_32 3
		.amdhsa_float_denorm_mode_16_64 3
		.amdhsa_dx10_clamp 1
		.amdhsa_ieee_mode 1
		.amdhsa_fp16_overflow 0
		.amdhsa_exception_fp_ieee_invalid_op 0
		.amdhsa_exception_fp_denorm_src 0
		.amdhsa_exception_fp_ieee_div_zero 0
		.amdhsa_exception_fp_ieee_overflow 0
		.amdhsa_exception_fp_ieee_underflow 0
		.amdhsa_exception_fp_ieee_inexact 0
		.amdhsa_exception_int_div_zero 0
	.end_amdhsa_kernel
	.section	.text._ZL30rocblas_reduction_kernel_part2ILi512ELi2E25rocblas_finalize_identityddEviPT2_PT3_,"axG",@progbits,_ZL30rocblas_reduction_kernel_part2ILi512ELi2E25rocblas_finalize_identityddEviPT2_PT3_,comdat
.Lfunc_end262:
	.size	_ZL30rocblas_reduction_kernel_part2ILi512ELi2E25rocblas_finalize_identityddEviPT2_PT3_, .Lfunc_end262-_ZL30rocblas_reduction_kernel_part2ILi512ELi2E25rocblas_finalize_identityddEviPT2_PT3_
                                        ; -- End function
	.set _ZL30rocblas_reduction_kernel_part2ILi512ELi2E25rocblas_finalize_identityddEviPT2_PT3_.num_vgpr, 11
	.set _ZL30rocblas_reduction_kernel_part2ILi512ELi2E25rocblas_finalize_identityddEviPT2_PT3_.num_agpr, 0
	.set _ZL30rocblas_reduction_kernel_part2ILi512ELi2E25rocblas_finalize_identityddEviPT2_PT3_.numbered_sgpr, 16
	.set _ZL30rocblas_reduction_kernel_part2ILi512ELi2E25rocblas_finalize_identityddEviPT2_PT3_.num_named_barrier, 0
	.set _ZL30rocblas_reduction_kernel_part2ILi512ELi2E25rocblas_finalize_identityddEviPT2_PT3_.private_seg_size, 0
	.set _ZL30rocblas_reduction_kernel_part2ILi512ELi2E25rocblas_finalize_identityddEviPT2_PT3_.uses_vcc, 1
	.set _ZL30rocblas_reduction_kernel_part2ILi512ELi2E25rocblas_finalize_identityddEviPT2_PT3_.uses_flat_scratch, 0
	.set _ZL30rocblas_reduction_kernel_part2ILi512ELi2E25rocblas_finalize_identityddEviPT2_PT3_.has_dyn_sized_stack, 0
	.set _ZL30rocblas_reduction_kernel_part2ILi512ELi2E25rocblas_finalize_identityddEviPT2_PT3_.has_recursion, 0
	.set _ZL30rocblas_reduction_kernel_part2ILi512ELi2E25rocblas_finalize_identityddEviPT2_PT3_.has_indirect_call, 0
	.section	.AMDGPU.csdata,"",@progbits
; Kernel info:
; codeLenInByte = 904
; TotalNumSgprs: 20
; NumVgprs: 11
; ScratchSize: 0
; MemoryBound: 0
; FloatMode: 240
; IeeeMode: 1
; LDSByteSize: 512 bytes/workgroup (compile time only)
; SGPRBlocks: 2
; VGPRBlocks: 2
; NumSGPRsForWavesPerEU: 20
; NumVGPRsForWavesPerEU: 11
; Occupancy: 10
; WaveLimiterHint : 0
; COMPUTE_PGM_RSRC2:SCRATCH_EN: 0
; COMPUTE_PGM_RSRC2:USER_SGPR: 6
; COMPUTE_PGM_RSRC2:TRAP_HANDLER: 0
; COMPUTE_PGM_RSRC2:TGID_X_EN: 1
; COMPUTE_PGM_RSRC2:TGID_Y_EN: 0
; COMPUTE_PGM_RSRC2:TGID_Z_EN: 0
; COMPUTE_PGM_RSRC2:TIDIG_COMP_CNT: 0
	.section	.text._ZL28rocblas_dot_batched_4_kernelIiLi32ELi4ELb1EddPKPKdEviT5_lT_lS4_lS5_liPT4_,"axG",@progbits,_ZL28rocblas_dot_batched_4_kernelIiLi32ELi4ELb1EddPKPKdEviT5_lT_lS4_lS5_liPT4_,comdat
	.globl	_ZL28rocblas_dot_batched_4_kernelIiLi32ELi4ELb1EddPKPKdEviT5_lT_lS4_lS5_liPT4_ ; -- Begin function _ZL28rocblas_dot_batched_4_kernelIiLi32ELi4ELb1EddPKPKdEviT5_lT_lS4_lS5_liPT4_
	.p2align	8
	.type	_ZL28rocblas_dot_batched_4_kernelIiLi32ELi4ELb1EddPKPKdEviT5_lT_lS4_lS5_liPT4_,@function
_ZL28rocblas_dot_batched_4_kernelIiLi32ELi4ELb1EddPKPKdEviT5_lT_lS4_lS5_liPT4_: ; @_ZL28rocblas_dot_batched_4_kernelIiLi32ELi4ELb1EddPKPKdEviT5_lT_lS4_lS5_liPT4_
; %bb.0:
	s_load_dword s0, s[4:5], 0x48
	v_lshl_add_u32 v1, s6, 2, v1
	s_waitcnt lgkmcnt(0)
	v_cmp_gt_u32_e32 vcc, s0, v1
	s_and_saveexec_b64 s[0:1], vcc
	s_cbranch_execz .LBB263_7
; %bb.1:
	s_load_dword s14, s[4:5], 0x0
	s_load_dwordx2 s[6:7], s[4:5], 0x50
	v_mov_b32_e32 v2, 0
	v_mov_b32_e32 v3, 0
	v_lshlrev_b64 v[1:2], 3, v[1:2]
	v_mov_b32_e32 v4, 0
	s_waitcnt lgkmcnt(0)
	v_cmp_gt_i32_e32 vcc, s14, v0
	s_and_saveexec_b64 s[12:13], vcc
	s_cbranch_execz .LBB263_5
; %bb.2:
	s_load_dwordx4 s[0:3], s[4:5], 0x8
	s_load_dwordx4 s[8:11], s[4:5], 0x28
	s_load_dword s16, s[4:5], 0x18
	s_waitcnt lgkmcnt(0)
	v_mov_b32_e32 v4, s1
	v_add_co_u32_e32 v3, vcc, s0, v1
	v_addc_co_u32_e32 v4, vcc, v4, v2, vcc
	global_load_dwordx2 v[5:6], v[3:4], off
	v_mov_b32_e32 v4, s9
	v_add_co_u32_e32 v3, vcc, s8, v1
	v_addc_co_u32_e32 v4, vcc, v4, v2, vcc
	global_load_dwordx2 v[7:8], v[3:4], off
	s_load_dword s0, s[4:5], 0x38
	v_mad_i64_i32 v[9:10], s[8:9], s16, v0, 0
	s_lshl_b64 s[18:19], s[2:3], 3
	v_mov_b32_e32 v13, s19
	s_waitcnt lgkmcnt(0)
	v_mad_i64_i32 v[11:12], s[2:3], s0, v0, 0
	v_lshlrev_b64 v[9:10], 3, v[9:10]
	s_lshl_b64 s[10:11], s[10:11], 3
	v_lshlrev_b64 v[11:12], 3, v[11:12]
	v_add_co_u32_e32 v9, vcc, s18, v9
	v_addc_co_u32_e32 v10, vcc, v10, v13, vcc
	v_mov_b32_e32 v14, s11
	v_add_co_u32_e32 v11, vcc, s10, v11
	v_addc_co_u32_e32 v12, vcc, v12, v14, vcc
	v_mov_b32_e32 v3, 0
	s_ashr_i32 s17, s16, 31
	s_ashr_i32 s1, s0, 31
	v_mov_b32_e32 v4, 0
	s_mov_b64 s[4:5], 0
	s_lshl_b64 s[2:3], s[16:17], 8
	s_lshl_b64 s[8:9], s[0:1], 8
	s_waitcnt vmcnt(1)
	v_add_co_u32_e32 v5, vcc, v5, v9
	v_addc_co_u32_e32 v6, vcc, v6, v10, vcc
	v_mov_b32_e32 v9, v0
	s_waitcnt vmcnt(0)
	v_add_co_u32_e32 v7, vcc, v7, v11
	v_addc_co_u32_e32 v8, vcc, v8, v12, vcc
.LBB263_3:                              ; =>This Inner Loop Header: Depth=1
	flat_load_dwordx2 v[10:11], v[5:6]
	flat_load_dwordx2 v[12:13], v[7:8]
	v_mov_b32_e32 v14, s3
	v_add_co_u32_e64 v5, s[0:1], s2, v5
	v_add_u32_e32 v9, 32, v9
	v_addc_co_u32_e64 v6, s[0:1], v6, v14, s[0:1]
	v_mov_b32_e32 v15, s9
	v_add_co_u32_e32 v7, vcc, s8, v7
	v_cmp_le_i32_e64 s[0:1], s14, v9
	s_or_b64 s[4:5], s[0:1], s[4:5]
	v_addc_co_u32_e32 v8, vcc, v8, v15, vcc
	s_waitcnt vmcnt(0) lgkmcnt(0)
	v_fma_f64 v[3:4], v[10:11], v[12:13], v[3:4]
	s_andn2_b64 exec, exec, s[4:5]
	s_cbranch_execnz .LBB263_3
; %bb.4:
	s_or_b64 exec, exec, s[4:5]
.LBB263_5:
	s_or_b64 exec, exec, s[12:13]
	v_mbcnt_lo_u32_b32 v5, -1, 0
	v_mbcnt_hi_u32_b32 v7, -1, v5
	v_and_b32_e32 v8, 63, v7
	v_cmp_gt_u32_e32 vcc, 48, v8
	v_cndmask_b32_e64 v5, 0, 16, vcc
	v_add_lshl_u32 v6, v5, v7, 2
	ds_bpermute_b32 v5, v6, v3
	ds_bpermute_b32 v6, v6, v4
	v_cmp_gt_u32_e32 vcc, 56, v8
	s_waitcnt lgkmcnt(0)
	s_barrier
	v_add_f64 v[3:4], v[3:4], v[5:6]
	v_cndmask_b32_e64 v5, 0, 8, vcc
	v_add_lshl_u32 v6, v5, v7, 2
	v_cmp_gt_u32_e32 vcc, 60, v8
	ds_bpermute_b32 v5, v6, v3
	ds_bpermute_b32 v6, v6, v4
	s_waitcnt lgkmcnt(0)
	v_add_f64 v[3:4], v[3:4], v[5:6]
	v_cndmask_b32_e64 v5, 0, 4, vcc
	v_add_lshl_u32 v6, v5, v7, 2
	v_cmp_gt_u32_e32 vcc, 62, v8
	ds_bpermute_b32 v5, v6, v3
	ds_bpermute_b32 v6, v6, v4
	s_waitcnt lgkmcnt(0)
	v_add_f64 v[3:4], v[3:4], v[5:6]
	v_cndmask_b32_e64 v5, 0, 2, vcc
	v_add_lshl_u32 v6, v5, v7, 2
	v_cmp_ne_u32_e32 vcc, 63, v8
	ds_bpermute_b32 v5, v6, v3
	ds_bpermute_b32 v6, v6, v4
	s_waitcnt lgkmcnt(0)
	v_add_f64 v[3:4], v[3:4], v[5:6]
	v_addc_co_u32_e32 v5, vcc, 0, v7, vcc
	v_lshlrev_b32_e32 v6, 2, v5
	v_cmp_eq_u32_e32 vcc, 0, v0
	ds_bpermute_b32 v5, v6, v3
	ds_bpermute_b32 v6, v6, v4
	s_and_b64 exec, exec, vcc
	s_cbranch_execz .LBB263_7
; %bb.6:
	s_waitcnt lgkmcnt(0)
	v_add_f64 v[3:4], v[3:4], v[5:6]
	v_mov_b32_e32 v5, s7
	v_add_co_u32_e32 v0, vcc, s6, v1
	v_addc_co_u32_e32 v1, vcc, v5, v2, vcc
	global_store_dwordx2 v[0:1], v[3:4], off
.LBB263_7:
	s_endpgm
	.section	.rodata,"a",@progbits
	.p2align	6, 0x0
	.amdhsa_kernel _ZL28rocblas_dot_batched_4_kernelIiLi32ELi4ELb1EddPKPKdEviT5_lT_lS4_lS5_liPT4_
		.amdhsa_group_segment_fixed_size 0
		.amdhsa_private_segment_fixed_size 0
		.amdhsa_kernarg_size 88
		.amdhsa_user_sgpr_count 6
		.amdhsa_user_sgpr_private_segment_buffer 1
		.amdhsa_user_sgpr_dispatch_ptr 0
		.amdhsa_user_sgpr_queue_ptr 0
		.amdhsa_user_sgpr_kernarg_segment_ptr 1
		.amdhsa_user_sgpr_dispatch_id 0
		.amdhsa_user_sgpr_flat_scratch_init 0
		.amdhsa_user_sgpr_private_segment_size 0
		.amdhsa_uses_dynamic_stack 0
		.amdhsa_system_sgpr_private_segment_wavefront_offset 0
		.amdhsa_system_sgpr_workgroup_id_x 1
		.amdhsa_system_sgpr_workgroup_id_y 0
		.amdhsa_system_sgpr_workgroup_id_z 0
		.amdhsa_system_sgpr_workgroup_info 0
		.amdhsa_system_vgpr_workitem_id 1
		.amdhsa_next_free_vgpr 16
		.amdhsa_next_free_sgpr 20
		.amdhsa_reserve_vcc 1
		.amdhsa_reserve_flat_scratch 0
		.amdhsa_float_round_mode_32 0
		.amdhsa_float_round_mode_16_64 0
		.amdhsa_float_denorm_mode_32 3
		.amdhsa_float_denorm_mode_16_64 3
		.amdhsa_dx10_clamp 1
		.amdhsa_ieee_mode 1
		.amdhsa_fp16_overflow 0
		.amdhsa_exception_fp_ieee_invalid_op 0
		.amdhsa_exception_fp_denorm_src 0
		.amdhsa_exception_fp_ieee_div_zero 0
		.amdhsa_exception_fp_ieee_overflow 0
		.amdhsa_exception_fp_ieee_underflow 0
		.amdhsa_exception_fp_ieee_inexact 0
		.amdhsa_exception_int_div_zero 0
	.end_amdhsa_kernel
	.section	.text._ZL28rocblas_dot_batched_4_kernelIiLi32ELi4ELb1EddPKPKdEviT5_lT_lS4_lS5_liPT4_,"axG",@progbits,_ZL28rocblas_dot_batched_4_kernelIiLi32ELi4ELb1EddPKPKdEviT5_lT_lS4_lS5_liPT4_,comdat
.Lfunc_end263:
	.size	_ZL28rocblas_dot_batched_4_kernelIiLi32ELi4ELb1EddPKPKdEviT5_lT_lS4_lS5_liPT4_, .Lfunc_end263-_ZL28rocblas_dot_batched_4_kernelIiLi32ELi4ELb1EddPKPKdEviT5_lT_lS4_lS5_liPT4_
                                        ; -- End function
	.set _ZL28rocblas_dot_batched_4_kernelIiLi32ELi4ELb1EddPKPKdEviT5_lT_lS4_lS5_liPT4_.num_vgpr, 16
	.set _ZL28rocblas_dot_batched_4_kernelIiLi32ELi4ELb1EddPKPKdEviT5_lT_lS4_lS5_liPT4_.num_agpr, 0
	.set _ZL28rocblas_dot_batched_4_kernelIiLi32ELi4ELb1EddPKPKdEviT5_lT_lS4_lS5_liPT4_.numbered_sgpr, 20
	.set _ZL28rocblas_dot_batched_4_kernelIiLi32ELi4ELb1EddPKPKdEviT5_lT_lS4_lS5_liPT4_.num_named_barrier, 0
	.set _ZL28rocblas_dot_batched_4_kernelIiLi32ELi4ELb1EddPKPKdEviT5_lT_lS4_lS5_liPT4_.private_seg_size, 0
	.set _ZL28rocblas_dot_batched_4_kernelIiLi32ELi4ELb1EddPKPKdEviT5_lT_lS4_lS5_liPT4_.uses_vcc, 1
	.set _ZL28rocblas_dot_batched_4_kernelIiLi32ELi4ELb1EddPKPKdEviT5_lT_lS4_lS5_liPT4_.uses_flat_scratch, 0
	.set _ZL28rocblas_dot_batched_4_kernelIiLi32ELi4ELb1EddPKPKdEviT5_lT_lS4_lS5_liPT4_.has_dyn_sized_stack, 0
	.set _ZL28rocblas_dot_batched_4_kernelIiLi32ELi4ELb1EddPKPKdEviT5_lT_lS4_lS5_liPT4_.has_recursion, 0
	.set _ZL28rocblas_dot_batched_4_kernelIiLi32ELi4ELb1EddPKPKdEviT5_lT_lS4_lS5_liPT4_.has_indirect_call, 0
	.section	.AMDGPU.csdata,"",@progbits
; Kernel info:
; codeLenInByte = 668
; TotalNumSgprs: 24
; NumVgprs: 16
; ScratchSize: 0
; MemoryBound: 0
; FloatMode: 240
; IeeeMode: 1
; LDSByteSize: 0 bytes/workgroup (compile time only)
; SGPRBlocks: 2
; VGPRBlocks: 3
; NumSGPRsForWavesPerEU: 24
; NumVGPRsForWavesPerEU: 16
; Occupancy: 10
; WaveLimiterHint : 0
; COMPUTE_PGM_RSRC2:SCRATCH_EN: 0
; COMPUTE_PGM_RSRC2:USER_SGPR: 6
; COMPUTE_PGM_RSRC2:TRAP_HANDLER: 0
; COMPUTE_PGM_RSRC2:TGID_X_EN: 1
; COMPUTE_PGM_RSRC2:TGID_Y_EN: 0
; COMPUTE_PGM_RSRC2:TGID_Z_EN: 0
; COMPUTE_PGM_RSRC2:TIDIG_COMP_CNT: 1
	.section	.text._ZL28rocblas_dot_batched_4_kernelIiLi64ELi4ELb1EddPKPKdEviT5_lT_lS4_lS5_liPT4_,"axG",@progbits,_ZL28rocblas_dot_batched_4_kernelIiLi64ELi4ELb1EddPKPKdEviT5_lT_lS4_lS5_liPT4_,comdat
	.globl	_ZL28rocblas_dot_batched_4_kernelIiLi64ELi4ELb1EddPKPKdEviT5_lT_lS4_lS5_liPT4_ ; -- Begin function _ZL28rocblas_dot_batched_4_kernelIiLi64ELi4ELb1EddPKPKdEviT5_lT_lS4_lS5_liPT4_
	.p2align	8
	.type	_ZL28rocblas_dot_batched_4_kernelIiLi64ELi4ELb1EddPKPKdEviT5_lT_lS4_lS5_liPT4_,@function
_ZL28rocblas_dot_batched_4_kernelIiLi64ELi4ELb1EddPKPKdEviT5_lT_lS4_lS5_liPT4_: ; @_ZL28rocblas_dot_batched_4_kernelIiLi64ELi4ELb1EddPKPKdEviT5_lT_lS4_lS5_liPT4_
; %bb.0:
	s_load_dword s0, s[4:5], 0x48
	v_lshl_add_u32 v1, s6, 2, v1
	s_waitcnt lgkmcnt(0)
	v_cmp_gt_u32_e32 vcc, s0, v1
	s_and_saveexec_b64 s[0:1], vcc
	s_cbranch_execz .LBB264_7
; %bb.1:
	s_load_dword s14, s[4:5], 0x0
	s_load_dwordx2 s[6:7], s[4:5], 0x50
	v_mov_b32_e32 v2, 0
	v_mov_b32_e32 v3, 0
	v_lshlrev_b64 v[1:2], 3, v[1:2]
	v_mov_b32_e32 v4, 0
	s_waitcnt lgkmcnt(0)
	v_cmp_gt_i32_e32 vcc, s14, v0
	s_and_saveexec_b64 s[12:13], vcc
	s_cbranch_execz .LBB264_5
; %bb.2:
	s_load_dwordx4 s[0:3], s[4:5], 0x8
	s_load_dwordx4 s[8:11], s[4:5], 0x28
	s_load_dword s16, s[4:5], 0x18
	s_waitcnt lgkmcnt(0)
	v_mov_b32_e32 v4, s1
	v_add_co_u32_e32 v3, vcc, s0, v1
	v_addc_co_u32_e32 v4, vcc, v4, v2, vcc
	global_load_dwordx2 v[5:6], v[3:4], off
	v_mov_b32_e32 v4, s9
	v_add_co_u32_e32 v3, vcc, s8, v1
	v_addc_co_u32_e32 v4, vcc, v4, v2, vcc
	global_load_dwordx2 v[7:8], v[3:4], off
	s_load_dword s0, s[4:5], 0x38
	v_mad_i64_i32 v[9:10], s[8:9], s16, v0, 0
	s_lshl_b64 s[18:19], s[2:3], 3
	v_mov_b32_e32 v13, s19
	s_waitcnt lgkmcnt(0)
	v_mad_i64_i32 v[11:12], s[2:3], s0, v0, 0
	v_lshlrev_b64 v[9:10], 3, v[9:10]
	s_lshl_b64 s[10:11], s[10:11], 3
	v_lshlrev_b64 v[11:12], 3, v[11:12]
	v_add_co_u32_e32 v9, vcc, s18, v9
	v_addc_co_u32_e32 v10, vcc, v10, v13, vcc
	v_mov_b32_e32 v14, s11
	v_add_co_u32_e32 v11, vcc, s10, v11
	v_addc_co_u32_e32 v12, vcc, v12, v14, vcc
	v_mov_b32_e32 v3, 0
	s_ashr_i32 s17, s16, 31
	s_ashr_i32 s1, s0, 31
	v_mov_b32_e32 v4, 0
	s_mov_b64 s[4:5], 0
	s_lshl_b64 s[2:3], s[16:17], 9
	s_lshl_b64 s[8:9], s[0:1], 9
	s_waitcnt vmcnt(1)
	v_add_co_u32_e32 v5, vcc, v5, v9
	v_addc_co_u32_e32 v6, vcc, v6, v10, vcc
	v_mov_b32_e32 v9, v0
	s_waitcnt vmcnt(0)
	v_add_co_u32_e32 v7, vcc, v7, v11
	v_addc_co_u32_e32 v8, vcc, v8, v12, vcc
.LBB264_3:                              ; =>This Inner Loop Header: Depth=1
	flat_load_dwordx2 v[10:11], v[5:6]
	flat_load_dwordx2 v[12:13], v[7:8]
	v_mov_b32_e32 v14, s3
	v_add_co_u32_e64 v5, s[0:1], s2, v5
	v_add_u32_e32 v9, 64, v9
	v_addc_co_u32_e64 v6, s[0:1], v6, v14, s[0:1]
	v_mov_b32_e32 v15, s9
	v_add_co_u32_e32 v7, vcc, s8, v7
	v_cmp_le_i32_e64 s[0:1], s14, v9
	s_or_b64 s[4:5], s[0:1], s[4:5]
	v_addc_co_u32_e32 v8, vcc, v8, v15, vcc
	s_waitcnt vmcnt(0) lgkmcnt(0)
	v_fma_f64 v[3:4], v[10:11], v[12:13], v[3:4]
	s_andn2_b64 exec, exec, s[4:5]
	s_cbranch_execnz .LBB264_3
; %bb.4:
	s_or_b64 exec, exec, s[4:5]
.LBB264_5:
	s_or_b64 exec, exec, s[12:13]
	v_mbcnt_lo_u32_b32 v5, -1, 0
	v_mbcnt_hi_u32_b32 v7, -1, v5
	v_mov_b32_e32 v5, 0x80
	v_lshl_or_b32 v6, v7, 2, v5
	ds_bpermute_b32 v5, v6, v3
	ds_bpermute_b32 v6, v6, v4
	v_and_b32_e32 v8, 63, v7
	v_cmp_gt_u32_e32 vcc, 48, v8
	s_waitcnt lgkmcnt(0)
	s_barrier
	v_add_f64 v[3:4], v[3:4], v[5:6]
	v_cndmask_b32_e64 v5, 0, 16, vcc
	v_add_lshl_u32 v6, v5, v7, 2
	v_cmp_gt_u32_e32 vcc, 56, v8
	ds_bpermute_b32 v5, v6, v3
	ds_bpermute_b32 v6, v6, v4
	s_waitcnt lgkmcnt(0)
	v_add_f64 v[3:4], v[3:4], v[5:6]
	v_cndmask_b32_e64 v5, 0, 8, vcc
	v_add_lshl_u32 v6, v5, v7, 2
	v_cmp_gt_u32_e32 vcc, 60, v8
	ds_bpermute_b32 v5, v6, v3
	ds_bpermute_b32 v6, v6, v4
	s_waitcnt lgkmcnt(0)
	;; [unrolled: 7-line block ×3, first 2 shown]
	v_add_f64 v[3:4], v[3:4], v[5:6]
	v_cndmask_b32_e64 v5, 0, 2, vcc
	v_add_lshl_u32 v6, v5, v7, 2
	v_cmp_ne_u32_e32 vcc, 63, v8
	ds_bpermute_b32 v5, v6, v3
	ds_bpermute_b32 v6, v6, v4
	s_waitcnt lgkmcnt(0)
	v_add_f64 v[3:4], v[3:4], v[5:6]
	v_addc_co_u32_e32 v5, vcc, 0, v7, vcc
	v_lshlrev_b32_e32 v6, 2, v5
	v_cmp_eq_u32_e32 vcc, 0, v0
	ds_bpermute_b32 v5, v6, v3
	ds_bpermute_b32 v6, v6, v4
	s_and_b64 exec, exec, vcc
	s_cbranch_execz .LBB264_7
; %bb.6:
	s_waitcnt lgkmcnt(0)
	v_add_f64 v[3:4], v[3:4], v[5:6]
	v_mov_b32_e32 v5, s7
	v_add_co_u32_e32 v0, vcc, s6, v1
	v_addc_co_u32_e32 v1, vcc, v5, v2, vcc
	global_store_dwordx2 v[0:1], v[3:4], off
.LBB264_7:
	s_endpgm
	.section	.rodata,"a",@progbits
	.p2align	6, 0x0
	.amdhsa_kernel _ZL28rocblas_dot_batched_4_kernelIiLi64ELi4ELb1EddPKPKdEviT5_lT_lS4_lS5_liPT4_
		.amdhsa_group_segment_fixed_size 0
		.amdhsa_private_segment_fixed_size 0
		.amdhsa_kernarg_size 88
		.amdhsa_user_sgpr_count 6
		.amdhsa_user_sgpr_private_segment_buffer 1
		.amdhsa_user_sgpr_dispatch_ptr 0
		.amdhsa_user_sgpr_queue_ptr 0
		.amdhsa_user_sgpr_kernarg_segment_ptr 1
		.amdhsa_user_sgpr_dispatch_id 0
		.amdhsa_user_sgpr_flat_scratch_init 0
		.amdhsa_user_sgpr_private_segment_size 0
		.amdhsa_uses_dynamic_stack 0
		.amdhsa_system_sgpr_private_segment_wavefront_offset 0
		.amdhsa_system_sgpr_workgroup_id_x 1
		.amdhsa_system_sgpr_workgroup_id_y 0
		.amdhsa_system_sgpr_workgroup_id_z 0
		.amdhsa_system_sgpr_workgroup_info 0
		.amdhsa_system_vgpr_workitem_id 1
		.amdhsa_next_free_vgpr 16
		.amdhsa_next_free_sgpr 20
		.amdhsa_reserve_vcc 1
		.amdhsa_reserve_flat_scratch 0
		.amdhsa_float_round_mode_32 0
		.amdhsa_float_round_mode_16_64 0
		.amdhsa_float_denorm_mode_32 3
		.amdhsa_float_denorm_mode_16_64 3
		.amdhsa_dx10_clamp 1
		.amdhsa_ieee_mode 1
		.amdhsa_fp16_overflow 0
		.amdhsa_exception_fp_ieee_invalid_op 0
		.amdhsa_exception_fp_denorm_src 0
		.amdhsa_exception_fp_ieee_div_zero 0
		.amdhsa_exception_fp_ieee_overflow 0
		.amdhsa_exception_fp_ieee_underflow 0
		.amdhsa_exception_fp_ieee_inexact 0
		.amdhsa_exception_int_div_zero 0
	.end_amdhsa_kernel
	.section	.text._ZL28rocblas_dot_batched_4_kernelIiLi64ELi4ELb1EddPKPKdEviT5_lT_lS4_lS5_liPT4_,"axG",@progbits,_ZL28rocblas_dot_batched_4_kernelIiLi64ELi4ELb1EddPKPKdEviT5_lT_lS4_lS5_liPT4_,comdat
.Lfunc_end264:
	.size	_ZL28rocblas_dot_batched_4_kernelIiLi64ELi4ELb1EddPKPKdEviT5_lT_lS4_lS5_liPT4_, .Lfunc_end264-_ZL28rocblas_dot_batched_4_kernelIiLi64ELi4ELb1EddPKPKdEviT5_lT_lS4_lS5_liPT4_
                                        ; -- End function
	.set _ZL28rocblas_dot_batched_4_kernelIiLi64ELi4ELb1EddPKPKdEviT5_lT_lS4_lS5_liPT4_.num_vgpr, 16
	.set _ZL28rocblas_dot_batched_4_kernelIiLi64ELi4ELb1EddPKPKdEviT5_lT_lS4_lS5_liPT4_.num_agpr, 0
	.set _ZL28rocblas_dot_batched_4_kernelIiLi64ELi4ELb1EddPKPKdEviT5_lT_lS4_lS5_liPT4_.numbered_sgpr, 20
	.set _ZL28rocblas_dot_batched_4_kernelIiLi64ELi4ELb1EddPKPKdEviT5_lT_lS4_lS5_liPT4_.num_named_barrier, 0
	.set _ZL28rocblas_dot_batched_4_kernelIiLi64ELi4ELb1EddPKPKdEviT5_lT_lS4_lS5_liPT4_.private_seg_size, 0
	.set _ZL28rocblas_dot_batched_4_kernelIiLi64ELi4ELb1EddPKPKdEviT5_lT_lS4_lS5_liPT4_.uses_vcc, 1
	.set _ZL28rocblas_dot_batched_4_kernelIiLi64ELi4ELb1EddPKPKdEviT5_lT_lS4_lS5_liPT4_.uses_flat_scratch, 0
	.set _ZL28rocblas_dot_batched_4_kernelIiLi64ELi4ELb1EddPKPKdEviT5_lT_lS4_lS5_liPT4_.has_dyn_sized_stack, 0
	.set _ZL28rocblas_dot_batched_4_kernelIiLi64ELi4ELb1EddPKPKdEviT5_lT_lS4_lS5_liPT4_.has_recursion, 0
	.set _ZL28rocblas_dot_batched_4_kernelIiLi64ELi4ELb1EddPKPKdEviT5_lT_lS4_lS5_liPT4_.has_indirect_call, 0
	.section	.AMDGPU.csdata,"",@progbits
; Kernel info:
; codeLenInByte = 712
; TotalNumSgprs: 24
; NumVgprs: 16
; ScratchSize: 0
; MemoryBound: 0
; FloatMode: 240
; IeeeMode: 1
; LDSByteSize: 0 bytes/workgroup (compile time only)
; SGPRBlocks: 2
; VGPRBlocks: 3
; NumSGPRsForWavesPerEU: 24
; NumVGPRsForWavesPerEU: 16
; Occupancy: 10
; WaveLimiterHint : 0
; COMPUTE_PGM_RSRC2:SCRATCH_EN: 0
; COMPUTE_PGM_RSRC2:USER_SGPR: 6
; COMPUTE_PGM_RSRC2:TRAP_HANDLER: 0
; COMPUTE_PGM_RSRC2:TGID_X_EN: 1
; COMPUTE_PGM_RSRC2:TGID_Y_EN: 0
; COMPUTE_PGM_RSRC2:TGID_Z_EN: 0
; COMPUTE_PGM_RSRC2:TIDIG_COMP_CNT: 1
	.section	.text._ZL26rocblas_dot_kernel_inc1by2ILb1ELi1024ELi32ELb1EdPKPKddEviT4_llS4_lliPT5_PT3_,"axG",@progbits,_ZL26rocblas_dot_kernel_inc1by2ILb1ELi1024ELi32ELb1EdPKPKddEviT4_llS4_lliPT5_PT3_,comdat
	.globl	_ZL26rocblas_dot_kernel_inc1by2ILb1ELi1024ELi32ELb1EdPKPKddEviT4_llS4_lliPT5_PT3_ ; -- Begin function _ZL26rocblas_dot_kernel_inc1by2ILb1ELi1024ELi32ELb1EdPKPKddEviT4_llS4_lliPT5_PT3_
	.p2align	8
	.type	_ZL26rocblas_dot_kernel_inc1by2ILb1ELi1024ELi32ELb1EdPKPKddEviT4_llS4_lliPT5_PT3_,@function
_ZL26rocblas_dot_kernel_inc1by2ILb1ELi1024ELi32ELb1EdPKPKddEviT4_llS4_lliPT5_PT3_: ; @_ZL26rocblas_dot_kernel_inc1by2ILb1ELi1024ELi32ELb1EdPKPKddEviT4_llS4_lliPT5_PT3_
; %bb.0:
	s_mov_b32 s2, s7
	s_load_dword s10, s[4:5], 0x0
	s_load_dwordx2 s[6:7], s[4:5], 0x48
	v_mov_b32_e32 v1, 0
	s_mov_b32 s3, 0
	v_mov_b32_e32 v2, 0
	s_waitcnt lgkmcnt(0)
	v_cmp_gt_i32_e32 vcc, s10, v0
	s_and_saveexec_b64 s[8:9], vcc
	s_cbranch_execz .LBB265_4
; %bb.1:
	s_load_dwordx4 s[12:15], s[4:5], 0x8
	s_load_dwordx4 s[16:19], s[4:5], 0x20
	s_lshl_b64 s[0:1], s[2:3], 3
	v_lshlrev_b32_e32 v1, 3, v0
	v_or_b32_e32 v7, 0x400, v0
	s_waitcnt lgkmcnt(0)
	s_add_u32 s4, s12, s0
	s_addc_u32 s5, s13, s1
	s_add_u32 s0, s16, s0
	s_addc_u32 s1, s17, s1
	s_load_dwordx2 s[0:1], s[0:1], 0x0
	s_lshl_b64 s[12:13], s[18:19], 3
	s_load_dwordx2 s[4:5], s[4:5], 0x0
	s_mov_b32 s11, s3
	s_waitcnt lgkmcnt(0)
	s_add_u32 s0, s0, s12
	s_addc_u32 s1, s1, s13
	v_mov_b32_e32 v2, s1
	v_add_co_u32_e32 v3, vcc, s0, v1
	s_lshl_b64 s[0:1], s[14:15], 3
	s_add_u32 s0, s4, s0
	v_addc_co_u32_e32 v4, vcc, 0, v2, vcc
	s_addc_u32 s1, s5, s1
	v_mov_b32_e32 v2, s1
	v_add_co_u32_e32 v5, vcc, s0, v1
	v_addc_co_u32_e32 v6, vcc, 0, v2, vcc
	v_mov_b32_e32 v1, 0
	v_mov_b32_e32 v2, 0
	s_mov_b64 s[4:5], 0
.LBB265_2:                              ; =>This Inner Loop Header: Depth=1
	flat_load_dwordx2 v[8:9], v[3:4]
	flat_load_dwordx2 v[10:11], v[5:6]
	s_add_i32 s12, s11, 1
	s_cmp_gt_u32 s11, 30
	v_cmp_le_i32_e64 s[0:1], s10, v7
	v_add_co_u32_e32 v3, vcc, 0x2000, v3
	s_mov_b32 s11, s12
	s_cselect_b64 s[12:13], -1, 0
	v_addc_co_u32_e32 v4, vcc, 0, v4, vcc
	s_or_b64 s[0:1], s[12:13], s[0:1]
	v_add_co_u32_e32 v5, vcc, 0x2000, v5
	s_and_b64 s[0:1], exec, s[0:1]
	v_add_u32_e32 v7, 0x400, v7
	s_or_b64 s[4:5], s[0:1], s[4:5]
	v_addc_co_u32_e32 v6, vcc, 0, v6, vcc
	s_waitcnt vmcnt(0) lgkmcnt(0)
	v_fma_f64 v[1:2], v[8:9], v[10:11], v[1:2]
	s_andn2_b64 exec, exec, s[4:5]
	s_cbranch_execnz .LBB265_2
; %bb.3:
	s_or_b64 exec, exec, s[4:5]
.LBB265_4:
	s_or_b64 exec, exec, s[8:9]
	v_and_b32_e32 v8, 63, v0
	v_cmp_gt_u32_e32 vcc, 64, v0
	v_lshlrev_b32_e32 v5, 3, v8
	s_and_saveexec_b64 s[0:1], vcc
; %bb.5:
	v_mov_b32_e32 v3, 0
	v_mov_b32_e32 v4, v3
	ds_write_b64 v5, v[3:4]
; %bb.6:
	s_or_b64 exec, exec, s[0:1]
	v_mbcnt_lo_u32_b32 v3, -1, 0
	v_mbcnt_hi_u32_b32 v10, -1, v3
	v_mov_b32_e32 v3, 0x80
	v_lshl_or_b32 v4, v10, 2, v3
	ds_bpermute_b32 v3, v4, v1
	ds_bpermute_b32 v4, v4, v2
	v_and_b32_e32 v11, 63, v10
	v_cmp_gt_u32_e64 s[0:1], 48, v11
	s_waitcnt lgkmcnt(0)
	s_barrier
	v_add_f64 v[1:2], v[1:2], v[3:4]
	v_cndmask_b32_e64 v3, 0, 16, s[0:1]
	v_add_lshl_u32 v4, v3, v10, 2
	v_cmp_gt_u32_e64 s[0:1], 56, v11
	ds_bpermute_b32 v3, v4, v1
	ds_bpermute_b32 v4, v4, v2
	s_waitcnt lgkmcnt(0)
	v_add_f64 v[1:2], v[1:2], v[3:4]
	v_cndmask_b32_e64 v3, 0, 8, s[0:1]
	v_add_lshl_u32 v6, v3, v10, 2
	v_cmp_gt_u32_e64 s[0:1], 60, v11
	ds_bpermute_b32 v3, v6, v1
	ds_bpermute_b32 v4, v6, v2
	s_waitcnt lgkmcnt(0)
	v_add_f64 v[1:2], v[1:2], v[3:4]
	v_cndmask_b32_e64 v3, 0, 4, s[0:1]
	v_add_lshl_u32 v7, v3, v10, 2
	v_cmp_gt_u32_e64 s[0:1], 62, v11
	ds_bpermute_b32 v3, v7, v1
	ds_bpermute_b32 v4, v7, v2
	s_waitcnt lgkmcnt(0)
	v_add_f64 v[1:2], v[1:2], v[3:4]
	v_cndmask_b32_e64 v3, 0, 2, s[0:1]
	v_add_lshl_u32 v9, v3, v10, 2
	v_cmp_ne_u32_e64 s[0:1], 63, v11
	ds_bpermute_b32 v3, v9, v1
	ds_bpermute_b32 v4, v9, v2
	s_waitcnt lgkmcnt(0)
	v_add_f64 v[1:2], v[1:2], v[3:4]
	v_addc_co_u32_e64 v3, s[0:1], 0, v10, s[0:1]
	v_lshlrev_b32_e32 v10, 2, v3
	v_cmp_eq_u32_e64 s[0:1], 0, v8
	ds_bpermute_b32 v3, v10, v1
	ds_bpermute_b32 v4, v10, v2
	s_and_saveexec_b64 s[4:5], s[0:1]
	s_cbranch_execz .LBB265_8
; %bb.7:
	s_waitcnt lgkmcnt(0)
	v_add_f64 v[1:2], v[1:2], v[3:4]
	v_lshrrev_b32_e32 v3, 3, v0
	v_and_b32_e32 v3, 0x78, v3
	ds_write_b64 v3, v[1:2]
.LBB265_8:
	s_or_b64 exec, exec, s[4:5]
	v_mov_b32_e32 v1, 0
	v_mov_b32_e32 v2, 0
	v_cmp_gt_u32_e64 s[0:1], 16, v0
	s_waitcnt lgkmcnt(0)
	s_barrier
	s_and_saveexec_b64 s[4:5], s[0:1]
	s_cbranch_execnz .LBB265_12
; %bb.9:
	s_or_b64 exec, exec, s[4:5]
	s_and_saveexec_b64 s[0:1], vcc
	s_cbranch_execnz .LBB265_13
.LBB265_10:
	s_or_b64 exec, exec, s[0:1]
	v_cmp_eq_u32_e32 vcc, 0, v0
	s_and_saveexec_b64 s[0:1], vcc
	s_cbranch_execnz .LBB265_14
.LBB265_11:
	s_endpgm
.LBB265_12:
	ds_read_b64 v[1:2], v5
	s_or_b64 exec, exec, s[4:5]
	s_and_saveexec_b64 s[0:1], vcc
	s_cbranch_execz .LBB265_10
.LBB265_13:
	s_waitcnt lgkmcnt(0)
	ds_bpermute_b32 v3, v6, v1
	ds_bpermute_b32 v4, v6, v2
	s_waitcnt lgkmcnt(0)
	v_add_f64 v[1:2], v[1:2], v[3:4]
	ds_bpermute_b32 v3, v7, v1
	ds_bpermute_b32 v4, v7, v2
	s_waitcnt lgkmcnt(0)
	v_add_f64 v[1:2], v[1:2], v[3:4]
	;; [unrolled: 4-line block ×4, first 2 shown]
	s_or_b64 exec, exec, s[0:1]
	v_cmp_eq_u32_e32 vcc, 0, v0
	s_and_saveexec_b64 s[0:1], vcc
	s_cbranch_execz .LBB265_11
.LBB265_14:
	s_lshl_b64 s[0:1], s[2:3], 3
	s_add_u32 s0, s6, s0
	s_addc_u32 s1, s7, s1
	v_mov_b32_e32 v0, 0
	s_waitcnt lgkmcnt(0)
	global_store_dwordx2 v0, v[1:2], s[0:1]
	s_endpgm
	.section	.rodata,"a",@progbits
	.p2align	6, 0x0
	.amdhsa_kernel _ZL26rocblas_dot_kernel_inc1by2ILb1ELi1024ELi32ELb1EdPKPKddEviT4_llS4_lliPT5_PT3_
		.amdhsa_group_segment_fixed_size 512
		.amdhsa_private_segment_fixed_size 0
		.amdhsa_kernarg_size 80
		.amdhsa_user_sgpr_count 6
		.amdhsa_user_sgpr_private_segment_buffer 1
		.amdhsa_user_sgpr_dispatch_ptr 0
		.amdhsa_user_sgpr_queue_ptr 0
		.amdhsa_user_sgpr_kernarg_segment_ptr 1
		.amdhsa_user_sgpr_dispatch_id 0
		.amdhsa_user_sgpr_flat_scratch_init 0
		.amdhsa_user_sgpr_private_segment_size 0
		.amdhsa_uses_dynamic_stack 0
		.amdhsa_system_sgpr_private_segment_wavefront_offset 0
		.amdhsa_system_sgpr_workgroup_id_x 1
		.amdhsa_system_sgpr_workgroup_id_y 0
		.amdhsa_system_sgpr_workgroup_id_z 1
		.amdhsa_system_sgpr_workgroup_info 0
		.amdhsa_system_vgpr_workitem_id 0
		.amdhsa_next_free_vgpr 12
		.amdhsa_next_free_sgpr 20
		.amdhsa_reserve_vcc 1
		.amdhsa_reserve_flat_scratch 0
		.amdhsa_float_round_mode_32 0
		.amdhsa_float_round_mode_16_64 0
		.amdhsa_float_denorm_mode_32 3
		.amdhsa_float_denorm_mode_16_64 3
		.amdhsa_dx10_clamp 1
		.amdhsa_ieee_mode 1
		.amdhsa_fp16_overflow 0
		.amdhsa_exception_fp_ieee_invalid_op 0
		.amdhsa_exception_fp_denorm_src 0
		.amdhsa_exception_fp_ieee_div_zero 0
		.amdhsa_exception_fp_ieee_overflow 0
		.amdhsa_exception_fp_ieee_underflow 0
		.amdhsa_exception_fp_ieee_inexact 0
		.amdhsa_exception_int_div_zero 0
	.end_amdhsa_kernel
	.section	.text._ZL26rocblas_dot_kernel_inc1by2ILb1ELi1024ELi32ELb1EdPKPKddEviT4_llS4_lliPT5_PT3_,"axG",@progbits,_ZL26rocblas_dot_kernel_inc1by2ILb1ELi1024ELi32ELb1EdPKPKddEviT4_llS4_lliPT5_PT3_,comdat
.Lfunc_end265:
	.size	_ZL26rocblas_dot_kernel_inc1by2ILb1ELi1024ELi32ELb1EdPKPKddEviT4_llS4_lliPT5_PT3_, .Lfunc_end265-_ZL26rocblas_dot_kernel_inc1by2ILb1ELi1024ELi32ELb1EdPKPKddEviT4_llS4_lliPT5_PT3_
                                        ; -- End function
	.set _ZL26rocblas_dot_kernel_inc1by2ILb1ELi1024ELi32ELb1EdPKPKddEviT4_llS4_lliPT5_PT3_.num_vgpr, 12
	.set _ZL26rocblas_dot_kernel_inc1by2ILb1ELi1024ELi32ELb1EdPKPKddEviT4_llS4_lliPT5_PT3_.num_agpr, 0
	.set _ZL26rocblas_dot_kernel_inc1by2ILb1ELi1024ELi32ELb1EdPKPKddEviT4_llS4_lliPT5_PT3_.numbered_sgpr, 20
	.set _ZL26rocblas_dot_kernel_inc1by2ILb1ELi1024ELi32ELb1EdPKPKddEviT4_llS4_lliPT5_PT3_.num_named_barrier, 0
	.set _ZL26rocblas_dot_kernel_inc1by2ILb1ELi1024ELi32ELb1EdPKPKddEviT4_llS4_lliPT5_PT3_.private_seg_size, 0
	.set _ZL26rocblas_dot_kernel_inc1by2ILb1ELi1024ELi32ELb1EdPKPKddEviT4_llS4_lliPT5_PT3_.uses_vcc, 1
	.set _ZL26rocblas_dot_kernel_inc1by2ILb1ELi1024ELi32ELb1EdPKPKddEviT4_llS4_lliPT5_PT3_.uses_flat_scratch, 0
	.set _ZL26rocblas_dot_kernel_inc1by2ILb1ELi1024ELi32ELb1EdPKPKddEviT4_llS4_lliPT5_PT3_.has_dyn_sized_stack, 0
	.set _ZL26rocblas_dot_kernel_inc1by2ILb1ELi1024ELi32ELb1EdPKPKddEviT4_llS4_lliPT5_PT3_.has_recursion, 0
	.set _ZL26rocblas_dot_kernel_inc1by2ILb1ELi1024ELi32ELb1EdPKPKddEviT4_llS4_lliPT5_PT3_.has_indirect_call, 0
	.section	.AMDGPU.csdata,"",@progbits
; Kernel info:
; codeLenInByte = 944
; TotalNumSgprs: 24
; NumVgprs: 12
; ScratchSize: 0
; MemoryBound: 0
; FloatMode: 240
; IeeeMode: 1
; LDSByteSize: 512 bytes/workgroup (compile time only)
; SGPRBlocks: 2
; VGPRBlocks: 2
; NumSGPRsForWavesPerEU: 24
; NumVGPRsForWavesPerEU: 12
; Occupancy: 10
; WaveLimiterHint : 0
; COMPUTE_PGM_RSRC2:SCRATCH_EN: 0
; COMPUTE_PGM_RSRC2:USER_SGPR: 6
; COMPUTE_PGM_RSRC2:TRAP_HANDLER: 0
; COMPUTE_PGM_RSRC2:TGID_X_EN: 1
; COMPUTE_PGM_RSRC2:TGID_Y_EN: 0
; COMPUTE_PGM_RSRC2:TGID_Z_EN: 1
; COMPUTE_PGM_RSRC2:TIDIG_COMP_CNT: 0
	.section	.text._ZL18rocblas_dot_kernelIiLb1ELi1024ELi32ELb1EdPKPKddEviT5_lT_lS4_lS5_liPT6_PT4_,"axG",@progbits,_ZL18rocblas_dot_kernelIiLb1ELi1024ELi32ELb1EdPKPKddEviT5_lT_lS4_lS5_liPT6_PT4_,comdat
	.globl	_ZL18rocblas_dot_kernelIiLb1ELi1024ELi32ELb1EdPKPKddEviT5_lT_lS4_lS5_liPT6_PT4_ ; -- Begin function _ZL18rocblas_dot_kernelIiLb1ELi1024ELi32ELb1EdPKPKddEviT5_lT_lS4_lS5_liPT6_PT4_
	.p2align	8
	.type	_ZL18rocblas_dot_kernelIiLb1ELi1024ELi32ELb1EdPKPKddEviT5_lT_lS4_lS5_liPT6_PT4_,@function
_ZL18rocblas_dot_kernelIiLb1ELi1024ELi32ELb1EdPKPKddEviT5_lT_lS4_lS5_liPT6_PT4_: ; @_ZL18rocblas_dot_kernelIiLb1ELi1024ELi32ELb1EdPKPKddEviT5_lT_lS4_lS5_liPT6_PT4_
; %bb.0:
	s_load_dword s14, s[4:5], 0x0
	s_load_dwordx2 s[8:9], s[4:5], 0x58
	v_mov_b32_e32 v1, 0
	s_mov_b32 s6, s7
	s_mov_b32 s7, 0
	v_mov_b32_e32 v2, 0
	s_waitcnt lgkmcnt(0)
	v_cmp_gt_i32_e32 vcc, s14, v0
	s_and_saveexec_b64 s[10:11], vcc
	s_cbranch_execz .LBB266_4
; %bb.1:
	s_load_dwordx4 s[16:19], s[4:5], 0x8
	s_load_dwordx4 s[0:3], s[4:5], 0x28
	s_load_dword s22, s[4:5], 0x18
	s_lshl_b64 s[12:13], s[6:7], 3
	s_waitcnt lgkmcnt(0)
	s_add_u32 s16, s16, s12
	s_addc_u32 s17, s17, s13
	s_load_dwordx2 s[20:21], s[16:17], 0x0
	s_load_dword s23, s[4:5], 0x38
	s_load_dword s15, s[4:5], 0x60
	v_mad_i64_i32 v[1:2], s[4:5], s22, v0, 0
	s_add_u32 s0, s0, s12
	s_addc_u32 s1, s1, s13
	s_waitcnt lgkmcnt(0)
	s_lshl_b32 s15, s15, 10
	s_lshl_b64 s[4:5], s[18:19], 3
	v_lshlrev_b64 v[1:2], 3, v[1:2]
	s_add_u32 s4, s20, s4
	s_addc_u32 s5, s21, s5
	s_load_dwordx2 s[0:1], s[0:1], 0x0
	v_mov_b32_e32 v4, s5
	v_add_co_u32_e32 v3, vcc, s4, v1
	v_addc_co_u32_e32 v4, vcc, v4, v2, vcc
	v_mad_i64_i32 v[1:2], s[4:5], s23, v0, 0
	s_mul_hi_i32 s5, s22, s15
	s_mul_i32 s4, s22, s15
	s_lshl_b64 s[4:5], s[4:5], 3
	s_lshl_b64 s[2:3], s[2:3], 3
	v_lshlrev_b64 v[1:2], 3, v[1:2]
	s_waitcnt lgkmcnt(0)
	s_add_u32 s0, s0, s2
	s_addc_u32 s1, s1, s3
	v_mov_b32_e32 v6, s1
	v_add_co_u32_e32 v5, vcc, s0, v1
	s_mul_hi_i32 s1, s23, s15
	s_mul_i32 s0, s23, s15
	v_addc_co_u32_e32 v6, vcc, v6, v2, vcc
	s_lshl_b64 s[2:3], s[0:1], 3
	v_mov_b32_e32 v1, 0
	v_or_b32_e32 v7, s15, v0
	v_mov_b32_e32 v2, 0
	s_mov_b64 s[12:13], 0
	v_mov_b32_e32 v8, s5
	v_mov_b32_e32 v9, s3
	s_mov_b32 s3, s7
.LBB266_2:                              ; =>This Inner Loop Header: Depth=1
	flat_load_dwordx2 v[10:11], v[5:6]
	flat_load_dwordx2 v[12:13], v[3:4]
	v_add_co_u32_e64 v3, s[0:1], s4, v3
	v_addc_co_u32_e64 v4, s[0:1], v4, v8, s[0:1]
	s_add_i32 s5, s3, 1
	v_add_co_u32_e64 v5, s[0:1], s2, v5
	v_addc_co_u32_e64 v6, s[0:1], v6, v9, s[0:1]
	s_cmp_gt_u32 s3, 30
	v_cmp_le_i32_e32 vcc, s14, v7
	s_cselect_b64 s[0:1], -1, 0
	s_or_b64 s[0:1], s[0:1], vcc
	s_and_b64 s[0:1], exec, s[0:1]
	v_add_u32_e32 v7, s15, v7
	s_or_b64 s[12:13], s[0:1], s[12:13]
	s_mov_b32 s3, s5
	s_waitcnt vmcnt(0) lgkmcnt(0)
	v_fma_f64 v[1:2], v[10:11], v[12:13], v[1:2]
	s_andn2_b64 exec, exec, s[12:13]
	s_cbranch_execnz .LBB266_2
; %bb.3:
	s_or_b64 exec, exec, s[12:13]
.LBB266_4:
	s_or_b64 exec, exec, s[10:11]
	v_and_b32_e32 v8, 63, v0
	v_cmp_gt_u32_e32 vcc, 64, v0
	v_lshlrev_b32_e32 v5, 3, v8
	s_and_saveexec_b64 s[0:1], vcc
; %bb.5:
	v_mov_b32_e32 v3, 0
	v_mov_b32_e32 v4, v3
	ds_write_b64 v5, v[3:4]
; %bb.6:
	s_or_b64 exec, exec, s[0:1]
	v_mbcnt_lo_u32_b32 v3, -1, 0
	v_mbcnt_hi_u32_b32 v10, -1, v3
	v_mov_b32_e32 v3, 0x80
	v_lshl_or_b32 v4, v10, 2, v3
	ds_bpermute_b32 v3, v4, v1
	ds_bpermute_b32 v4, v4, v2
	v_and_b32_e32 v11, 63, v10
	v_cmp_gt_u32_e64 s[0:1], 48, v11
	s_waitcnt lgkmcnt(0)
	s_barrier
	v_add_f64 v[1:2], v[1:2], v[3:4]
	v_cndmask_b32_e64 v3, 0, 16, s[0:1]
	v_add_lshl_u32 v4, v3, v10, 2
	v_cmp_gt_u32_e64 s[0:1], 56, v11
	ds_bpermute_b32 v3, v4, v1
	ds_bpermute_b32 v4, v4, v2
	s_waitcnt lgkmcnt(0)
	v_add_f64 v[1:2], v[1:2], v[3:4]
	v_cndmask_b32_e64 v3, 0, 8, s[0:1]
	v_add_lshl_u32 v6, v3, v10, 2
	v_cmp_gt_u32_e64 s[0:1], 60, v11
	ds_bpermute_b32 v3, v6, v1
	ds_bpermute_b32 v4, v6, v2
	s_waitcnt lgkmcnt(0)
	;; [unrolled: 7-line block ×3, first 2 shown]
	v_add_f64 v[1:2], v[1:2], v[3:4]
	v_cndmask_b32_e64 v3, 0, 2, s[0:1]
	v_add_lshl_u32 v9, v3, v10, 2
	v_cmp_ne_u32_e64 s[0:1], 63, v11
	ds_bpermute_b32 v3, v9, v1
	ds_bpermute_b32 v4, v9, v2
	s_waitcnt lgkmcnt(0)
	v_add_f64 v[1:2], v[1:2], v[3:4]
	v_addc_co_u32_e64 v3, s[0:1], 0, v10, s[0:1]
	v_lshlrev_b32_e32 v10, 2, v3
	v_cmp_eq_u32_e64 s[0:1], 0, v8
	ds_bpermute_b32 v3, v10, v1
	ds_bpermute_b32 v4, v10, v2
	s_and_saveexec_b64 s[2:3], s[0:1]
	s_cbranch_execz .LBB266_8
; %bb.7:
	s_waitcnt lgkmcnt(0)
	v_add_f64 v[1:2], v[1:2], v[3:4]
	v_lshrrev_b32_e32 v3, 3, v0
	v_and_b32_e32 v3, 0x78, v3
	ds_write_b64 v3, v[1:2]
.LBB266_8:
	s_or_b64 exec, exec, s[2:3]
	v_mov_b32_e32 v1, 0
	v_mov_b32_e32 v2, 0
	v_cmp_gt_u32_e64 s[0:1], 16, v0
	s_waitcnt lgkmcnt(0)
	s_barrier
	s_and_saveexec_b64 s[2:3], s[0:1]
	s_cbranch_execnz .LBB266_12
; %bb.9:
	s_or_b64 exec, exec, s[2:3]
	s_and_saveexec_b64 s[0:1], vcc
	s_cbranch_execnz .LBB266_13
.LBB266_10:
	s_or_b64 exec, exec, s[0:1]
	v_cmp_eq_u32_e32 vcc, 0, v0
	s_and_saveexec_b64 s[0:1], vcc
	s_cbranch_execnz .LBB266_14
.LBB266_11:
	s_endpgm
.LBB266_12:
	ds_read_b64 v[1:2], v5
	s_or_b64 exec, exec, s[2:3]
	s_and_saveexec_b64 s[0:1], vcc
	s_cbranch_execz .LBB266_10
.LBB266_13:
	s_waitcnt lgkmcnt(0)
	ds_bpermute_b32 v3, v6, v1
	ds_bpermute_b32 v4, v6, v2
	s_waitcnt lgkmcnt(0)
	v_add_f64 v[1:2], v[1:2], v[3:4]
	ds_bpermute_b32 v3, v7, v1
	ds_bpermute_b32 v4, v7, v2
	s_waitcnt lgkmcnt(0)
	v_add_f64 v[1:2], v[1:2], v[3:4]
	;; [unrolled: 4-line block ×4, first 2 shown]
	s_or_b64 exec, exec, s[0:1]
	v_cmp_eq_u32_e32 vcc, 0, v0
	s_and_saveexec_b64 s[0:1], vcc
	s_cbranch_execz .LBB266_11
.LBB266_14:
	s_lshl_b64 s[0:1], s[6:7], 3
	s_add_u32 s0, s8, s0
	s_addc_u32 s1, s9, s1
	v_mov_b32_e32 v0, 0
	s_waitcnt lgkmcnt(0)
	global_store_dwordx2 v0, v[1:2], s[0:1]
	s_endpgm
	.section	.rodata,"a",@progbits
	.p2align	6, 0x0
	.amdhsa_kernel _ZL18rocblas_dot_kernelIiLb1ELi1024ELi32ELb1EdPKPKddEviT5_lT_lS4_lS5_liPT6_PT4_
		.amdhsa_group_segment_fixed_size 512
		.amdhsa_private_segment_fixed_size 0
		.amdhsa_kernarg_size 352
		.amdhsa_user_sgpr_count 6
		.amdhsa_user_sgpr_private_segment_buffer 1
		.amdhsa_user_sgpr_dispatch_ptr 0
		.amdhsa_user_sgpr_queue_ptr 0
		.amdhsa_user_sgpr_kernarg_segment_ptr 1
		.amdhsa_user_sgpr_dispatch_id 0
		.amdhsa_user_sgpr_flat_scratch_init 0
		.amdhsa_user_sgpr_private_segment_size 0
		.amdhsa_uses_dynamic_stack 0
		.amdhsa_system_sgpr_private_segment_wavefront_offset 0
		.amdhsa_system_sgpr_workgroup_id_x 1
		.amdhsa_system_sgpr_workgroup_id_y 0
		.amdhsa_system_sgpr_workgroup_id_z 1
		.amdhsa_system_sgpr_workgroup_info 0
		.amdhsa_system_vgpr_workitem_id 0
		.amdhsa_next_free_vgpr 14
		.amdhsa_next_free_sgpr 24
		.amdhsa_reserve_vcc 1
		.amdhsa_reserve_flat_scratch 0
		.amdhsa_float_round_mode_32 0
		.amdhsa_float_round_mode_16_64 0
		.amdhsa_float_denorm_mode_32 3
		.amdhsa_float_denorm_mode_16_64 3
		.amdhsa_dx10_clamp 1
		.amdhsa_ieee_mode 1
		.amdhsa_fp16_overflow 0
		.amdhsa_exception_fp_ieee_invalid_op 0
		.amdhsa_exception_fp_denorm_src 0
		.amdhsa_exception_fp_ieee_div_zero 0
		.amdhsa_exception_fp_ieee_overflow 0
		.amdhsa_exception_fp_ieee_underflow 0
		.amdhsa_exception_fp_ieee_inexact 0
		.amdhsa_exception_int_div_zero 0
	.end_amdhsa_kernel
	.section	.text._ZL18rocblas_dot_kernelIiLb1ELi1024ELi32ELb1EdPKPKddEviT5_lT_lS4_lS5_liPT6_PT4_,"axG",@progbits,_ZL18rocblas_dot_kernelIiLb1ELi1024ELi32ELb1EdPKPKddEviT5_lT_lS4_lS5_liPT6_PT4_,comdat
.Lfunc_end266:
	.size	_ZL18rocblas_dot_kernelIiLb1ELi1024ELi32ELb1EdPKPKddEviT5_lT_lS4_lS5_liPT6_PT4_, .Lfunc_end266-_ZL18rocblas_dot_kernelIiLb1ELi1024ELi32ELb1EdPKPKddEviT5_lT_lS4_lS5_liPT6_PT4_
                                        ; -- End function
	.set _ZL18rocblas_dot_kernelIiLb1ELi1024ELi32ELb1EdPKPKddEviT5_lT_lS4_lS5_liPT6_PT4_.num_vgpr, 14
	.set _ZL18rocblas_dot_kernelIiLb1ELi1024ELi32ELb1EdPKPKddEviT5_lT_lS4_lS5_liPT6_PT4_.num_agpr, 0
	.set _ZL18rocblas_dot_kernelIiLb1ELi1024ELi32ELb1EdPKPKddEviT5_lT_lS4_lS5_liPT6_PT4_.numbered_sgpr, 24
	.set _ZL18rocblas_dot_kernelIiLb1ELi1024ELi32ELb1EdPKPKddEviT5_lT_lS4_lS5_liPT6_PT4_.num_named_barrier, 0
	.set _ZL18rocblas_dot_kernelIiLb1ELi1024ELi32ELb1EdPKPKddEviT5_lT_lS4_lS5_liPT6_PT4_.private_seg_size, 0
	.set _ZL18rocblas_dot_kernelIiLb1ELi1024ELi32ELb1EdPKPKddEviT5_lT_lS4_lS5_liPT6_PT4_.uses_vcc, 1
	.set _ZL18rocblas_dot_kernelIiLb1ELi1024ELi32ELb1EdPKPKddEviT5_lT_lS4_lS5_liPT6_PT4_.uses_flat_scratch, 0
	.set _ZL18rocblas_dot_kernelIiLb1ELi1024ELi32ELb1EdPKPKddEviT5_lT_lS4_lS5_liPT6_PT4_.has_dyn_sized_stack, 0
	.set _ZL18rocblas_dot_kernelIiLb1ELi1024ELi32ELb1EdPKPKddEviT5_lT_lS4_lS5_liPT6_PT4_.has_recursion, 0
	.set _ZL18rocblas_dot_kernelIiLb1ELi1024ELi32ELb1EdPKPKddEviT5_lT_lS4_lS5_liPT6_PT4_.has_indirect_call, 0
	.section	.AMDGPU.csdata,"",@progbits
; Kernel info:
; codeLenInByte = 1032
; TotalNumSgprs: 28
; NumVgprs: 14
; ScratchSize: 0
; MemoryBound: 0
; FloatMode: 240
; IeeeMode: 1
; LDSByteSize: 512 bytes/workgroup (compile time only)
; SGPRBlocks: 3
; VGPRBlocks: 3
; NumSGPRsForWavesPerEU: 28
; NumVGPRsForWavesPerEU: 14
; Occupancy: 10
; WaveLimiterHint : 0
; COMPUTE_PGM_RSRC2:SCRATCH_EN: 0
; COMPUTE_PGM_RSRC2:USER_SGPR: 6
; COMPUTE_PGM_RSRC2:TRAP_HANDLER: 0
; COMPUTE_PGM_RSRC2:TGID_X_EN: 1
; COMPUTE_PGM_RSRC2:TGID_Y_EN: 0
; COMPUTE_PGM_RSRC2:TGID_Z_EN: 1
; COMPUTE_PGM_RSRC2:TIDIG_COMP_CNT: 0
	.section	.text._ZL24rocblas_dot_kernel_magsqIiLb1ELi1024ELi32ELb1EdPKPKddEviT5_lT_liPT6_PT4_,"axG",@progbits,_ZL24rocblas_dot_kernel_magsqIiLb1ELi1024ELi32ELb1EdPKPKddEviT5_lT_liPT6_PT4_,comdat
	.globl	_ZL24rocblas_dot_kernel_magsqIiLb1ELi1024ELi32ELb1EdPKPKddEviT5_lT_liPT6_PT4_ ; -- Begin function _ZL24rocblas_dot_kernel_magsqIiLb1ELi1024ELi32ELb1EdPKPKddEviT5_lT_liPT6_PT4_
	.p2align	8
	.type	_ZL24rocblas_dot_kernel_magsqIiLb1ELi1024ELi32ELb1EdPKPKddEviT5_lT_liPT6_PT4_,@function
_ZL24rocblas_dot_kernel_magsqIiLb1ELi1024ELi32ELb1EdPKPKddEviT5_lT_liPT6_PT4_: ; @_ZL24rocblas_dot_kernel_magsqIiLb1ELi1024ELi32ELb1EdPKPKddEviT5_lT_liPT6_PT4_
; %bb.0:
	s_mov_b32 s2, s7
	s_load_dword s12, s[4:5], 0x0
	s_load_dwordx2 s[6:7], s[4:5], 0x38
	v_mov_b32_e32 v1, 0
	s_mov_b32 s3, 0
	v_mov_b32_e32 v2, 0
	s_waitcnt lgkmcnt(0)
	v_cmp_gt_i32_e32 vcc, s12, v0
	s_and_saveexec_b64 s[8:9], vcc
	s_cbranch_execz .LBB267_4
; %bb.1:
	s_load_dwordx4 s[16:19], s[4:5], 0x8
	s_lshl_b64 s[0:1], s[2:3], 3
	s_load_dword s10, s[4:5], 0x18
	s_load_dword s11, s[4:5], 0x40
	s_waitcnt lgkmcnt(0)
	s_add_u32 s0, s16, s0
	s_addc_u32 s1, s17, s1
	s_load_dwordx2 s[0:1], s[0:1], 0x0
	v_mad_i64_i32 v[1:2], s[4:5], s10, v0, 0
	s_lshl_b32 s13, s11, 10
	s_lshl_b64 s[4:5], s[18:19], 3
	v_lshlrev_b64 v[1:2], 3, v[1:2]
	s_waitcnt lgkmcnt(0)
	s_add_u32 s0, s0, s4
	s_addc_u32 s1, s1, s5
	v_mov_b32_e32 v4, s1
	v_add_co_u32_e32 v3, vcc, s0, v1
	s_mul_hi_i32 s1, s10, s13
	s_mul_i32 s0, s10, s13
	v_addc_co_u32_e32 v4, vcc, v4, v2, vcc
	s_lshl_b64 s[4:5], s[0:1], 3
	v_mov_b32_e32 v1, 0
	v_or_b32_e32 v5, s13, v0
	v_mov_b32_e32 v2, 0
	s_mov_b64 s[10:11], 0
	v_mov_b32_e32 v6, s5
	s_mov_b32 s5, s3
.LBB267_2:                              ; =>This Inner Loop Header: Depth=1
	flat_load_dwordx2 v[7:8], v[3:4]
	s_add_i32 s14, s5, 1
	v_add_co_u32_e64 v3, s[0:1], s4, v3
	v_addc_co_u32_e64 v4, s[0:1], v4, v6, s[0:1]
	s_cmp_gt_u32 s5, 30
	v_cmp_le_i32_e32 vcc, s12, v5
	s_cselect_b64 s[0:1], -1, 0
	s_or_b64 s[0:1], s[0:1], vcc
	s_and_b64 s[0:1], exec, s[0:1]
	v_add_u32_e32 v5, s13, v5
	s_or_b64 s[10:11], s[0:1], s[10:11]
	s_mov_b32 s5, s14
	s_waitcnt vmcnt(0) lgkmcnt(0)
	v_fma_f64 v[1:2], v[7:8], v[7:8], v[1:2]
	s_andn2_b64 exec, exec, s[10:11]
	s_cbranch_execnz .LBB267_2
; %bb.3:
	s_or_b64 exec, exec, s[10:11]
.LBB267_4:
	s_or_b64 exec, exec, s[8:9]
	v_and_b32_e32 v8, 63, v0
	v_cmp_gt_u32_e32 vcc, 64, v0
	v_lshlrev_b32_e32 v5, 3, v8
	s_and_saveexec_b64 s[0:1], vcc
; %bb.5:
	v_mov_b32_e32 v3, 0
	v_mov_b32_e32 v4, v3
	ds_write_b64 v5, v[3:4]
; %bb.6:
	s_or_b64 exec, exec, s[0:1]
	v_mbcnt_lo_u32_b32 v3, -1, 0
	v_mbcnt_hi_u32_b32 v10, -1, v3
	v_mov_b32_e32 v3, 0x80
	v_lshl_or_b32 v4, v10, 2, v3
	ds_bpermute_b32 v3, v4, v1
	ds_bpermute_b32 v4, v4, v2
	v_and_b32_e32 v11, 63, v10
	v_cmp_gt_u32_e64 s[0:1], 48, v11
	s_waitcnt lgkmcnt(0)
	s_barrier
	v_add_f64 v[1:2], v[1:2], v[3:4]
	v_cndmask_b32_e64 v3, 0, 16, s[0:1]
	v_add_lshl_u32 v4, v3, v10, 2
	v_cmp_gt_u32_e64 s[0:1], 56, v11
	ds_bpermute_b32 v3, v4, v1
	ds_bpermute_b32 v4, v4, v2
	s_waitcnt lgkmcnt(0)
	v_add_f64 v[1:2], v[1:2], v[3:4]
	v_cndmask_b32_e64 v3, 0, 8, s[0:1]
	v_add_lshl_u32 v6, v3, v10, 2
	v_cmp_gt_u32_e64 s[0:1], 60, v11
	ds_bpermute_b32 v3, v6, v1
	ds_bpermute_b32 v4, v6, v2
	s_waitcnt lgkmcnt(0)
	;; [unrolled: 7-line block ×3, first 2 shown]
	v_add_f64 v[1:2], v[1:2], v[3:4]
	v_cndmask_b32_e64 v3, 0, 2, s[0:1]
	v_add_lshl_u32 v9, v3, v10, 2
	v_cmp_ne_u32_e64 s[0:1], 63, v11
	ds_bpermute_b32 v3, v9, v1
	ds_bpermute_b32 v4, v9, v2
	s_waitcnt lgkmcnt(0)
	v_add_f64 v[1:2], v[1:2], v[3:4]
	v_addc_co_u32_e64 v3, s[0:1], 0, v10, s[0:1]
	v_lshlrev_b32_e32 v10, 2, v3
	v_cmp_eq_u32_e64 s[0:1], 0, v8
	ds_bpermute_b32 v3, v10, v1
	ds_bpermute_b32 v4, v10, v2
	s_and_saveexec_b64 s[4:5], s[0:1]
	s_cbranch_execz .LBB267_8
; %bb.7:
	s_waitcnt lgkmcnt(0)
	v_add_f64 v[1:2], v[1:2], v[3:4]
	v_lshrrev_b32_e32 v3, 3, v0
	v_and_b32_e32 v3, 0x78, v3
	ds_write_b64 v3, v[1:2]
.LBB267_8:
	s_or_b64 exec, exec, s[4:5]
	v_mov_b32_e32 v1, 0
	v_mov_b32_e32 v2, 0
	v_cmp_gt_u32_e64 s[0:1], 16, v0
	s_waitcnt lgkmcnt(0)
	s_barrier
	s_and_saveexec_b64 s[4:5], s[0:1]
	s_cbranch_execnz .LBB267_12
; %bb.9:
	s_or_b64 exec, exec, s[4:5]
	s_and_saveexec_b64 s[0:1], vcc
	s_cbranch_execnz .LBB267_13
.LBB267_10:
	s_or_b64 exec, exec, s[0:1]
	v_cmp_eq_u32_e32 vcc, 0, v0
	s_and_saveexec_b64 s[0:1], vcc
	s_cbranch_execnz .LBB267_14
.LBB267_11:
	s_endpgm
.LBB267_12:
	ds_read_b64 v[1:2], v5
	s_or_b64 exec, exec, s[4:5]
	s_and_saveexec_b64 s[0:1], vcc
	s_cbranch_execz .LBB267_10
.LBB267_13:
	s_waitcnt lgkmcnt(0)
	ds_bpermute_b32 v3, v6, v1
	ds_bpermute_b32 v4, v6, v2
	s_waitcnt lgkmcnt(0)
	v_add_f64 v[1:2], v[1:2], v[3:4]
	ds_bpermute_b32 v3, v7, v1
	ds_bpermute_b32 v4, v7, v2
	s_waitcnt lgkmcnt(0)
	v_add_f64 v[1:2], v[1:2], v[3:4]
	;; [unrolled: 4-line block ×4, first 2 shown]
	s_or_b64 exec, exec, s[0:1]
	v_cmp_eq_u32_e32 vcc, 0, v0
	s_and_saveexec_b64 s[0:1], vcc
	s_cbranch_execz .LBB267_11
.LBB267_14:
	s_lshl_b64 s[0:1], s[2:3], 3
	s_add_u32 s0, s6, s0
	s_addc_u32 s1, s7, s1
	v_mov_b32_e32 v0, 0
	s_waitcnt lgkmcnt(0)
	global_store_dwordx2 v0, v[1:2], s[0:1]
	s_endpgm
	.section	.rodata,"a",@progbits
	.p2align	6, 0x0
	.amdhsa_kernel _ZL24rocblas_dot_kernel_magsqIiLb1ELi1024ELi32ELb1EdPKPKddEviT5_lT_liPT6_PT4_
		.amdhsa_group_segment_fixed_size 512
		.amdhsa_private_segment_fixed_size 0
		.amdhsa_kernarg_size 320
		.amdhsa_user_sgpr_count 6
		.amdhsa_user_sgpr_private_segment_buffer 1
		.amdhsa_user_sgpr_dispatch_ptr 0
		.amdhsa_user_sgpr_queue_ptr 0
		.amdhsa_user_sgpr_kernarg_segment_ptr 1
		.amdhsa_user_sgpr_dispatch_id 0
		.amdhsa_user_sgpr_flat_scratch_init 0
		.amdhsa_user_sgpr_private_segment_size 0
		.amdhsa_uses_dynamic_stack 0
		.amdhsa_system_sgpr_private_segment_wavefront_offset 0
		.amdhsa_system_sgpr_workgroup_id_x 1
		.amdhsa_system_sgpr_workgroup_id_y 0
		.amdhsa_system_sgpr_workgroup_id_z 1
		.amdhsa_system_sgpr_workgroup_info 0
		.amdhsa_system_vgpr_workitem_id 0
		.amdhsa_next_free_vgpr 12
		.amdhsa_next_free_sgpr 20
		.amdhsa_reserve_vcc 1
		.amdhsa_reserve_flat_scratch 0
		.amdhsa_float_round_mode_32 0
		.amdhsa_float_round_mode_16_64 0
		.amdhsa_float_denorm_mode_32 3
		.amdhsa_float_denorm_mode_16_64 3
		.amdhsa_dx10_clamp 1
		.amdhsa_ieee_mode 1
		.amdhsa_fp16_overflow 0
		.amdhsa_exception_fp_ieee_invalid_op 0
		.amdhsa_exception_fp_denorm_src 0
		.amdhsa_exception_fp_ieee_div_zero 0
		.amdhsa_exception_fp_ieee_overflow 0
		.amdhsa_exception_fp_ieee_underflow 0
		.amdhsa_exception_fp_ieee_inexact 0
		.amdhsa_exception_int_div_zero 0
	.end_amdhsa_kernel
	.section	.text._ZL24rocblas_dot_kernel_magsqIiLb1ELi1024ELi32ELb1EdPKPKddEviT5_lT_liPT6_PT4_,"axG",@progbits,_ZL24rocblas_dot_kernel_magsqIiLb1ELi1024ELi32ELb1EdPKPKddEviT5_lT_liPT6_PT4_,comdat
.Lfunc_end267:
	.size	_ZL24rocblas_dot_kernel_magsqIiLb1ELi1024ELi32ELb1EdPKPKddEviT5_lT_liPT6_PT4_, .Lfunc_end267-_ZL24rocblas_dot_kernel_magsqIiLb1ELi1024ELi32ELb1EdPKPKddEviT5_lT_liPT6_PT4_
                                        ; -- End function
	.set _ZL24rocblas_dot_kernel_magsqIiLb1ELi1024ELi32ELb1EdPKPKddEviT5_lT_liPT6_PT4_.num_vgpr, 12
	.set _ZL24rocblas_dot_kernel_magsqIiLb1ELi1024ELi32ELb1EdPKPKddEviT5_lT_liPT6_PT4_.num_agpr, 0
	.set _ZL24rocblas_dot_kernel_magsqIiLb1ELi1024ELi32ELb1EdPKPKddEviT5_lT_liPT6_PT4_.numbered_sgpr, 20
	.set _ZL24rocblas_dot_kernel_magsqIiLb1ELi1024ELi32ELb1EdPKPKddEviT5_lT_liPT6_PT4_.num_named_barrier, 0
	.set _ZL24rocblas_dot_kernel_magsqIiLb1ELi1024ELi32ELb1EdPKPKddEviT5_lT_liPT6_PT4_.private_seg_size, 0
	.set _ZL24rocblas_dot_kernel_magsqIiLb1ELi1024ELi32ELb1EdPKPKddEviT5_lT_liPT6_PT4_.uses_vcc, 1
	.set _ZL24rocblas_dot_kernel_magsqIiLb1ELi1024ELi32ELb1EdPKPKddEviT5_lT_liPT6_PT4_.uses_flat_scratch, 0
	.set _ZL24rocblas_dot_kernel_magsqIiLb1ELi1024ELi32ELb1EdPKPKddEviT5_lT_liPT6_PT4_.has_dyn_sized_stack, 0
	.set _ZL24rocblas_dot_kernel_magsqIiLb1ELi1024ELi32ELb1EdPKPKddEviT5_lT_liPT6_PT4_.has_recursion, 0
	.set _ZL24rocblas_dot_kernel_magsqIiLb1ELi1024ELi32ELb1EdPKPKddEviT5_lT_liPT6_PT4_.has_indirect_call, 0
	.section	.AMDGPU.csdata,"",@progbits
; Kernel info:
; codeLenInByte = 916
; TotalNumSgprs: 24
; NumVgprs: 12
; ScratchSize: 0
; MemoryBound: 0
; FloatMode: 240
; IeeeMode: 1
; LDSByteSize: 512 bytes/workgroup (compile time only)
; SGPRBlocks: 2
; VGPRBlocks: 2
; NumSGPRsForWavesPerEU: 24
; NumVGPRsForWavesPerEU: 12
; Occupancy: 10
; WaveLimiterHint : 0
; COMPUTE_PGM_RSRC2:SCRATCH_EN: 0
; COMPUTE_PGM_RSRC2:USER_SGPR: 6
; COMPUTE_PGM_RSRC2:TRAP_HANDLER: 0
; COMPUTE_PGM_RSRC2:TGID_X_EN: 1
; COMPUTE_PGM_RSRC2:TGID_Y_EN: 0
; COMPUTE_PGM_RSRC2:TGID_Z_EN: 1
; COMPUTE_PGM_RSRC2:TIDIG_COMP_CNT: 0
	.section	.text._ZL38rocblas_dot_kernel_gfx942_float_doubleIiLi1024EdPKPKddEviT2_lT_lS4_lS5_lPT3_PT1_,"axG",@progbits,_ZL38rocblas_dot_kernel_gfx942_float_doubleIiLi1024EdPKPKddEviT2_lT_lS4_lS5_lPT3_PT1_,comdat
	.globl	_ZL38rocblas_dot_kernel_gfx942_float_doubleIiLi1024EdPKPKddEviT2_lT_lS4_lS5_lPT3_PT1_ ; -- Begin function _ZL38rocblas_dot_kernel_gfx942_float_doubleIiLi1024EdPKPKddEviT2_lT_lS4_lS5_lPT3_PT1_
	.p2align	8
	.type	_ZL38rocblas_dot_kernel_gfx942_float_doubleIiLi1024EdPKPKddEviT2_lT_lS4_lS5_lPT3_PT1_,@function
_ZL38rocblas_dot_kernel_gfx942_float_doubleIiLi1024EdPKPKddEviT2_lT_lS4_lS5_lPT3_PT1_: ; @_ZL38rocblas_dot_kernel_gfx942_float_doubleIiLi1024EdPKPKddEviT2_lT_lS4_lS5_lPT3_PT1_
; %bb.0:
	s_endpgm
	.section	.rodata,"a",@progbits
	.p2align	6, 0x0
	.amdhsa_kernel _ZL38rocblas_dot_kernel_gfx942_float_doubleIiLi1024EdPKPKddEviT2_lT_lS4_lS5_lPT3_PT1_
		.amdhsa_group_segment_fixed_size 0
		.amdhsa_private_segment_fixed_size 0
		.amdhsa_kernarg_size 88
		.amdhsa_user_sgpr_count 6
		.amdhsa_user_sgpr_private_segment_buffer 1
		.amdhsa_user_sgpr_dispatch_ptr 0
		.amdhsa_user_sgpr_queue_ptr 0
		.amdhsa_user_sgpr_kernarg_segment_ptr 1
		.amdhsa_user_sgpr_dispatch_id 0
		.amdhsa_user_sgpr_flat_scratch_init 0
		.amdhsa_user_sgpr_private_segment_size 0
		.amdhsa_uses_dynamic_stack 0
		.amdhsa_system_sgpr_private_segment_wavefront_offset 0
		.amdhsa_system_sgpr_workgroup_id_x 1
		.amdhsa_system_sgpr_workgroup_id_y 0
		.amdhsa_system_sgpr_workgroup_id_z 0
		.amdhsa_system_sgpr_workgroup_info 0
		.amdhsa_system_vgpr_workitem_id 0
		.amdhsa_next_free_vgpr 1
		.amdhsa_next_free_sgpr 0
		.amdhsa_reserve_vcc 0
		.amdhsa_reserve_flat_scratch 0
		.amdhsa_float_round_mode_32 0
		.amdhsa_float_round_mode_16_64 0
		.amdhsa_float_denorm_mode_32 3
		.amdhsa_float_denorm_mode_16_64 3
		.amdhsa_dx10_clamp 1
		.amdhsa_ieee_mode 1
		.amdhsa_fp16_overflow 0
		.amdhsa_exception_fp_ieee_invalid_op 0
		.amdhsa_exception_fp_denorm_src 0
		.amdhsa_exception_fp_ieee_div_zero 0
		.amdhsa_exception_fp_ieee_overflow 0
		.amdhsa_exception_fp_ieee_underflow 0
		.amdhsa_exception_fp_ieee_inexact 0
		.amdhsa_exception_int_div_zero 0
	.end_amdhsa_kernel
	.section	.text._ZL38rocblas_dot_kernel_gfx942_float_doubleIiLi1024EdPKPKddEviT2_lT_lS4_lS5_lPT3_PT1_,"axG",@progbits,_ZL38rocblas_dot_kernel_gfx942_float_doubleIiLi1024EdPKPKddEviT2_lT_lS4_lS5_lPT3_PT1_,comdat
.Lfunc_end268:
	.size	_ZL38rocblas_dot_kernel_gfx942_float_doubleIiLi1024EdPKPKddEviT2_lT_lS4_lS5_lPT3_PT1_, .Lfunc_end268-_ZL38rocblas_dot_kernel_gfx942_float_doubleIiLi1024EdPKPKddEviT2_lT_lS4_lS5_lPT3_PT1_
                                        ; -- End function
	.set _ZL38rocblas_dot_kernel_gfx942_float_doubleIiLi1024EdPKPKddEviT2_lT_lS4_lS5_lPT3_PT1_.num_vgpr, 0
	.set _ZL38rocblas_dot_kernel_gfx942_float_doubleIiLi1024EdPKPKddEviT2_lT_lS4_lS5_lPT3_PT1_.num_agpr, 0
	.set _ZL38rocblas_dot_kernel_gfx942_float_doubleIiLi1024EdPKPKddEviT2_lT_lS4_lS5_lPT3_PT1_.numbered_sgpr, 0
	.set _ZL38rocblas_dot_kernel_gfx942_float_doubleIiLi1024EdPKPKddEviT2_lT_lS4_lS5_lPT3_PT1_.num_named_barrier, 0
	.set _ZL38rocblas_dot_kernel_gfx942_float_doubleIiLi1024EdPKPKddEviT2_lT_lS4_lS5_lPT3_PT1_.private_seg_size, 0
	.set _ZL38rocblas_dot_kernel_gfx942_float_doubleIiLi1024EdPKPKddEviT2_lT_lS4_lS5_lPT3_PT1_.uses_vcc, 0
	.set _ZL38rocblas_dot_kernel_gfx942_float_doubleIiLi1024EdPKPKddEviT2_lT_lS4_lS5_lPT3_PT1_.uses_flat_scratch, 0
	.set _ZL38rocblas_dot_kernel_gfx942_float_doubleIiLi1024EdPKPKddEviT2_lT_lS4_lS5_lPT3_PT1_.has_dyn_sized_stack, 0
	.set _ZL38rocblas_dot_kernel_gfx942_float_doubleIiLi1024EdPKPKddEviT2_lT_lS4_lS5_lPT3_PT1_.has_recursion, 0
	.set _ZL38rocblas_dot_kernel_gfx942_float_doubleIiLi1024EdPKPKddEviT2_lT_lS4_lS5_lPT3_PT1_.has_indirect_call, 0
	.section	.AMDGPU.csdata,"",@progbits
; Kernel info:
; codeLenInByte = 4
; TotalNumSgprs: 4
; NumVgprs: 0
; ScratchSize: 0
; MemoryBound: 0
; FloatMode: 240
; IeeeMode: 1
; LDSByteSize: 0 bytes/workgroup (compile time only)
; SGPRBlocks: 0
; VGPRBlocks: 0
; NumSGPRsForWavesPerEU: 4
; NumVGPRsForWavesPerEU: 1
; Occupancy: 10
; WaveLimiterHint : 0
; COMPUTE_PGM_RSRC2:SCRATCH_EN: 0
; COMPUTE_PGM_RSRC2:USER_SGPR: 6
; COMPUTE_PGM_RSRC2:TRAP_HANDLER: 0
; COMPUTE_PGM_RSRC2:TGID_X_EN: 1
; COMPUTE_PGM_RSRC2:TGID_Y_EN: 0
; COMPUTE_PGM_RSRC2:TGID_Z_EN: 0
; COMPUTE_PGM_RSRC2:TIDIG_COMP_CNT: 0
	.section	.text._ZL23rocblas_dot_kernel_inc1ILb0ELi512ELi2ELb1EdPKPKddEviT4_llS4_lliPT5_PT3_,"axG",@progbits,_ZL23rocblas_dot_kernel_inc1ILb0ELi512ELi2ELb1EdPKPKddEviT4_llS4_lliPT5_PT3_,comdat
	.globl	_ZL23rocblas_dot_kernel_inc1ILb0ELi512ELi2ELb1EdPKPKddEviT4_llS4_lliPT5_PT3_ ; -- Begin function _ZL23rocblas_dot_kernel_inc1ILb0ELi512ELi2ELb1EdPKPKddEviT4_llS4_lliPT5_PT3_
	.p2align	8
	.type	_ZL23rocblas_dot_kernel_inc1ILb0ELi512ELi2ELb1EdPKPKddEviT4_llS4_lliPT5_PT3_,@function
_ZL23rocblas_dot_kernel_inc1ILb0ELi512ELi2ELb1EdPKPKddEviT4_llS4_lliPT5_PT3_: ; @_ZL23rocblas_dot_kernel_inc1ILb0ELi512ELi2ELb1EdPKPKddEviT4_llS4_lliPT5_PT3_
; %bb.0:
	s_mov_b32 s2, s7
	s_load_dword s7, s[4:5], 0x0
	s_load_dword s10, s[4:5], 0x50
	v_lshl_or_b32 v3, s6, 9, v0
	v_mov_b32_e32 v1, 0
	s_mov_b32 s3, 0
	v_mov_b32_e32 v2, 0
	s_waitcnt lgkmcnt(0)
	v_cmp_gt_i32_e32 vcc, s7, v3
	s_and_saveexec_b64 s[0:1], vcc
	s_cbranch_execz .LBB269_4
; %bb.1:
	s_load_dwordx4 s[12:15], s[4:5], 0x8
	s_load_dwordx4 s[16:19], s[4:5], 0x20
	s_lshl_b64 s[8:9], s[2:3], 3
	v_ashrrev_i32_e32 v4, 31, v3
	v_lshlrev_b64 v[1:2], 3, v[3:4]
	s_waitcnt lgkmcnt(0)
	s_add_u32 s12, s12, s8
	s_addc_u32 s13, s13, s9
	s_load_dwordx2 s[12:13], s[12:13], 0x0
	s_lshl_b64 s[14:15], s[14:15], 3
	s_waitcnt lgkmcnt(0)
	s_add_u32 s11, s12, s14
	s_addc_u32 s12, s13, s15
	s_add_u32 s8, s16, s8
	s_addc_u32 s9, s17, s9
	s_load_dwordx2 s[8:9], s[8:9], 0x0
	s_lshl_b64 s[14:15], s[18:19], 3
	v_mov_b32_e32 v5, s12
	s_waitcnt lgkmcnt(0)
	s_add_u32 s13, s8, s14
	s_addc_u32 s14, s9, s15
	v_mov_b32_e32 v4, s14
	v_add_co_u32_e32 v3, vcc, s13, v1
	v_addc_co_u32_e32 v4, vcc, v4, v2, vcc
	v_add_co_u32_e32 v1, vcc, s11, v1
	v_addc_co_u32_e32 v2, vcc, v5, v2, vcc
	flat_load_dwordx2 v[3:4], v[3:4]
	s_add_i32 s8, s6, s10
	flat_load_dwordx2 v[1:2], v[1:2]
	s_waitcnt vmcnt(0) lgkmcnt(0)
	v_fma_f64 v[1:2], v[3:4], v[1:2], 0
	v_lshl_or_b32 v3, s8, 9, v0
	v_cmp_gt_i32_e32 vcc, s7, v3
	s_and_saveexec_b64 s[8:9], vcc
	s_cbranch_execz .LBB269_3
; %bb.2:
	v_ashrrev_i32_e32 v4, 31, v3
	v_lshlrev_b64 v[3:4], 3, v[3:4]
	v_mov_b32_e32 v6, s14
	v_add_co_u32_e32 v5, vcc, s13, v3
	v_addc_co_u32_e32 v6, vcc, v6, v4, vcc
	v_mov_b32_e32 v7, s12
	v_add_co_u32_e32 v3, vcc, s11, v3
	v_addc_co_u32_e32 v4, vcc, v7, v4, vcc
	flat_load_dwordx2 v[5:6], v[5:6]
	s_nop 0
	flat_load_dwordx2 v[3:4], v[3:4]
	s_waitcnt vmcnt(0) lgkmcnt(0)
	v_fma_f64 v[1:2], v[5:6], v[3:4], v[1:2]
.LBB269_3:
	s_or_b64 exec, exec, s[8:9]
.LBB269_4:
	s_or_b64 exec, exec, s[0:1]
	v_and_b32_e32 v6, 63, v0
	v_cmp_gt_u32_e32 vcc, 64, v0
	v_lshlrev_b32_e32 v5, 3, v6
	s_and_saveexec_b64 s[0:1], vcc
; %bb.5:
	v_mov_b32_e32 v3, 0
	v_mov_b32_e32 v4, v3
	ds_write_b64 v5, v[3:4]
; %bb.6:
	s_or_b64 exec, exec, s[0:1]
	v_mbcnt_lo_u32_b32 v3, -1, 0
	v_mbcnt_hi_u32_b32 v9, -1, v3
	v_mov_b32_e32 v3, 0x80
	v_lshl_or_b32 v4, v9, 2, v3
	ds_bpermute_b32 v3, v4, v1
	ds_bpermute_b32 v4, v4, v2
	v_and_b32_e32 v10, 63, v9
	v_cmp_gt_u32_e64 s[0:1], 48, v10
	s_waitcnt lgkmcnt(0)
	s_barrier
	v_add_f64 v[1:2], v[1:2], v[3:4]
	v_cndmask_b32_e64 v3, 0, 16, s[0:1]
	v_add_lshl_u32 v4, v3, v9, 2
	v_cmp_gt_u32_e64 s[0:1], 56, v10
	ds_bpermute_b32 v3, v4, v1
	ds_bpermute_b32 v4, v4, v2
	s_waitcnt lgkmcnt(0)
	v_add_f64 v[1:2], v[1:2], v[3:4]
	v_cndmask_b32_e64 v3, 0, 8, s[0:1]
	v_add_lshl_u32 v4, v3, v9, 2
	v_cmp_gt_u32_e64 s[0:1], 60, v10
	ds_bpermute_b32 v3, v4, v1
	ds_bpermute_b32 v4, v4, v2
	s_waitcnt lgkmcnt(0)
	;; [unrolled: 7-line block ×3, first 2 shown]
	v_add_f64 v[1:2], v[1:2], v[3:4]
	v_cndmask_b32_e64 v3, 0, 2, s[0:1]
	v_add_lshl_u32 v8, v3, v9, 2
	v_cmp_ne_u32_e64 s[0:1], 63, v10
	ds_bpermute_b32 v3, v8, v1
	ds_bpermute_b32 v4, v8, v2
	s_waitcnt lgkmcnt(0)
	v_add_f64 v[1:2], v[1:2], v[3:4]
	v_addc_co_u32_e64 v3, s[0:1], 0, v9, s[0:1]
	v_lshlrev_b32_e32 v9, 2, v3
	v_cmp_eq_u32_e64 s[0:1], 0, v6
	ds_bpermute_b32 v3, v9, v1
	ds_bpermute_b32 v4, v9, v2
	s_and_saveexec_b64 s[8:9], s[0:1]
	s_cbranch_execz .LBB269_8
; %bb.7:
	s_waitcnt lgkmcnt(0)
	v_add_f64 v[1:2], v[1:2], v[3:4]
	v_lshrrev_b32_e32 v3, 3, v0
	v_and_b32_e32 v3, 56, v3
	ds_write_b64 v3, v[1:2]
.LBB269_8:
	s_or_b64 exec, exec, s[8:9]
	v_mov_b32_e32 v1, 0
	v_mov_b32_e32 v2, 0
	v_cmp_gt_u32_e64 s[0:1], 8, v0
	s_waitcnt lgkmcnt(0)
	s_barrier
	s_and_saveexec_b64 s[8:9], s[0:1]
	s_cbranch_execnz .LBB269_12
; %bb.9:
	s_or_b64 exec, exec, s[8:9]
	s_and_saveexec_b64 s[0:1], vcc
	s_cbranch_execnz .LBB269_13
.LBB269_10:
	s_or_b64 exec, exec, s[0:1]
	v_cmp_eq_u32_e32 vcc, 0, v0
	s_and_saveexec_b64 s[0:1], vcc
	s_cbranch_execnz .LBB269_14
.LBB269_11:
	s_endpgm
.LBB269_12:
	ds_read_b64 v[1:2], v5
	s_or_b64 exec, exec, s[8:9]
	s_and_saveexec_b64 s[0:1], vcc
	s_cbranch_execz .LBB269_10
.LBB269_13:
	s_waitcnt lgkmcnt(0)
	ds_bpermute_b32 v3, v7, v1
	ds_bpermute_b32 v4, v7, v2
	s_waitcnt lgkmcnt(0)
	v_add_f64 v[1:2], v[1:2], v[3:4]
	ds_bpermute_b32 v3, v8, v1
	ds_bpermute_b32 v4, v8, v2
	s_waitcnt lgkmcnt(0)
	v_add_f64 v[1:2], v[1:2], v[3:4]
	;; [unrolled: 4-line block ×3, first 2 shown]
	s_or_b64 exec, exec, s[0:1]
	v_cmp_eq_u32_e32 vcc, 0, v0
	s_and_saveexec_b64 s[0:1], vcc
	s_cbranch_execz .LBB269_11
.LBB269_14:
	s_cmp_lg_u32 s10, 1
	s_mov_b64 s[0:1], -1
	s_cbranch_scc0 .LBB269_16
; %bb.15:
	s_load_dwordx2 s[0:1], s[4:5], 0x40
	s_mul_hi_u32 s9, s10, s2
	s_mul_i32 s8, s10, s2
	s_lshl_b64 s[8:9], s[8:9], 3
	s_mov_b32 s7, 0
	s_waitcnt lgkmcnt(0)
	s_add_u32 s8, s0, s8
	s_addc_u32 s9, s1, s9
	s_lshl_b64 s[0:1], s[6:7], 3
	s_add_u32 s0, s8, s0
	s_addc_u32 s1, s9, s1
	v_mov_b32_e32 v0, 0
	global_store_dwordx2 v0, v[1:2], s[0:1]
	s_mov_b64 s[0:1], 0
.LBB269_16:
	s_andn2_b64 vcc, exec, s[0:1]
	s_cbranch_vccnz .LBB269_11
; %bb.17:
	s_load_dwordx2 s[0:1], s[4:5], 0x48
	s_lshl_b64 s[2:3], s[2:3], 3
	v_mov_b32_e32 v0, 0
	s_waitcnt lgkmcnt(0)
	s_add_u32 s0, s0, s2
	s_addc_u32 s1, s1, s3
	global_store_dwordx2 v0, v[1:2], s[0:1]
	s_endpgm
	.section	.rodata,"a",@progbits
	.p2align	6, 0x0
	.amdhsa_kernel _ZL23rocblas_dot_kernel_inc1ILb0ELi512ELi2ELb1EdPKPKddEviT4_llS4_lliPT5_PT3_
		.amdhsa_group_segment_fixed_size 512
		.amdhsa_private_segment_fixed_size 0
		.amdhsa_kernarg_size 336
		.amdhsa_user_sgpr_count 6
		.amdhsa_user_sgpr_private_segment_buffer 1
		.amdhsa_user_sgpr_dispatch_ptr 0
		.amdhsa_user_sgpr_queue_ptr 0
		.amdhsa_user_sgpr_kernarg_segment_ptr 1
		.amdhsa_user_sgpr_dispatch_id 0
		.amdhsa_user_sgpr_flat_scratch_init 0
		.amdhsa_user_sgpr_private_segment_size 0
		.amdhsa_uses_dynamic_stack 0
		.amdhsa_system_sgpr_private_segment_wavefront_offset 0
		.amdhsa_system_sgpr_workgroup_id_x 1
		.amdhsa_system_sgpr_workgroup_id_y 0
		.amdhsa_system_sgpr_workgroup_id_z 1
		.amdhsa_system_sgpr_workgroup_info 0
		.amdhsa_system_vgpr_workitem_id 0
		.amdhsa_next_free_vgpr 11
		.amdhsa_next_free_sgpr 20
		.amdhsa_reserve_vcc 1
		.amdhsa_reserve_flat_scratch 0
		.amdhsa_float_round_mode_32 0
		.amdhsa_float_round_mode_16_64 0
		.amdhsa_float_denorm_mode_32 3
		.amdhsa_float_denorm_mode_16_64 3
		.amdhsa_dx10_clamp 1
		.amdhsa_ieee_mode 1
		.amdhsa_fp16_overflow 0
		.amdhsa_exception_fp_ieee_invalid_op 0
		.amdhsa_exception_fp_denorm_src 0
		.amdhsa_exception_fp_ieee_div_zero 0
		.amdhsa_exception_fp_ieee_overflow 0
		.amdhsa_exception_fp_ieee_underflow 0
		.amdhsa_exception_fp_ieee_inexact 0
		.amdhsa_exception_int_div_zero 0
	.end_amdhsa_kernel
	.section	.text._ZL23rocblas_dot_kernel_inc1ILb0ELi512ELi2ELb1EdPKPKddEviT4_llS4_lliPT5_PT3_,"axG",@progbits,_ZL23rocblas_dot_kernel_inc1ILb0ELi512ELi2ELb1EdPKPKddEviT4_llS4_lliPT5_PT3_,comdat
.Lfunc_end269:
	.size	_ZL23rocblas_dot_kernel_inc1ILb0ELi512ELi2ELb1EdPKPKddEviT4_llS4_lliPT5_PT3_, .Lfunc_end269-_ZL23rocblas_dot_kernel_inc1ILb0ELi512ELi2ELb1EdPKPKddEviT4_llS4_lliPT5_PT3_
                                        ; -- End function
	.set _ZL23rocblas_dot_kernel_inc1ILb0ELi512ELi2ELb1EdPKPKddEviT4_llS4_lliPT5_PT3_.num_vgpr, 11
	.set _ZL23rocblas_dot_kernel_inc1ILb0ELi512ELi2ELb1EdPKPKddEviT4_llS4_lliPT5_PT3_.num_agpr, 0
	.set _ZL23rocblas_dot_kernel_inc1ILb0ELi512ELi2ELb1EdPKPKddEviT4_llS4_lliPT5_PT3_.numbered_sgpr, 20
	.set _ZL23rocblas_dot_kernel_inc1ILb0ELi512ELi2ELb1EdPKPKddEviT4_llS4_lliPT5_PT3_.num_named_barrier, 0
	.set _ZL23rocblas_dot_kernel_inc1ILb0ELi512ELi2ELb1EdPKPKddEviT4_llS4_lliPT5_PT3_.private_seg_size, 0
	.set _ZL23rocblas_dot_kernel_inc1ILb0ELi512ELi2ELb1EdPKPKddEviT4_llS4_lliPT5_PT3_.uses_vcc, 1
	.set _ZL23rocblas_dot_kernel_inc1ILb0ELi512ELi2ELb1EdPKPKddEviT4_llS4_lliPT5_PT3_.uses_flat_scratch, 0
	.set _ZL23rocblas_dot_kernel_inc1ILb0ELi512ELi2ELb1EdPKPKddEviT4_llS4_lliPT5_PT3_.has_dyn_sized_stack, 0
	.set _ZL23rocblas_dot_kernel_inc1ILb0ELi512ELi2ELb1EdPKPKddEviT4_llS4_lliPT5_PT3_.has_recursion, 0
	.set _ZL23rocblas_dot_kernel_inc1ILb0ELi512ELi2ELb1EdPKPKddEviT4_llS4_lliPT5_PT3_.has_indirect_call, 0
	.section	.AMDGPU.csdata,"",@progbits
; Kernel info:
; codeLenInByte = 1016
; TotalNumSgprs: 24
; NumVgprs: 11
; ScratchSize: 0
; MemoryBound: 0
; FloatMode: 240
; IeeeMode: 1
; LDSByteSize: 512 bytes/workgroup (compile time only)
; SGPRBlocks: 2
; VGPRBlocks: 2
; NumSGPRsForWavesPerEU: 24
; NumVGPRsForWavesPerEU: 11
; Occupancy: 10
; WaveLimiterHint : 1
; COMPUTE_PGM_RSRC2:SCRATCH_EN: 0
; COMPUTE_PGM_RSRC2:USER_SGPR: 6
; COMPUTE_PGM_RSRC2:TRAP_HANDLER: 0
; COMPUTE_PGM_RSRC2:TGID_X_EN: 1
; COMPUTE_PGM_RSRC2:TGID_Y_EN: 0
; COMPUTE_PGM_RSRC2:TGID_Z_EN: 1
; COMPUTE_PGM_RSRC2:TIDIG_COMP_CNT: 0
	.section	.text._ZL18rocblas_dot_kernelIiLb0ELi512ELi2ELb1EdPKPKddEviT5_lT_lS4_lS5_liPT6_PT4_,"axG",@progbits,_ZL18rocblas_dot_kernelIiLb0ELi512ELi2ELb1EdPKPKddEviT5_lT_lS4_lS5_liPT6_PT4_,comdat
	.globl	_ZL18rocblas_dot_kernelIiLb0ELi512ELi2ELb1EdPKPKddEviT5_lT_lS4_lS5_liPT6_PT4_ ; -- Begin function _ZL18rocblas_dot_kernelIiLb0ELi512ELi2ELb1EdPKPKddEviT5_lT_lS4_lS5_liPT6_PT4_
	.p2align	8
	.type	_ZL18rocblas_dot_kernelIiLb0ELi512ELi2ELb1EdPKPKddEviT5_lT_lS4_lS5_liPT6_PT4_,@function
_ZL18rocblas_dot_kernelIiLb0ELi512ELi2ELb1EdPKPKddEviT5_lT_lS4_lS5_liPT6_PT4_: ; @_ZL18rocblas_dot_kernelIiLb0ELi512ELi2ELb1EdPKPKddEviT5_lT_lS4_lS5_liPT6_PT4_
; %bb.0:
	s_mov_b32 s2, s7
	s_load_dword s7, s[4:5], 0x0
	s_load_dword s10, s[4:5], 0x60
	v_lshl_or_b32 v3, s6, 9, v0
	v_mov_b32_e32 v1, 0
	s_mov_b32 s3, 0
	v_mov_b32_e32 v2, 0
	s_waitcnt lgkmcnt(0)
	v_cmp_gt_i32_e32 vcc, s7, v3
	s_and_saveexec_b64 s[0:1], vcc
	s_cbranch_execz .LBB270_4
; %bb.1:
	s_load_dwordx4 s[16:19], s[4:5], 0x8
	s_load_dword s11, s[4:5], 0x18
	s_load_dword s12, s[4:5], 0x38
	s_lshl_b64 s[8:9], s[2:3], 3
	s_waitcnt lgkmcnt(0)
	s_add_u32 s14, s16, s8
	s_addc_u32 s15, s17, s9
	s_load_dwordx2 s[16:17], s[14:15], 0x0
	s_load_dwordx4 s[20:23], s[4:5], 0x28
	v_mad_i64_i32 v[1:2], s[14:15], v3, s12, 0
	s_lshl_b64 s[14:15], s[18:19], 3
	s_waitcnt lgkmcnt(0)
	s_add_u32 s13, s16, s14
	s_addc_u32 s14, s17, s15
	s_add_u32 s8, s20, s8
	s_addc_u32 s9, s21, s9
	s_load_dwordx2 s[8:9], s[8:9], 0x0
	v_mad_i64_i32 v[3:4], s[16:17], v3, s11, 0
	s_lshl_b64 s[16:17], s[22:23], 3
	v_lshlrev_b64 v[1:2], 3, v[1:2]
	s_waitcnt lgkmcnt(0)
	s_add_u32 s15, s8, s16
	s_addc_u32 s16, s9, s17
	v_mov_b32_e32 v5, s16
	v_add_co_u32_e32 v1, vcc, s15, v1
	v_lshlrev_b64 v[3:4], 3, v[3:4]
	v_addc_co_u32_e32 v2, vcc, v5, v2, vcc
	v_mov_b32_e32 v5, s14
	v_add_co_u32_e32 v3, vcc, s13, v3
	v_addc_co_u32_e32 v4, vcc, v5, v4, vcc
	flat_load_dwordx2 v[1:2], v[1:2]
	s_add_i32 s8, s6, s10
	flat_load_dwordx2 v[3:4], v[3:4]
	s_waitcnt vmcnt(0) lgkmcnt(0)
	v_fma_f64 v[1:2], v[1:2], v[3:4], 0
	v_lshl_or_b32 v3, s8, 9, v0
	v_cmp_gt_i32_e32 vcc, s7, v3
	s_and_saveexec_b64 s[8:9], vcc
	s_cbranch_execz .LBB270_3
; %bb.2:
	v_mad_i64_i32 v[4:5], s[18:19], v3, s12, 0
	v_mov_b32_e32 v8, s16
	v_mad_i64_i32 v[6:7], s[16:17], v3, s11, 0
	v_lshlrev_b64 v[4:5], 3, v[4:5]
	v_add_co_u32_e32 v3, vcc, s15, v4
	v_addc_co_u32_e32 v4, vcc, v8, v5, vcc
	v_lshlrev_b64 v[5:6], 3, v[6:7]
	v_mov_b32_e32 v7, s14
	v_add_co_u32_e32 v5, vcc, s13, v5
	v_addc_co_u32_e32 v6, vcc, v7, v6, vcc
	flat_load_dwordx2 v[3:4], v[3:4]
	s_nop 0
	flat_load_dwordx2 v[5:6], v[5:6]
	s_waitcnt vmcnt(0) lgkmcnt(0)
	v_fma_f64 v[1:2], v[3:4], v[5:6], v[1:2]
.LBB270_3:
	s_or_b64 exec, exec, s[8:9]
.LBB270_4:
	s_or_b64 exec, exec, s[0:1]
	v_and_b32_e32 v6, 63, v0
	v_cmp_gt_u32_e32 vcc, 64, v0
	v_lshlrev_b32_e32 v5, 3, v6
	s_and_saveexec_b64 s[0:1], vcc
; %bb.5:
	v_mov_b32_e32 v3, 0
	v_mov_b32_e32 v4, v3
	ds_write_b64 v5, v[3:4]
; %bb.6:
	s_or_b64 exec, exec, s[0:1]
	v_mbcnt_lo_u32_b32 v3, -1, 0
	v_mbcnt_hi_u32_b32 v9, -1, v3
	v_mov_b32_e32 v3, 0x80
	v_lshl_or_b32 v4, v9, 2, v3
	ds_bpermute_b32 v3, v4, v1
	ds_bpermute_b32 v4, v4, v2
	v_and_b32_e32 v10, 63, v9
	v_cmp_gt_u32_e64 s[0:1], 48, v10
	s_waitcnt lgkmcnt(0)
	s_barrier
	v_add_f64 v[1:2], v[1:2], v[3:4]
	v_cndmask_b32_e64 v3, 0, 16, s[0:1]
	v_add_lshl_u32 v4, v3, v9, 2
	v_cmp_gt_u32_e64 s[0:1], 56, v10
	ds_bpermute_b32 v3, v4, v1
	ds_bpermute_b32 v4, v4, v2
	s_waitcnt lgkmcnt(0)
	v_add_f64 v[1:2], v[1:2], v[3:4]
	v_cndmask_b32_e64 v3, 0, 8, s[0:1]
	v_add_lshl_u32 v4, v3, v9, 2
	v_cmp_gt_u32_e64 s[0:1], 60, v10
	ds_bpermute_b32 v3, v4, v1
	ds_bpermute_b32 v4, v4, v2
	s_waitcnt lgkmcnt(0)
	;; [unrolled: 7-line block ×3, first 2 shown]
	v_add_f64 v[1:2], v[1:2], v[3:4]
	v_cndmask_b32_e64 v3, 0, 2, s[0:1]
	v_add_lshl_u32 v8, v3, v9, 2
	v_cmp_ne_u32_e64 s[0:1], 63, v10
	ds_bpermute_b32 v3, v8, v1
	ds_bpermute_b32 v4, v8, v2
	s_waitcnt lgkmcnt(0)
	v_add_f64 v[1:2], v[1:2], v[3:4]
	v_addc_co_u32_e64 v3, s[0:1], 0, v9, s[0:1]
	v_lshlrev_b32_e32 v9, 2, v3
	v_cmp_eq_u32_e64 s[0:1], 0, v6
	ds_bpermute_b32 v3, v9, v1
	ds_bpermute_b32 v4, v9, v2
	s_and_saveexec_b64 s[8:9], s[0:1]
	s_cbranch_execz .LBB270_8
; %bb.7:
	s_waitcnt lgkmcnt(0)
	v_add_f64 v[1:2], v[1:2], v[3:4]
	v_lshrrev_b32_e32 v3, 3, v0
	v_and_b32_e32 v3, 56, v3
	ds_write_b64 v3, v[1:2]
.LBB270_8:
	s_or_b64 exec, exec, s[8:9]
	v_mov_b32_e32 v1, 0
	v_mov_b32_e32 v2, 0
	v_cmp_gt_u32_e64 s[0:1], 8, v0
	s_waitcnt lgkmcnt(0)
	s_barrier
	s_and_saveexec_b64 s[8:9], s[0:1]
	s_cbranch_execnz .LBB270_12
; %bb.9:
	s_or_b64 exec, exec, s[8:9]
	s_and_saveexec_b64 s[0:1], vcc
	s_cbranch_execnz .LBB270_13
.LBB270_10:
	s_or_b64 exec, exec, s[0:1]
	v_cmp_eq_u32_e32 vcc, 0, v0
	s_and_saveexec_b64 s[0:1], vcc
	s_cbranch_execnz .LBB270_14
.LBB270_11:
	s_endpgm
.LBB270_12:
	ds_read_b64 v[1:2], v5
	s_or_b64 exec, exec, s[8:9]
	s_and_saveexec_b64 s[0:1], vcc
	s_cbranch_execz .LBB270_10
.LBB270_13:
	s_waitcnt lgkmcnt(0)
	ds_bpermute_b32 v3, v7, v1
	ds_bpermute_b32 v4, v7, v2
	s_waitcnt lgkmcnt(0)
	v_add_f64 v[1:2], v[1:2], v[3:4]
	ds_bpermute_b32 v3, v8, v1
	ds_bpermute_b32 v4, v8, v2
	s_waitcnt lgkmcnt(0)
	v_add_f64 v[1:2], v[1:2], v[3:4]
	;; [unrolled: 4-line block ×3, first 2 shown]
	s_or_b64 exec, exec, s[0:1]
	v_cmp_eq_u32_e32 vcc, 0, v0
	s_and_saveexec_b64 s[0:1], vcc
	s_cbranch_execz .LBB270_11
.LBB270_14:
	s_cmp_lg_u32 s10, 1
	s_mov_b64 s[0:1], -1
	s_cbranch_scc0 .LBB270_16
; %bb.15:
	s_load_dwordx2 s[0:1], s[4:5], 0x50
	s_mul_hi_u32 s9, s10, s2
	s_mul_i32 s8, s10, s2
	s_lshl_b64 s[8:9], s[8:9], 3
	s_mov_b32 s7, 0
	s_waitcnt lgkmcnt(0)
	s_add_u32 s8, s0, s8
	s_addc_u32 s9, s1, s9
	s_lshl_b64 s[0:1], s[6:7], 3
	s_add_u32 s0, s8, s0
	s_addc_u32 s1, s9, s1
	v_mov_b32_e32 v0, 0
	global_store_dwordx2 v0, v[1:2], s[0:1]
	s_mov_b64 s[0:1], 0
.LBB270_16:
	s_andn2_b64 vcc, exec, s[0:1]
	s_cbranch_vccnz .LBB270_11
; %bb.17:
	s_load_dwordx2 s[0:1], s[4:5], 0x58
	s_lshl_b64 s[2:3], s[2:3], 3
	v_mov_b32_e32 v0, 0
	s_waitcnt lgkmcnt(0)
	s_add_u32 s0, s0, s2
	s_addc_u32 s1, s1, s3
	global_store_dwordx2 v0, v[1:2], s[0:1]
	s_endpgm
	.section	.rodata,"a",@progbits
	.p2align	6, 0x0
	.amdhsa_kernel _ZL18rocblas_dot_kernelIiLb0ELi512ELi2ELb1EdPKPKddEviT5_lT_lS4_lS5_liPT6_PT4_
		.amdhsa_group_segment_fixed_size 512
		.amdhsa_private_segment_fixed_size 0
		.amdhsa_kernarg_size 352
		.amdhsa_user_sgpr_count 6
		.amdhsa_user_sgpr_private_segment_buffer 1
		.amdhsa_user_sgpr_dispatch_ptr 0
		.amdhsa_user_sgpr_queue_ptr 0
		.amdhsa_user_sgpr_kernarg_segment_ptr 1
		.amdhsa_user_sgpr_dispatch_id 0
		.amdhsa_user_sgpr_flat_scratch_init 0
		.amdhsa_user_sgpr_private_segment_size 0
		.amdhsa_uses_dynamic_stack 0
		.amdhsa_system_sgpr_private_segment_wavefront_offset 0
		.amdhsa_system_sgpr_workgroup_id_x 1
		.amdhsa_system_sgpr_workgroup_id_y 0
		.amdhsa_system_sgpr_workgroup_id_z 1
		.amdhsa_system_sgpr_workgroup_info 0
		.amdhsa_system_vgpr_workitem_id 0
		.amdhsa_next_free_vgpr 11
		.amdhsa_next_free_sgpr 24
		.amdhsa_reserve_vcc 1
		.amdhsa_reserve_flat_scratch 0
		.amdhsa_float_round_mode_32 0
		.amdhsa_float_round_mode_16_64 0
		.amdhsa_float_denorm_mode_32 3
		.amdhsa_float_denorm_mode_16_64 3
		.amdhsa_dx10_clamp 1
		.amdhsa_ieee_mode 1
		.amdhsa_fp16_overflow 0
		.amdhsa_exception_fp_ieee_invalid_op 0
		.amdhsa_exception_fp_denorm_src 0
		.amdhsa_exception_fp_ieee_div_zero 0
		.amdhsa_exception_fp_ieee_overflow 0
		.amdhsa_exception_fp_ieee_underflow 0
		.amdhsa_exception_fp_ieee_inexact 0
		.amdhsa_exception_int_div_zero 0
	.end_amdhsa_kernel
	.section	.text._ZL18rocblas_dot_kernelIiLb0ELi512ELi2ELb1EdPKPKddEviT5_lT_lS4_lS5_liPT6_PT4_,"axG",@progbits,_ZL18rocblas_dot_kernelIiLb0ELi512ELi2ELb1EdPKPKddEviT5_lT_lS4_lS5_liPT6_PT4_,comdat
.Lfunc_end270:
	.size	_ZL18rocblas_dot_kernelIiLb0ELi512ELi2ELb1EdPKPKddEviT5_lT_lS4_lS5_liPT6_PT4_, .Lfunc_end270-_ZL18rocblas_dot_kernelIiLb0ELi512ELi2ELb1EdPKPKddEviT5_lT_lS4_lS5_liPT6_PT4_
                                        ; -- End function
	.set _ZL18rocblas_dot_kernelIiLb0ELi512ELi2ELb1EdPKPKddEviT5_lT_lS4_lS5_liPT6_PT4_.num_vgpr, 11
	.set _ZL18rocblas_dot_kernelIiLb0ELi512ELi2ELb1EdPKPKddEviT5_lT_lS4_lS5_liPT6_PT4_.num_agpr, 0
	.set _ZL18rocblas_dot_kernelIiLb0ELi512ELi2ELb1EdPKPKddEviT5_lT_lS4_lS5_liPT6_PT4_.numbered_sgpr, 24
	.set _ZL18rocblas_dot_kernelIiLb0ELi512ELi2ELb1EdPKPKddEviT5_lT_lS4_lS5_liPT6_PT4_.num_named_barrier, 0
	.set _ZL18rocblas_dot_kernelIiLb0ELi512ELi2ELb1EdPKPKddEviT5_lT_lS4_lS5_liPT6_PT4_.private_seg_size, 0
	.set _ZL18rocblas_dot_kernelIiLb0ELi512ELi2ELb1EdPKPKddEviT5_lT_lS4_lS5_liPT6_PT4_.uses_vcc, 1
	.set _ZL18rocblas_dot_kernelIiLb0ELi512ELi2ELb1EdPKPKddEviT5_lT_lS4_lS5_liPT6_PT4_.uses_flat_scratch, 0
	.set _ZL18rocblas_dot_kernelIiLb0ELi512ELi2ELb1EdPKPKddEviT5_lT_lS4_lS5_liPT6_PT4_.has_dyn_sized_stack, 0
	.set _ZL18rocblas_dot_kernelIiLb0ELi512ELi2ELb1EdPKPKddEviT5_lT_lS4_lS5_liPT6_PT4_.has_recursion, 0
	.set _ZL18rocblas_dot_kernelIiLb0ELi512ELi2ELb1EdPKPKddEviT5_lT_lS4_lS5_liPT6_PT4_.has_indirect_call, 0
	.section	.AMDGPU.csdata,"",@progbits
; Kernel info:
; codeLenInByte = 1072
; TotalNumSgprs: 28
; NumVgprs: 11
; ScratchSize: 0
; MemoryBound: 0
; FloatMode: 240
; IeeeMode: 1
; LDSByteSize: 512 bytes/workgroup (compile time only)
; SGPRBlocks: 3
; VGPRBlocks: 2
; NumSGPRsForWavesPerEU: 28
; NumVGPRsForWavesPerEU: 11
; Occupancy: 10
; WaveLimiterHint : 1
; COMPUTE_PGM_RSRC2:SCRATCH_EN: 0
; COMPUTE_PGM_RSRC2:USER_SGPR: 6
; COMPUTE_PGM_RSRC2:TRAP_HANDLER: 0
; COMPUTE_PGM_RSRC2:TGID_X_EN: 1
; COMPUTE_PGM_RSRC2:TGID_Y_EN: 0
; COMPUTE_PGM_RSRC2:TGID_Z_EN: 1
; COMPUTE_PGM_RSRC2:TIDIG_COMP_CNT: 0
	.section	.text._ZL24rocblas_dot_kernel_magsqIiLb0ELi512ELi2ELb1EdPKPKddEviT5_lT_liPT6_PT4_,"axG",@progbits,_ZL24rocblas_dot_kernel_magsqIiLb0ELi512ELi2ELb1EdPKPKddEviT5_lT_liPT6_PT4_,comdat
	.globl	_ZL24rocblas_dot_kernel_magsqIiLb0ELi512ELi2ELb1EdPKPKddEviT5_lT_liPT6_PT4_ ; -- Begin function _ZL24rocblas_dot_kernel_magsqIiLb0ELi512ELi2ELb1EdPKPKddEviT5_lT_liPT6_PT4_
	.p2align	8
	.type	_ZL24rocblas_dot_kernel_magsqIiLb0ELi512ELi2ELb1EdPKPKddEviT5_lT_liPT6_PT4_,@function
_ZL24rocblas_dot_kernel_magsqIiLb0ELi512ELi2ELb1EdPKPKddEviT5_lT_liPT6_PT4_: ; @_ZL24rocblas_dot_kernel_magsqIiLb0ELi512ELi2ELb1EdPKPKddEviT5_lT_liPT6_PT4_
; %bb.0:
	s_mov_b32 s2, s7
	s_load_dword s7, s[4:5], 0x0
	s_load_dword s10, s[4:5], 0x40
	v_lshl_or_b32 v3, s6, 9, v0
	v_mov_b32_e32 v1, 0
	s_mov_b32 s3, 0
	v_mov_b32_e32 v2, 0
	s_waitcnt lgkmcnt(0)
	v_cmp_gt_i32_e32 vcc, s7, v3
	s_and_saveexec_b64 s[0:1], vcc
	s_cbranch_execz .LBB271_4
; %bb.1:
	s_load_dwordx4 s[12:15], s[4:5], 0x8
	s_load_dword s11, s[4:5], 0x18
	s_lshl_b64 s[8:9], s[2:3], 3
	s_waitcnt lgkmcnt(0)
	s_add_u32 s8, s12, s8
	s_addc_u32 s9, s13, s9
	s_load_dwordx2 s[8:9], s[8:9], 0x0
	v_mad_i64_i32 v[1:2], s[16:17], v3, s11, 0
	s_lshl_b64 s[12:13], s[14:15], 3
	v_lshlrev_b64 v[1:2], 3, v[1:2]
	s_waitcnt lgkmcnt(0)
	s_add_u32 s12, s8, s12
	s_addc_u32 s13, s9, s13
	v_mov_b32_e32 v3, s13
	v_add_co_u32_e32 v1, vcc, s12, v1
	v_addc_co_u32_e32 v2, vcc, v3, v2, vcc
	flat_load_dwordx2 v[1:2], v[1:2]
	s_add_i32 s8, s6, s10
	v_lshl_or_b32 v3, s8, 9, v0
	v_cmp_gt_i32_e32 vcc, s7, v3
	s_waitcnt vmcnt(0) lgkmcnt(0)
	v_mul_f64 v[1:2], v[1:2], v[1:2]
	s_and_saveexec_b64 s[8:9], vcc
	s_cbranch_execz .LBB271_3
; %bb.2:
	v_mad_i64_i32 v[3:4], s[14:15], v3, s11, 0
	v_mov_b32_e32 v5, s13
	v_lshlrev_b64 v[3:4], 3, v[3:4]
	v_add_co_u32_e32 v3, vcc, s12, v3
	v_addc_co_u32_e32 v4, vcc, v5, v4, vcc
	flat_load_dwordx2 v[3:4], v[3:4]
	s_waitcnt vmcnt(0) lgkmcnt(0)
	v_fma_f64 v[1:2], v[3:4], v[3:4], v[1:2]
.LBB271_3:
	s_or_b64 exec, exec, s[8:9]
.LBB271_4:
	s_or_b64 exec, exec, s[0:1]
	v_and_b32_e32 v6, 63, v0
	v_cmp_gt_u32_e32 vcc, 64, v0
	v_lshlrev_b32_e32 v5, 3, v6
	s_and_saveexec_b64 s[0:1], vcc
; %bb.5:
	v_mov_b32_e32 v3, 0
	v_mov_b32_e32 v4, v3
	ds_write_b64 v5, v[3:4]
; %bb.6:
	s_or_b64 exec, exec, s[0:1]
	v_mbcnt_lo_u32_b32 v3, -1, 0
	v_mbcnt_hi_u32_b32 v9, -1, v3
	v_mov_b32_e32 v3, 0x80
	v_lshl_or_b32 v4, v9, 2, v3
	ds_bpermute_b32 v3, v4, v1
	ds_bpermute_b32 v4, v4, v2
	v_and_b32_e32 v10, 63, v9
	v_cmp_gt_u32_e64 s[0:1], 48, v10
	s_waitcnt lgkmcnt(0)
	s_barrier
	v_add_f64 v[1:2], v[1:2], v[3:4]
	v_cndmask_b32_e64 v3, 0, 16, s[0:1]
	v_add_lshl_u32 v4, v3, v9, 2
	v_cmp_gt_u32_e64 s[0:1], 56, v10
	ds_bpermute_b32 v3, v4, v1
	ds_bpermute_b32 v4, v4, v2
	s_waitcnt lgkmcnt(0)
	v_add_f64 v[1:2], v[1:2], v[3:4]
	v_cndmask_b32_e64 v3, 0, 8, s[0:1]
	v_add_lshl_u32 v4, v3, v9, 2
	v_cmp_gt_u32_e64 s[0:1], 60, v10
	ds_bpermute_b32 v3, v4, v1
	ds_bpermute_b32 v4, v4, v2
	s_waitcnt lgkmcnt(0)
	v_add_f64 v[1:2], v[1:2], v[3:4]
	v_cndmask_b32_e64 v3, 0, 4, s[0:1]
	v_add_lshl_u32 v7, v3, v9, 2
	v_cmp_gt_u32_e64 s[0:1], 62, v10
	ds_bpermute_b32 v3, v7, v1
	ds_bpermute_b32 v4, v7, v2
	s_waitcnt lgkmcnt(0)
	v_add_f64 v[1:2], v[1:2], v[3:4]
	v_cndmask_b32_e64 v3, 0, 2, s[0:1]
	v_add_lshl_u32 v8, v3, v9, 2
	v_cmp_ne_u32_e64 s[0:1], 63, v10
	ds_bpermute_b32 v3, v8, v1
	ds_bpermute_b32 v4, v8, v2
	s_waitcnt lgkmcnt(0)
	v_add_f64 v[1:2], v[1:2], v[3:4]
	v_addc_co_u32_e64 v3, s[0:1], 0, v9, s[0:1]
	v_lshlrev_b32_e32 v9, 2, v3
	v_cmp_eq_u32_e64 s[0:1], 0, v6
	ds_bpermute_b32 v3, v9, v1
	ds_bpermute_b32 v4, v9, v2
	s_and_saveexec_b64 s[8:9], s[0:1]
	s_cbranch_execz .LBB271_8
; %bb.7:
	s_waitcnt lgkmcnt(0)
	v_add_f64 v[1:2], v[1:2], v[3:4]
	v_lshrrev_b32_e32 v3, 3, v0
	v_and_b32_e32 v3, 56, v3
	ds_write_b64 v3, v[1:2]
.LBB271_8:
	s_or_b64 exec, exec, s[8:9]
	v_mov_b32_e32 v1, 0
	v_mov_b32_e32 v2, 0
	v_cmp_gt_u32_e64 s[0:1], 8, v0
	s_waitcnt lgkmcnt(0)
	s_barrier
	s_and_saveexec_b64 s[8:9], s[0:1]
	s_cbranch_execnz .LBB271_12
; %bb.9:
	s_or_b64 exec, exec, s[8:9]
	s_and_saveexec_b64 s[0:1], vcc
	s_cbranch_execnz .LBB271_13
.LBB271_10:
	s_or_b64 exec, exec, s[0:1]
	v_cmp_eq_u32_e32 vcc, 0, v0
	s_and_saveexec_b64 s[0:1], vcc
	s_cbranch_execnz .LBB271_14
.LBB271_11:
	s_endpgm
.LBB271_12:
	ds_read_b64 v[1:2], v5
	s_or_b64 exec, exec, s[8:9]
	s_and_saveexec_b64 s[0:1], vcc
	s_cbranch_execz .LBB271_10
.LBB271_13:
	s_waitcnt lgkmcnt(0)
	ds_bpermute_b32 v3, v7, v1
	ds_bpermute_b32 v4, v7, v2
	s_waitcnt lgkmcnt(0)
	v_add_f64 v[1:2], v[1:2], v[3:4]
	ds_bpermute_b32 v3, v8, v1
	ds_bpermute_b32 v4, v8, v2
	s_waitcnt lgkmcnt(0)
	v_add_f64 v[1:2], v[1:2], v[3:4]
	;; [unrolled: 4-line block ×3, first 2 shown]
	s_or_b64 exec, exec, s[0:1]
	v_cmp_eq_u32_e32 vcc, 0, v0
	s_and_saveexec_b64 s[0:1], vcc
	s_cbranch_execz .LBB271_11
.LBB271_14:
	s_cmp_lg_u32 s10, 1
	s_mov_b64 s[0:1], -1
	s_cbranch_scc0 .LBB271_16
; %bb.15:
	s_load_dwordx2 s[0:1], s[4:5], 0x30
	s_mul_hi_u32 s9, s10, s2
	s_mul_i32 s8, s10, s2
	s_lshl_b64 s[8:9], s[8:9], 3
	s_mov_b32 s7, 0
	s_waitcnt lgkmcnt(0)
	s_add_u32 s8, s0, s8
	s_addc_u32 s9, s1, s9
	s_lshl_b64 s[0:1], s[6:7], 3
	s_add_u32 s0, s8, s0
	s_addc_u32 s1, s9, s1
	v_mov_b32_e32 v0, 0
	global_store_dwordx2 v0, v[1:2], s[0:1]
	s_mov_b64 s[0:1], 0
.LBB271_16:
	s_andn2_b64 vcc, exec, s[0:1]
	s_cbranch_vccnz .LBB271_11
; %bb.17:
	s_load_dwordx2 s[0:1], s[4:5], 0x38
	s_lshl_b64 s[2:3], s[2:3], 3
	v_mov_b32_e32 v0, 0
	s_waitcnt lgkmcnt(0)
	s_add_u32 s0, s0, s2
	s_addc_u32 s1, s1, s3
	global_store_dwordx2 v0, v[1:2], s[0:1]
	s_endpgm
	.section	.rodata,"a",@progbits
	.p2align	6, 0x0
	.amdhsa_kernel _ZL24rocblas_dot_kernel_magsqIiLb0ELi512ELi2ELb1EdPKPKddEviT5_lT_liPT6_PT4_
		.amdhsa_group_segment_fixed_size 512
		.amdhsa_private_segment_fixed_size 0
		.amdhsa_kernarg_size 320
		.amdhsa_user_sgpr_count 6
		.amdhsa_user_sgpr_private_segment_buffer 1
		.amdhsa_user_sgpr_dispatch_ptr 0
		.amdhsa_user_sgpr_queue_ptr 0
		.amdhsa_user_sgpr_kernarg_segment_ptr 1
		.amdhsa_user_sgpr_dispatch_id 0
		.amdhsa_user_sgpr_flat_scratch_init 0
		.amdhsa_user_sgpr_private_segment_size 0
		.amdhsa_uses_dynamic_stack 0
		.amdhsa_system_sgpr_private_segment_wavefront_offset 0
		.amdhsa_system_sgpr_workgroup_id_x 1
		.amdhsa_system_sgpr_workgroup_id_y 0
		.amdhsa_system_sgpr_workgroup_id_z 1
		.amdhsa_system_sgpr_workgroup_info 0
		.amdhsa_system_vgpr_workitem_id 0
		.amdhsa_next_free_vgpr 11
		.amdhsa_next_free_sgpr 18
		.amdhsa_reserve_vcc 1
		.amdhsa_reserve_flat_scratch 0
		.amdhsa_float_round_mode_32 0
		.amdhsa_float_round_mode_16_64 0
		.amdhsa_float_denorm_mode_32 3
		.amdhsa_float_denorm_mode_16_64 3
		.amdhsa_dx10_clamp 1
		.amdhsa_ieee_mode 1
		.amdhsa_fp16_overflow 0
		.amdhsa_exception_fp_ieee_invalid_op 0
		.amdhsa_exception_fp_denorm_src 0
		.amdhsa_exception_fp_ieee_div_zero 0
		.amdhsa_exception_fp_ieee_overflow 0
		.amdhsa_exception_fp_ieee_underflow 0
		.amdhsa_exception_fp_ieee_inexact 0
		.amdhsa_exception_int_div_zero 0
	.end_amdhsa_kernel
	.section	.text._ZL24rocblas_dot_kernel_magsqIiLb0ELi512ELi2ELb1EdPKPKddEviT5_lT_liPT6_PT4_,"axG",@progbits,_ZL24rocblas_dot_kernel_magsqIiLb0ELi512ELi2ELb1EdPKPKddEviT5_lT_liPT6_PT4_,comdat
.Lfunc_end271:
	.size	_ZL24rocblas_dot_kernel_magsqIiLb0ELi512ELi2ELb1EdPKPKddEviT5_lT_liPT6_PT4_, .Lfunc_end271-_ZL24rocblas_dot_kernel_magsqIiLb0ELi512ELi2ELb1EdPKPKddEviT5_lT_liPT6_PT4_
                                        ; -- End function
	.set _ZL24rocblas_dot_kernel_magsqIiLb0ELi512ELi2ELb1EdPKPKddEviT5_lT_liPT6_PT4_.num_vgpr, 11
	.set _ZL24rocblas_dot_kernel_magsqIiLb0ELi512ELi2ELb1EdPKPKddEviT5_lT_liPT6_PT4_.num_agpr, 0
	.set _ZL24rocblas_dot_kernel_magsqIiLb0ELi512ELi2ELb1EdPKPKddEviT5_lT_liPT6_PT4_.numbered_sgpr, 18
	.set _ZL24rocblas_dot_kernel_magsqIiLb0ELi512ELi2ELb1EdPKPKddEviT5_lT_liPT6_PT4_.num_named_barrier, 0
	.set _ZL24rocblas_dot_kernel_magsqIiLb0ELi512ELi2ELb1EdPKPKddEviT5_lT_liPT6_PT4_.private_seg_size, 0
	.set _ZL24rocblas_dot_kernel_magsqIiLb0ELi512ELi2ELb1EdPKPKddEviT5_lT_liPT6_PT4_.uses_vcc, 1
	.set _ZL24rocblas_dot_kernel_magsqIiLb0ELi512ELi2ELb1EdPKPKddEviT5_lT_liPT6_PT4_.uses_flat_scratch, 0
	.set _ZL24rocblas_dot_kernel_magsqIiLb0ELi512ELi2ELb1EdPKPKddEviT5_lT_liPT6_PT4_.has_dyn_sized_stack, 0
	.set _ZL24rocblas_dot_kernel_magsqIiLb0ELi512ELi2ELb1EdPKPKddEviT5_lT_liPT6_PT4_.has_recursion, 0
	.set _ZL24rocblas_dot_kernel_magsqIiLb0ELi512ELi2ELb1EdPKPKddEviT5_lT_liPT6_PT4_.has_indirect_call, 0
	.section	.AMDGPU.csdata,"",@progbits
; Kernel info:
; codeLenInByte = 948
; TotalNumSgprs: 22
; NumVgprs: 11
; ScratchSize: 0
; MemoryBound: 0
; FloatMode: 240
; IeeeMode: 1
; LDSByteSize: 512 bytes/workgroup (compile time only)
; SGPRBlocks: 2
; VGPRBlocks: 2
; NumSGPRsForWavesPerEU: 22
; NumVGPRsForWavesPerEU: 11
; Occupancy: 10
; WaveLimiterHint : 1
; COMPUTE_PGM_RSRC2:SCRATCH_EN: 0
; COMPUTE_PGM_RSRC2:USER_SGPR: 6
; COMPUTE_PGM_RSRC2:TRAP_HANDLER: 0
; COMPUTE_PGM_RSRC2:TGID_X_EN: 1
; COMPUTE_PGM_RSRC2:TGID_Y_EN: 0
; COMPUTE_PGM_RSRC2:TGID_Z_EN: 1
; COMPUTE_PGM_RSRC2:TIDIG_COMP_CNT: 0
	.section	.AMDGPU.gpr_maximums,"",@progbits
	.set amdgpu.max_num_vgpr, 0
	.set amdgpu.max_num_agpr, 0
	.set amdgpu.max_num_sgpr, 0
	.section	.AMDGPU.csdata,"",@progbits
	.type	__hip_cuid_18124cdecd9daab9,@object ; @__hip_cuid_18124cdecd9daab9
	.section	.bss,"aw",@nobits
	.globl	__hip_cuid_18124cdecd9daab9
__hip_cuid_18124cdecd9daab9:
	.byte	0                               ; 0x0
	.size	__hip_cuid_18124cdecd9daab9, 1

	.ident	"AMD clang version 22.0.0git (https://github.com/RadeonOpenCompute/llvm-project roc-7.2.4 26084 f58b06dce1f9c15707c5f808fd002e18c2accf7e)"
	.section	".note.GNU-stack","",@progbits
	.addrsig
	.addrsig_sym __hip_cuid_18124cdecd9daab9
	.amdgpu_metadata
---
amdhsa.kernels:
  - .args:
      - .offset:         0
        .size:           4
        .value_kind:     by_value
      - .actual_access:  read_only
        .address_space:  global
        .offset:         8
        .size:           8
        .value_kind:     global_buffer
      - .offset:         16
        .size:           8
        .value_kind:     by_value
      - .offset:         24
        .size:           4
        .value_kind:     by_value
      - .offset:         32
        .size:           8
        .value_kind:     by_value
      - .actual_access:  read_only
        .address_space:  global
        .offset:         40
        .size:           8
        .value_kind:     global_buffer
      - .offset:         48
        .size:           8
        .value_kind:     by_value
      - .offset:         56
        .size:           4
        .value_kind:     by_value
      - .offset:         64
        .size:           8
        .value_kind:     by_value
      - .offset:         72
        .size:           4
        .value_kind:     by_value
      - .actual_access:  write_only
        .address_space:  global
        .offset:         80
        .size:           8
        .value_kind:     global_buffer
    .group_segment_fixed_size: 0
    .kernarg_segment_align: 8
    .kernarg_segment_size: 88
    .language:       OpenCL C
    .language_version:
      - 2
      - 0
    .max_flat_workgroup_size: 128
    .name:           _ZL28rocblas_dot_batched_4_kernelIiLi32ELi4ELb0EDF16_DF16_PKDF16_EviT5_lT_lS2_lS3_liPT4_
    .private_segment_fixed_size: 0
    .sgpr_count:     26
    .sgpr_spill_count: 0
    .symbol:         _ZL28rocblas_dot_batched_4_kernelIiLi32ELi4ELb0EDF16_DF16_PKDF16_EviT5_lT_lS2_lS3_liPT4_.kd
    .uniform_work_group_size: 1
    .uses_dynamic_stack: false
    .vgpr_count:     13
    .vgpr_spill_count: 0
    .wavefront_size: 64
  - .args:
      - .offset:         0
        .size:           4
        .value_kind:     by_value
      - .actual_access:  read_only
        .address_space:  global
        .offset:         8
        .size:           8
        .value_kind:     global_buffer
      - .offset:         16
        .size:           8
        .value_kind:     by_value
      - .offset:         24
        .size:           4
        .value_kind:     by_value
      - .offset:         32
        .size:           8
        .value_kind:     by_value
      - .actual_access:  read_only
        .address_space:  global
        .offset:         40
        .size:           8
        .value_kind:     global_buffer
      - .offset:         48
        .size:           8
        .value_kind:     by_value
      - .offset:         56
        .size:           4
        .value_kind:     by_value
      - .offset:         64
        .size:           8
        .value_kind:     by_value
      - .offset:         72
        .size:           4
        .value_kind:     by_value
      - .actual_access:  write_only
        .address_space:  global
        .offset:         80
        .size:           8
        .value_kind:     global_buffer
    .group_segment_fixed_size: 0
    .kernarg_segment_align: 8
    .kernarg_segment_size: 88
    .language:       OpenCL C
    .language_version:
      - 2
      - 0
    .max_flat_workgroup_size: 256
    .name:           _ZL28rocblas_dot_batched_4_kernelIiLi64ELi4ELb0EDF16_DF16_PKDF16_EviT5_lT_lS2_lS3_liPT4_
    .private_segment_fixed_size: 0
    .sgpr_count:     26
    .sgpr_spill_count: 0
    .symbol:         _ZL28rocblas_dot_batched_4_kernelIiLi64ELi4ELb0EDF16_DF16_PKDF16_EviT5_lT_lS2_lS3_liPT4_.kd
    .uniform_work_group_size: 1
    .uses_dynamic_stack: false
    .vgpr_count:     13
    .vgpr_spill_count: 0
    .wavefront_size: 64
  - .args:
      - .offset:         0
        .size:           4
        .value_kind:     by_value
      - .actual_access:  read_only
        .address_space:  global
        .offset:         8
        .size:           8
        .value_kind:     global_buffer
      - .offset:         16
        .size:           8
        .value_kind:     by_value
      - .offset:         24
        .size:           8
        .value_kind:     by_value
      - .actual_access:  read_only
        .address_space:  global
        .offset:         32
        .size:           8
        .value_kind:     global_buffer
      - .offset:         40
        .size:           8
        .value_kind:     by_value
      - .offset:         48
        .size:           8
        .value_kind:     by_value
      - .offset:         56
        .size:           4
        .value_kind:     by_value
      - .actual_access:  read_only
        .address_space:  global
        .offset:         64
        .size:           8
        .value_kind:     global_buffer
      - .actual_access:  write_only
        .address_space:  global
        .offset:         72
        .size:           8
        .value_kind:     global_buffer
    .group_segment_fixed_size: 128
    .kernarg_segment_align: 8
    .kernarg_segment_size: 80
    .language:       OpenCL C
    .language_version:
      - 2
      - 0
    .max_flat_workgroup_size: 1024
    .name:           _ZL26rocblas_dot_kernel_inc1by2ILb1ELi1024ELi32ELb0EDF16_PKDF16_DF16_EviT4_llS2_lliPT5_PT3_
    .private_segment_fixed_size: 0
    .sgpr_count:     32
    .sgpr_spill_count: 0
    .symbol:         _ZL26rocblas_dot_kernel_inc1by2ILb1ELi1024ELi32ELb0EDF16_PKDF16_DF16_EviT4_llS2_lliPT5_PT3_.kd
    .uniform_work_group_size: 1
    .uses_dynamic_stack: false
    .vgpr_count:     10
    .vgpr_spill_count: 0
    .wavefront_size: 64
  - .args:
      - .offset:         0
        .size:           4
        .value_kind:     by_value
      - .actual_access:  read_only
        .address_space:  global
        .offset:         8
        .size:           8
        .value_kind:     global_buffer
      - .offset:         16
        .size:           8
        .value_kind:     by_value
      - .offset:         24
        .size:           4
        .value_kind:     by_value
      - .offset:         32
        .size:           8
        .value_kind:     by_value
      - .actual_access:  read_only
        .address_space:  global
        .offset:         40
        .size:           8
        .value_kind:     global_buffer
      - .offset:         48
        .size:           8
        .value_kind:     by_value
      - .offset:         56
        .size:           4
        .value_kind:     by_value
      - .offset:         64
        .size:           8
        .value_kind:     by_value
      - .offset:         72
        .size:           4
        .value_kind:     by_value
      - .actual_access:  read_only
        .address_space:  global
        .offset:         80
        .size:           8
        .value_kind:     global_buffer
      - .actual_access:  write_only
        .address_space:  global
        .offset:         88
        .size:           8
        .value_kind:     global_buffer
      - .offset:         96
        .size:           4
        .value_kind:     hidden_block_count_x
      - .offset:         100
        .size:           4
        .value_kind:     hidden_block_count_y
      - .offset:         104
        .size:           4
        .value_kind:     hidden_block_count_z
      - .offset:         108
        .size:           2
        .value_kind:     hidden_group_size_x
      - .offset:         110
        .size:           2
        .value_kind:     hidden_group_size_y
      - .offset:         112
        .size:           2
        .value_kind:     hidden_group_size_z
      - .offset:         114
        .size:           2
        .value_kind:     hidden_remainder_x
      - .offset:         116
        .size:           2
        .value_kind:     hidden_remainder_y
      - .offset:         118
        .size:           2
        .value_kind:     hidden_remainder_z
      - .offset:         136
        .size:           8
        .value_kind:     hidden_global_offset_x
      - .offset:         144
        .size:           8
        .value_kind:     hidden_global_offset_y
      - .offset:         152
        .size:           8
        .value_kind:     hidden_global_offset_z
      - .offset:         160
        .size:           2
        .value_kind:     hidden_grid_dims
    .group_segment_fixed_size: 128
    .kernarg_segment_align: 8
    .kernarg_segment_size: 352
    .language:       OpenCL C
    .language_version:
      - 2
      - 0
    .max_flat_workgroup_size: 1024
    .name:           _ZL18rocblas_dot_kernelIiLb1ELi1024ELi32ELb0EDF16_PKDF16_DF16_EviT5_lT_lS2_lS3_liPT6_PT4_
    .private_segment_fixed_size: 0
    .sgpr_count:     29
    .sgpr_spill_count: 0
    .symbol:         _ZL18rocblas_dot_kernelIiLb1ELi1024ELi32ELb0EDF16_PKDF16_DF16_EviT5_lT_lS2_lS3_liPT6_PT4_.kd
    .uniform_work_group_size: 1
    .uses_dynamic_stack: false
    .vgpr_count:     11
    .vgpr_spill_count: 0
    .wavefront_size: 64
  - .args:
      - .offset:         0
        .size:           4
        .value_kind:     by_value
      - .actual_access:  read_only
        .address_space:  global
        .offset:         8
        .size:           8
        .value_kind:     global_buffer
      - .offset:         16
        .size:           8
        .value_kind:     by_value
      - .offset:         24
        .size:           4
        .value_kind:     by_value
      - .offset:         32
        .size:           8
        .value_kind:     by_value
      - .offset:         40
        .size:           4
        .value_kind:     by_value
      - .actual_access:  read_only
        .address_space:  global
        .offset:         48
        .size:           8
        .value_kind:     global_buffer
      - .actual_access:  write_only
        .address_space:  global
        .offset:         56
        .size:           8
        .value_kind:     global_buffer
      - .offset:         64
        .size:           4
        .value_kind:     hidden_block_count_x
      - .offset:         68
        .size:           4
        .value_kind:     hidden_block_count_y
      - .offset:         72
        .size:           4
        .value_kind:     hidden_block_count_z
      - .offset:         76
        .size:           2
        .value_kind:     hidden_group_size_x
      - .offset:         78
        .size:           2
        .value_kind:     hidden_group_size_y
      - .offset:         80
        .size:           2
        .value_kind:     hidden_group_size_z
      - .offset:         82
        .size:           2
        .value_kind:     hidden_remainder_x
      - .offset:         84
        .size:           2
        .value_kind:     hidden_remainder_y
      - .offset:         86
        .size:           2
        .value_kind:     hidden_remainder_z
      - .offset:         104
        .size:           8
        .value_kind:     hidden_global_offset_x
      - .offset:         112
        .size:           8
        .value_kind:     hidden_global_offset_y
      - .offset:         120
        .size:           8
        .value_kind:     hidden_global_offset_z
      - .offset:         128
        .size:           2
        .value_kind:     hidden_grid_dims
    .group_segment_fixed_size: 128
    .kernarg_segment_align: 8
    .kernarg_segment_size: 320
    .language:       OpenCL C
    .language_version:
      - 2
      - 0
    .max_flat_workgroup_size: 1024
    .name:           _ZL24rocblas_dot_kernel_magsqIiLb1ELi1024ELi32ELb0EDF16_PKDF16_DF16_EviT5_lT_liPT6_PT4_
    .private_segment_fixed_size: 0
    .sgpr_count:     24
    .sgpr_spill_count: 0
    .symbol:         _ZL24rocblas_dot_kernel_magsqIiLb1ELi1024ELi32ELb0EDF16_PKDF16_DF16_EviT5_lT_liPT6_PT4_.kd
    .uniform_work_group_size: 1
    .uses_dynamic_stack: false
    .vgpr_count:     10
    .vgpr_spill_count: 0
    .wavefront_size: 64
  - .args:
      - .offset:         0
        .size:           4
        .value_kind:     by_value
      - .actual_access:  read_only
        .address_space:  global
        .offset:         8
        .size:           8
        .value_kind:     global_buffer
      - .offset:         16
        .size:           8
        .value_kind:     by_value
      - .offset:         24
        .size:           8
        .value_kind:     by_value
      - .actual_access:  read_only
        .address_space:  global
        .offset:         32
        .size:           8
        .value_kind:     global_buffer
      - .offset:         40
        .size:           8
        .value_kind:     by_value
      - .offset:         48
        .size:           8
        .value_kind:     by_value
      - .offset:         56
        .size:           4
        .value_kind:     by_value
      - .actual_access:  write_only
        .address_space:  global
        .offset:         64
        .size:           8
        .value_kind:     global_buffer
      - .actual_access:  write_only
        .address_space:  global
        .offset:         72
        .size:           8
        .value_kind:     global_buffer
      - .offset:         80
        .size:           4
        .value_kind:     hidden_block_count_x
      - .offset:         84
        .size:           4
        .value_kind:     hidden_block_count_y
      - .offset:         88
        .size:           4
        .value_kind:     hidden_block_count_z
      - .offset:         92
        .size:           2
        .value_kind:     hidden_group_size_x
      - .offset:         94
        .size:           2
        .value_kind:     hidden_group_size_y
      - .offset:         96
        .size:           2
        .value_kind:     hidden_group_size_z
      - .offset:         98
        .size:           2
        .value_kind:     hidden_remainder_x
      - .offset:         100
        .size:           2
        .value_kind:     hidden_remainder_y
      - .offset:         102
        .size:           2
        .value_kind:     hidden_remainder_z
      - .offset:         120
        .size:           8
        .value_kind:     hidden_global_offset_x
      - .offset:         128
        .size:           8
        .value_kind:     hidden_global_offset_y
      - .offset:         136
        .size:           8
        .value_kind:     hidden_global_offset_z
      - .offset:         144
        .size:           2
        .value_kind:     hidden_grid_dims
    .group_segment_fixed_size: 128
    .kernarg_segment_align: 8
    .kernarg_segment_size: 336
    .language:       OpenCL C
    .language_version:
      - 2
      - 0
    .max_flat_workgroup_size: 512
    .name:           _ZL23rocblas_dot_kernel_inc1ILb0ELi512ELi8ELb0EDF16_PKDF16_DF16_EviT4_llS2_lliPT5_PT3_
    .private_segment_fixed_size: 0
    .sgpr_count:     32
    .sgpr_spill_count: 0
    .symbol:         _ZL23rocblas_dot_kernel_inc1ILb0ELi512ELi8ELb0EDF16_PKDF16_DF16_EviT4_llS2_lliPT5_PT3_.kd
    .uniform_work_group_size: 1
    .uses_dynamic_stack: false
    .vgpr_count:     14
    .vgpr_spill_count: 0
    .wavefront_size: 64
  - .args:
      - .offset:         0
        .size:           4
        .value_kind:     by_value
      - .actual_access:  read_only
        .address_space:  global
        .offset:         8
        .size:           8
        .value_kind:     global_buffer
      - .offset:         16
        .size:           8
        .value_kind:     by_value
      - .offset:         24
        .size:           4
        .value_kind:     by_value
      - .offset:         32
        .size:           8
        .value_kind:     by_value
      - .actual_access:  read_only
        .address_space:  global
        .offset:         40
        .size:           8
        .value_kind:     global_buffer
      - .offset:         48
        .size:           8
        .value_kind:     by_value
      - .offset:         56
        .size:           4
        .value_kind:     by_value
      - .offset:         64
        .size:           8
        .value_kind:     by_value
      - .offset:         72
        .size:           4
        .value_kind:     by_value
      - .actual_access:  write_only
        .address_space:  global
        .offset:         80
        .size:           8
        .value_kind:     global_buffer
      - .actual_access:  write_only
        .address_space:  global
        .offset:         88
        .size:           8
        .value_kind:     global_buffer
      - .offset:         96
        .size:           4
        .value_kind:     hidden_block_count_x
      - .offset:         100
        .size:           4
        .value_kind:     hidden_block_count_y
      - .offset:         104
        .size:           4
        .value_kind:     hidden_block_count_z
      - .offset:         108
        .size:           2
        .value_kind:     hidden_group_size_x
      - .offset:         110
        .size:           2
        .value_kind:     hidden_group_size_y
      - .offset:         112
        .size:           2
        .value_kind:     hidden_group_size_z
      - .offset:         114
        .size:           2
        .value_kind:     hidden_remainder_x
      - .offset:         116
        .size:           2
        .value_kind:     hidden_remainder_y
      - .offset:         118
        .size:           2
        .value_kind:     hidden_remainder_z
      - .offset:         136
        .size:           8
        .value_kind:     hidden_global_offset_x
      - .offset:         144
        .size:           8
        .value_kind:     hidden_global_offset_y
      - .offset:         152
        .size:           8
        .value_kind:     hidden_global_offset_z
      - .offset:         160
        .size:           2
        .value_kind:     hidden_grid_dims
    .group_segment_fixed_size: 128
    .kernarg_segment_align: 8
    .kernarg_segment_size: 352
    .language:       OpenCL C
    .language_version:
      - 2
      - 0
    .max_flat_workgroup_size: 512
    .name:           _ZL18rocblas_dot_kernelIiLb0ELi512ELi8ELb0EDF16_PKDF16_DF16_EviT5_lT_lS2_lS3_liPT6_PT4_
    .private_segment_fixed_size: 0
    .sgpr_count:     32
    .sgpr_spill_count: 0
    .symbol:         _ZL18rocblas_dot_kernelIiLb0ELi512ELi8ELb0EDF16_PKDF16_DF16_EviT5_lT_lS2_lS3_liPT6_PT4_.kd
    .uniform_work_group_size: 1
    .uses_dynamic_stack: false
    .vgpr_count:     11
    .vgpr_spill_count: 0
    .wavefront_size: 64
  - .args:
      - .offset:         0
        .size:           4
        .value_kind:     by_value
      - .actual_access:  read_only
        .address_space:  global
        .offset:         8
        .size:           8
        .value_kind:     global_buffer
      - .offset:         16
        .size:           8
        .value_kind:     by_value
      - .offset:         24
        .size:           4
        .value_kind:     by_value
      - .offset:         32
        .size:           8
        .value_kind:     by_value
      - .offset:         40
        .size:           4
        .value_kind:     by_value
      - .actual_access:  write_only
        .address_space:  global
        .offset:         48
        .size:           8
        .value_kind:     global_buffer
      - .actual_access:  write_only
        .address_space:  global
        .offset:         56
        .size:           8
        .value_kind:     global_buffer
      - .offset:         64
        .size:           4
        .value_kind:     hidden_block_count_x
      - .offset:         68
        .size:           4
        .value_kind:     hidden_block_count_y
      - .offset:         72
        .size:           4
        .value_kind:     hidden_block_count_z
      - .offset:         76
        .size:           2
        .value_kind:     hidden_group_size_x
      - .offset:         78
        .size:           2
        .value_kind:     hidden_group_size_y
      - .offset:         80
        .size:           2
        .value_kind:     hidden_group_size_z
      - .offset:         82
        .size:           2
        .value_kind:     hidden_remainder_x
      - .offset:         84
        .size:           2
        .value_kind:     hidden_remainder_y
      - .offset:         86
        .size:           2
        .value_kind:     hidden_remainder_z
      - .offset:         104
        .size:           8
        .value_kind:     hidden_global_offset_x
      - .offset:         112
        .size:           8
        .value_kind:     hidden_global_offset_y
      - .offset:         120
        .size:           8
        .value_kind:     hidden_global_offset_z
      - .offset:         128
        .size:           2
        .value_kind:     hidden_grid_dims
    .group_segment_fixed_size: 128
    .kernarg_segment_align: 8
    .kernarg_segment_size: 320
    .language:       OpenCL C
    .language_version:
      - 2
      - 0
    .max_flat_workgroup_size: 512
    .name:           _ZL24rocblas_dot_kernel_magsqIiLb0ELi512ELi8ELb0EDF16_PKDF16_DF16_EviT5_lT_liPT6_PT4_
    .private_segment_fixed_size: 0
    .sgpr_count:     28
    .sgpr_spill_count: 0
    .symbol:         _ZL24rocblas_dot_kernel_magsqIiLb0ELi512ELi8ELb0EDF16_PKDF16_DF16_EviT5_lT_liPT6_PT4_.kd
    .uniform_work_group_size: 1
    .uses_dynamic_stack: false
    .vgpr_count:     9
    .vgpr_spill_count: 0
    .wavefront_size: 64
  - .args:
      - .offset:         0
        .size:           4
        .value_kind:     by_value
      - .actual_access:  read_only
        .address_space:  global
        .offset:         8
        .size:           8
        .value_kind:     global_buffer
      - .offset:         16
        .size:           8
        .value_kind:     by_value
      - .offset:         24
        .size:           4
        .value_kind:     by_value
      - .offset:         32
        .size:           8
        .value_kind:     by_value
      - .actual_access:  read_only
        .address_space:  global
        .offset:         40
        .size:           8
        .value_kind:     global_buffer
      - .offset:         48
        .size:           8
        .value_kind:     by_value
      - .offset:         56
        .size:           4
        .value_kind:     by_value
      - .offset:         64
        .size:           8
        .value_kind:     by_value
      - .offset:         72
        .size:           4
        .value_kind:     by_value
      - .actual_access:  write_only
        .address_space:  global
        .offset:         80
        .size:           8
        .value_kind:     global_buffer
    .group_segment_fixed_size: 0
    .kernarg_segment_align: 8
    .kernarg_segment_size: 88
    .language:       OpenCL C
    .language_version:
      - 2
      - 0
    .max_flat_workgroup_size: 128
    .name:           _ZL28rocblas_dot_batched_4_kernelIiLi32ELi4ELb0Ef16rocblas_bfloat16PKS0_EviT5_lT_lS3_lS4_liPT4_
    .private_segment_fixed_size: 0
    .sgpr_count:     26
    .sgpr_spill_count: 0
    .symbol:         _ZL28rocblas_dot_batched_4_kernelIiLi32ELi4ELb0Ef16rocblas_bfloat16PKS0_EviT5_lT_lS3_lS4_liPT4_.kd
    .uniform_work_group_size: 1
    .uses_dynamic_stack: false
    .vgpr_count:     13
    .vgpr_spill_count: 0
    .wavefront_size: 64
  - .args:
      - .offset:         0
        .size:           4
        .value_kind:     by_value
      - .actual_access:  read_only
        .address_space:  global
        .offset:         8
        .size:           8
        .value_kind:     global_buffer
      - .offset:         16
        .size:           8
        .value_kind:     by_value
      - .offset:         24
        .size:           4
        .value_kind:     by_value
      - .offset:         32
        .size:           8
        .value_kind:     by_value
      - .actual_access:  read_only
        .address_space:  global
        .offset:         40
        .size:           8
        .value_kind:     global_buffer
      - .offset:         48
        .size:           8
        .value_kind:     by_value
      - .offset:         56
        .size:           4
        .value_kind:     by_value
      - .offset:         64
        .size:           8
        .value_kind:     by_value
      - .offset:         72
        .size:           4
        .value_kind:     by_value
      - .actual_access:  write_only
        .address_space:  global
        .offset:         80
        .size:           8
        .value_kind:     global_buffer
    .group_segment_fixed_size: 0
    .kernarg_segment_align: 8
    .kernarg_segment_size: 88
    .language:       OpenCL C
    .language_version:
      - 2
      - 0
    .max_flat_workgroup_size: 256
    .name:           _ZL28rocblas_dot_batched_4_kernelIiLi64ELi4ELb0Ef16rocblas_bfloat16PKS0_EviT5_lT_lS3_lS4_liPT4_
    .private_segment_fixed_size: 0
    .sgpr_count:     26
    .sgpr_spill_count: 0
    .symbol:         _ZL28rocblas_dot_batched_4_kernelIiLi64ELi4ELb0Ef16rocblas_bfloat16PKS0_EviT5_lT_lS3_lS4_liPT4_.kd
    .uniform_work_group_size: 1
    .uses_dynamic_stack: false
    .vgpr_count:     13
    .vgpr_spill_count: 0
    .wavefront_size: 64
  - .args:
      - .offset:         0
        .size:           4
        .value_kind:     by_value
      - .actual_access:  read_only
        .address_space:  global
        .offset:         8
        .size:           8
        .value_kind:     global_buffer
      - .offset:         16
        .size:           8
        .value_kind:     by_value
      - .offset:         24
        .size:           8
        .value_kind:     by_value
      - .actual_access:  read_only
        .address_space:  global
        .offset:         32
        .size:           8
        .value_kind:     global_buffer
      - .offset:         40
        .size:           8
        .value_kind:     by_value
      - .offset:         48
        .size:           8
        .value_kind:     by_value
      - .offset:         56
        .size:           4
        .value_kind:     by_value
      - .actual_access:  read_only
        .address_space:  global
        .offset:         64
        .size:           8
        .value_kind:     global_buffer
      - .actual_access:  write_only
        .address_space:  global
        .offset:         72
        .size:           8
        .value_kind:     global_buffer
    .group_segment_fixed_size: 256
    .kernarg_segment_align: 8
    .kernarg_segment_size: 80
    .language:       OpenCL C
    .language_version:
      - 2
      - 0
    .max_flat_workgroup_size: 1024
    .name:           _ZL26rocblas_dot_kernel_inc1by2ILb1ELi1024ELi32ELb0E16rocblas_bfloat16PKS0_fEviT4_llS3_lliPT5_PT3_
    .private_segment_fixed_size: 0
    .sgpr_count:     32
    .sgpr_spill_count: 0
    .symbol:         _ZL26rocblas_dot_kernel_inc1by2ILb1ELi1024ELi32ELb0E16rocblas_bfloat16PKS0_fEviT4_llS3_lliPT5_PT3_.kd
    .uniform_work_group_size: 1
    .uses_dynamic_stack: false
    .vgpr_count:     11
    .vgpr_spill_count: 0
    .wavefront_size: 64
  - .args:
      - .offset:         0
        .size:           4
        .value_kind:     by_value
      - .actual_access:  read_only
        .address_space:  global
        .offset:         8
        .size:           8
        .value_kind:     global_buffer
      - .offset:         16
        .size:           8
        .value_kind:     by_value
      - .offset:         24
        .size:           4
        .value_kind:     by_value
      - .offset:         32
        .size:           8
        .value_kind:     by_value
      - .actual_access:  read_only
        .address_space:  global
        .offset:         40
        .size:           8
        .value_kind:     global_buffer
      - .offset:         48
        .size:           8
        .value_kind:     by_value
      - .offset:         56
        .size:           4
        .value_kind:     by_value
      - .offset:         64
        .size:           8
        .value_kind:     by_value
      - .offset:         72
        .size:           4
        .value_kind:     by_value
      - .actual_access:  read_only
        .address_space:  global
        .offset:         80
        .size:           8
        .value_kind:     global_buffer
      - .actual_access:  write_only
        .address_space:  global
        .offset:         88
        .size:           8
        .value_kind:     global_buffer
      - .offset:         96
        .size:           4
        .value_kind:     hidden_block_count_x
      - .offset:         100
        .size:           4
        .value_kind:     hidden_block_count_y
      - .offset:         104
        .size:           4
        .value_kind:     hidden_block_count_z
      - .offset:         108
        .size:           2
        .value_kind:     hidden_group_size_x
      - .offset:         110
        .size:           2
        .value_kind:     hidden_group_size_y
      - .offset:         112
        .size:           2
        .value_kind:     hidden_group_size_z
      - .offset:         114
        .size:           2
        .value_kind:     hidden_remainder_x
      - .offset:         116
        .size:           2
        .value_kind:     hidden_remainder_y
      - .offset:         118
        .size:           2
        .value_kind:     hidden_remainder_z
      - .offset:         136
        .size:           8
        .value_kind:     hidden_global_offset_x
      - .offset:         144
        .size:           8
        .value_kind:     hidden_global_offset_y
      - .offset:         152
        .size:           8
        .value_kind:     hidden_global_offset_z
      - .offset:         160
        .size:           2
        .value_kind:     hidden_grid_dims
    .group_segment_fixed_size: 256
    .kernarg_segment_align: 8
    .kernarg_segment_size: 352
    .language:       OpenCL C
    .language_version:
      - 2
      - 0
    .max_flat_workgroup_size: 1024
    .name:           _ZL18rocblas_dot_kernelIiLb1ELi1024ELi32ELb0E16rocblas_bfloat16PKS0_fEviT5_lT_lS3_lS4_liPT6_PT4_
    .private_segment_fixed_size: 0
    .sgpr_count:     29
    .sgpr_spill_count: 0
    .symbol:         _ZL18rocblas_dot_kernelIiLb1ELi1024ELi32ELb0E16rocblas_bfloat16PKS0_fEviT5_lT_lS3_lS4_liPT6_PT4_.kd
    .uniform_work_group_size: 1
    .uses_dynamic_stack: false
    .vgpr_count:     11
    .vgpr_spill_count: 0
    .wavefront_size: 64
  - .args:
      - .offset:         0
        .size:           4
        .value_kind:     by_value
      - .actual_access:  read_only
        .address_space:  global
        .offset:         8
        .size:           8
        .value_kind:     global_buffer
      - .offset:         16
        .size:           8
        .value_kind:     by_value
      - .offset:         24
        .size:           4
        .value_kind:     by_value
      - .offset:         32
        .size:           8
        .value_kind:     by_value
      - .offset:         40
        .size:           4
        .value_kind:     by_value
      - .actual_access:  read_only
        .address_space:  global
        .offset:         48
        .size:           8
        .value_kind:     global_buffer
      - .actual_access:  write_only
        .address_space:  global
        .offset:         56
        .size:           8
        .value_kind:     global_buffer
      - .offset:         64
        .size:           4
        .value_kind:     hidden_block_count_x
      - .offset:         68
        .size:           4
        .value_kind:     hidden_block_count_y
      - .offset:         72
        .size:           4
        .value_kind:     hidden_block_count_z
      - .offset:         76
        .size:           2
        .value_kind:     hidden_group_size_x
      - .offset:         78
        .size:           2
        .value_kind:     hidden_group_size_y
      - .offset:         80
        .size:           2
        .value_kind:     hidden_group_size_z
      - .offset:         82
        .size:           2
        .value_kind:     hidden_remainder_x
      - .offset:         84
        .size:           2
        .value_kind:     hidden_remainder_y
      - .offset:         86
        .size:           2
        .value_kind:     hidden_remainder_z
      - .offset:         104
        .size:           8
        .value_kind:     hidden_global_offset_x
      - .offset:         112
        .size:           8
        .value_kind:     hidden_global_offset_y
      - .offset:         120
        .size:           8
        .value_kind:     hidden_global_offset_z
      - .offset:         128
        .size:           2
        .value_kind:     hidden_grid_dims
    .group_segment_fixed_size: 256
    .kernarg_segment_align: 8
    .kernarg_segment_size: 320
    .language:       OpenCL C
    .language_version:
      - 2
      - 0
    .max_flat_workgroup_size: 1024
    .name:           _ZL24rocblas_dot_kernel_magsqIiLb1ELi1024ELi32ELb0E16rocblas_bfloat16PKS0_fEviT5_lT_liPT6_PT4_
    .private_segment_fixed_size: 0
    .sgpr_count:     24
    .sgpr_spill_count: 0
    .symbol:         _ZL24rocblas_dot_kernel_magsqIiLb1ELi1024ELi32ELb0E16rocblas_bfloat16PKS0_fEviT5_lT_liPT6_PT4_.kd
    .uniform_work_group_size: 1
    .uses_dynamic_stack: false
    .vgpr_count:     10
    .vgpr_spill_count: 0
    .wavefront_size: 64
  - .args:
      - .offset:         0
        .size:           4
        .value_kind:     by_value
      - .actual_access:  read_only
        .address_space:  global
        .offset:         8
        .size:           8
        .value_kind:     global_buffer
      - .offset:         16
        .size:           8
        .value_kind:     by_value
      - .offset:         24
        .size:           8
        .value_kind:     by_value
      - .actual_access:  read_only
        .address_space:  global
        .offset:         32
        .size:           8
        .value_kind:     global_buffer
      - .offset:         40
        .size:           8
        .value_kind:     by_value
      - .offset:         48
        .size:           8
        .value_kind:     by_value
      - .offset:         56
        .size:           4
        .value_kind:     by_value
      - .actual_access:  write_only
        .address_space:  global
        .offset:         64
        .size:           8
        .value_kind:     global_buffer
      - .actual_access:  write_only
        .address_space:  global
        .offset:         72
        .size:           8
        .value_kind:     global_buffer
      - .offset:         80
        .size:           4
        .value_kind:     hidden_block_count_x
      - .offset:         84
        .size:           4
        .value_kind:     hidden_block_count_y
      - .offset:         88
        .size:           4
        .value_kind:     hidden_block_count_z
      - .offset:         92
        .size:           2
        .value_kind:     hidden_group_size_x
      - .offset:         94
        .size:           2
        .value_kind:     hidden_group_size_y
      - .offset:         96
        .size:           2
        .value_kind:     hidden_group_size_z
      - .offset:         98
        .size:           2
        .value_kind:     hidden_remainder_x
      - .offset:         100
        .size:           2
        .value_kind:     hidden_remainder_y
      - .offset:         102
        .size:           2
        .value_kind:     hidden_remainder_z
      - .offset:         120
        .size:           8
        .value_kind:     hidden_global_offset_x
      - .offset:         128
        .size:           8
        .value_kind:     hidden_global_offset_y
      - .offset:         136
        .size:           8
        .value_kind:     hidden_global_offset_z
      - .offset:         144
        .size:           2
        .value_kind:     hidden_grid_dims
    .group_segment_fixed_size: 256
    .kernarg_segment_align: 8
    .kernarg_segment_size: 336
    .language:       OpenCL C
    .language_version:
      - 2
      - 0
    .max_flat_workgroup_size: 512
    .name:           _ZL23rocblas_dot_kernel_inc1ILb0ELi512ELi8ELb0E16rocblas_bfloat16PKS0_fEviT4_llS3_lliPT5_PT3_
    .private_segment_fixed_size: 0
    .sgpr_count:     32
    .sgpr_spill_count: 0
    .symbol:         _ZL23rocblas_dot_kernel_inc1ILb0ELi512ELi8ELb0E16rocblas_bfloat16PKS0_fEviT4_llS3_lliPT5_PT3_.kd
    .uniform_work_group_size: 1
    .uses_dynamic_stack: false
    .vgpr_count:     14
    .vgpr_spill_count: 0
    .wavefront_size: 64
  - .args:
      - .offset:         0
        .size:           4
        .value_kind:     by_value
      - .actual_access:  read_only
        .address_space:  global
        .offset:         8
        .size:           8
        .value_kind:     global_buffer
      - .offset:         16
        .size:           8
        .value_kind:     by_value
      - .offset:         24
        .size:           4
        .value_kind:     by_value
      - .offset:         32
        .size:           8
        .value_kind:     by_value
      - .actual_access:  read_only
        .address_space:  global
        .offset:         40
        .size:           8
        .value_kind:     global_buffer
      - .offset:         48
        .size:           8
        .value_kind:     by_value
      - .offset:         56
        .size:           4
        .value_kind:     by_value
      - .offset:         64
        .size:           8
        .value_kind:     by_value
      - .offset:         72
        .size:           4
        .value_kind:     by_value
      - .actual_access:  write_only
        .address_space:  global
        .offset:         80
        .size:           8
        .value_kind:     global_buffer
      - .actual_access:  write_only
        .address_space:  global
        .offset:         88
        .size:           8
        .value_kind:     global_buffer
      - .offset:         96
        .size:           4
        .value_kind:     hidden_block_count_x
      - .offset:         100
        .size:           4
        .value_kind:     hidden_block_count_y
      - .offset:         104
        .size:           4
        .value_kind:     hidden_block_count_z
      - .offset:         108
        .size:           2
        .value_kind:     hidden_group_size_x
      - .offset:         110
        .size:           2
        .value_kind:     hidden_group_size_y
      - .offset:         112
        .size:           2
        .value_kind:     hidden_group_size_z
      - .offset:         114
        .size:           2
        .value_kind:     hidden_remainder_x
      - .offset:         116
        .size:           2
        .value_kind:     hidden_remainder_y
      - .offset:         118
        .size:           2
        .value_kind:     hidden_remainder_z
      - .offset:         136
        .size:           8
        .value_kind:     hidden_global_offset_x
      - .offset:         144
        .size:           8
        .value_kind:     hidden_global_offset_y
      - .offset:         152
        .size:           8
        .value_kind:     hidden_global_offset_z
      - .offset:         160
        .size:           2
        .value_kind:     hidden_grid_dims
    .group_segment_fixed_size: 256
    .kernarg_segment_align: 8
    .kernarg_segment_size: 352
    .language:       OpenCL C
    .language_version:
      - 2
      - 0
    .max_flat_workgroup_size: 512
    .name:           _ZL18rocblas_dot_kernelIiLb0ELi512ELi8ELb0E16rocblas_bfloat16PKS0_fEviT5_lT_lS3_lS4_liPT6_PT4_
    .private_segment_fixed_size: 0
    .sgpr_count:     32
    .sgpr_spill_count: 0
    .symbol:         _ZL18rocblas_dot_kernelIiLb0ELi512ELi8ELb0E16rocblas_bfloat16PKS0_fEviT5_lT_lS3_lS4_liPT6_PT4_.kd
    .uniform_work_group_size: 1
    .uses_dynamic_stack: false
    .vgpr_count:     11
    .vgpr_spill_count: 0
    .wavefront_size: 64
  - .args:
      - .offset:         0
        .size:           4
        .value_kind:     by_value
      - .actual_access:  read_only
        .address_space:  global
        .offset:         8
        .size:           8
        .value_kind:     global_buffer
      - .offset:         16
        .size:           8
        .value_kind:     by_value
      - .offset:         24
        .size:           4
        .value_kind:     by_value
      - .offset:         32
        .size:           8
        .value_kind:     by_value
      - .offset:         40
        .size:           4
        .value_kind:     by_value
      - .actual_access:  write_only
        .address_space:  global
        .offset:         48
        .size:           8
        .value_kind:     global_buffer
      - .actual_access:  write_only
        .address_space:  global
        .offset:         56
        .size:           8
        .value_kind:     global_buffer
      - .offset:         64
        .size:           4
        .value_kind:     hidden_block_count_x
      - .offset:         68
        .size:           4
        .value_kind:     hidden_block_count_y
      - .offset:         72
        .size:           4
        .value_kind:     hidden_block_count_z
      - .offset:         76
        .size:           2
        .value_kind:     hidden_group_size_x
      - .offset:         78
        .size:           2
        .value_kind:     hidden_group_size_y
      - .offset:         80
        .size:           2
        .value_kind:     hidden_group_size_z
      - .offset:         82
        .size:           2
        .value_kind:     hidden_remainder_x
      - .offset:         84
        .size:           2
        .value_kind:     hidden_remainder_y
      - .offset:         86
        .size:           2
        .value_kind:     hidden_remainder_z
      - .offset:         104
        .size:           8
        .value_kind:     hidden_global_offset_x
      - .offset:         112
        .size:           8
        .value_kind:     hidden_global_offset_y
      - .offset:         120
        .size:           8
        .value_kind:     hidden_global_offset_z
      - .offset:         128
        .size:           2
        .value_kind:     hidden_grid_dims
    .group_segment_fixed_size: 256
    .kernarg_segment_align: 8
    .kernarg_segment_size: 320
    .language:       OpenCL C
    .language_version:
      - 2
      - 0
    .max_flat_workgroup_size: 512
    .name:           _ZL24rocblas_dot_kernel_magsqIiLb0ELi512ELi8ELb0E16rocblas_bfloat16PKS0_fEviT5_lT_liPT6_PT4_
    .private_segment_fixed_size: 0
    .sgpr_count:     28
    .sgpr_spill_count: 0
    .symbol:         _ZL24rocblas_dot_kernel_magsqIiLb0ELi512ELi8ELb0E16rocblas_bfloat16PKS0_fEviT5_lT_liPT6_PT4_.kd
    .uniform_work_group_size: 1
    .uses_dynamic_stack: false
    .vgpr_count:     9
    .vgpr_spill_count: 0
    .wavefront_size: 64
  - .args:
      - .offset:         0
        .size:           4
        .value_kind:     by_value
      - .actual_access:  read_only
        .address_space:  global
        .offset:         8
        .size:           8
        .value_kind:     global_buffer
      - .offset:         16
        .size:           8
        .value_kind:     by_value
      - .offset:         24
        .size:           4
        .value_kind:     by_value
      - .offset:         32
        .size:           8
        .value_kind:     by_value
      - .actual_access:  read_only
        .address_space:  global
        .offset:         40
        .size:           8
        .value_kind:     global_buffer
      - .offset:         48
        .size:           8
        .value_kind:     by_value
      - .offset:         56
        .size:           4
        .value_kind:     by_value
      - .offset:         64
        .size:           8
        .value_kind:     by_value
      - .offset:         72
        .size:           4
        .value_kind:     by_value
      - .actual_access:  write_only
        .address_space:  global
        .offset:         80
        .size:           8
        .value_kind:     global_buffer
    .group_segment_fixed_size: 0
    .kernarg_segment_align: 8
    .kernarg_segment_size: 88
    .language:       OpenCL C
    .language_version:
      - 2
      - 0
    .max_flat_workgroup_size: 128
    .name:           _ZL28rocblas_dot_batched_4_kernelIiLi32ELi4ELb0EffPKfEviT5_lT_lS2_lS3_liPT4_
    .private_segment_fixed_size: 0
    .sgpr_count:     26
    .sgpr_spill_count: 0
    .symbol:         _ZL28rocblas_dot_batched_4_kernelIiLi32ELi4ELb0EffPKfEviT5_lT_lS2_lS3_liPT4_.kd
    .uniform_work_group_size: 1
    .uses_dynamic_stack: false
    .vgpr_count:     13
    .vgpr_spill_count: 0
    .wavefront_size: 64
  - .args:
      - .offset:         0
        .size:           4
        .value_kind:     by_value
      - .actual_access:  read_only
        .address_space:  global
        .offset:         8
        .size:           8
        .value_kind:     global_buffer
      - .offset:         16
        .size:           8
        .value_kind:     by_value
      - .offset:         24
        .size:           4
        .value_kind:     by_value
      - .offset:         32
        .size:           8
        .value_kind:     by_value
      - .actual_access:  read_only
        .address_space:  global
        .offset:         40
        .size:           8
        .value_kind:     global_buffer
      - .offset:         48
        .size:           8
        .value_kind:     by_value
      - .offset:         56
        .size:           4
        .value_kind:     by_value
      - .offset:         64
        .size:           8
        .value_kind:     by_value
      - .offset:         72
        .size:           4
        .value_kind:     by_value
      - .actual_access:  write_only
        .address_space:  global
        .offset:         80
        .size:           8
        .value_kind:     global_buffer
    .group_segment_fixed_size: 0
    .kernarg_segment_align: 8
    .kernarg_segment_size: 88
    .language:       OpenCL C
    .language_version:
      - 2
      - 0
    .max_flat_workgroup_size: 256
    .name:           _ZL28rocblas_dot_batched_4_kernelIiLi64ELi4ELb0EffPKfEviT5_lT_lS2_lS3_liPT4_
    .private_segment_fixed_size: 0
    .sgpr_count:     26
    .sgpr_spill_count: 0
    .symbol:         _ZL28rocblas_dot_batched_4_kernelIiLi64ELi4ELb0EffPKfEviT5_lT_lS2_lS3_liPT4_.kd
    .uniform_work_group_size: 1
    .uses_dynamic_stack: false
    .vgpr_count:     13
    .vgpr_spill_count: 0
    .wavefront_size: 64
  - .args:
      - .offset:         0
        .size:           4
        .value_kind:     by_value
      - .actual_access:  read_only
        .address_space:  global
        .offset:         8
        .size:           8
        .value_kind:     global_buffer
      - .offset:         16
        .size:           8
        .value_kind:     by_value
      - .offset:         24
        .size:           8
        .value_kind:     by_value
      - .actual_access:  read_only
        .address_space:  global
        .offset:         32
        .size:           8
        .value_kind:     global_buffer
      - .offset:         40
        .size:           8
        .value_kind:     by_value
      - .offset:         48
        .size:           8
        .value_kind:     by_value
      - .offset:         56
        .size:           4
        .value_kind:     by_value
      - .actual_access:  read_only
        .address_space:  global
        .offset:         64
        .size:           8
        .value_kind:     global_buffer
      - .actual_access:  write_only
        .address_space:  global
        .offset:         72
        .size:           8
        .value_kind:     global_buffer
    .group_segment_fixed_size: 256
    .kernarg_segment_align: 8
    .kernarg_segment_size: 80
    .language:       OpenCL C
    .language_version:
      - 2
      - 0
    .max_flat_workgroup_size: 1024
    .name:           _ZL26rocblas_dot_kernel_inc1by2ILb1ELi1024ELi32ELb0EfPKffEviT4_llS2_lliPT5_PT3_
    .private_segment_fixed_size: 0
    .sgpr_count:     32
    .sgpr_spill_count: 0
    .symbol:         _ZL26rocblas_dot_kernel_inc1by2ILb1ELi1024ELi32ELb0EfPKffEviT4_llS2_lliPT5_PT3_.kd
    .uniform_work_group_size: 1
    .uses_dynamic_stack: false
    .vgpr_count:     11
    .vgpr_spill_count: 0
    .wavefront_size: 64
  - .args:
      - .offset:         0
        .size:           4
        .value_kind:     by_value
      - .actual_access:  read_only
        .address_space:  global
        .offset:         8
        .size:           8
        .value_kind:     global_buffer
      - .offset:         16
        .size:           8
        .value_kind:     by_value
      - .offset:         24
        .size:           4
        .value_kind:     by_value
      - .offset:         32
        .size:           8
        .value_kind:     by_value
      - .actual_access:  read_only
        .address_space:  global
        .offset:         40
        .size:           8
        .value_kind:     global_buffer
      - .offset:         48
        .size:           8
        .value_kind:     by_value
      - .offset:         56
        .size:           4
        .value_kind:     by_value
      - .offset:         64
        .size:           8
        .value_kind:     by_value
      - .offset:         72
        .size:           4
        .value_kind:     by_value
      - .actual_access:  read_only
        .address_space:  global
        .offset:         80
        .size:           8
        .value_kind:     global_buffer
      - .actual_access:  write_only
        .address_space:  global
        .offset:         88
        .size:           8
        .value_kind:     global_buffer
      - .offset:         96
        .size:           4
        .value_kind:     hidden_block_count_x
      - .offset:         100
        .size:           4
        .value_kind:     hidden_block_count_y
      - .offset:         104
        .size:           4
        .value_kind:     hidden_block_count_z
      - .offset:         108
        .size:           2
        .value_kind:     hidden_group_size_x
      - .offset:         110
        .size:           2
        .value_kind:     hidden_group_size_y
      - .offset:         112
        .size:           2
        .value_kind:     hidden_group_size_z
      - .offset:         114
        .size:           2
        .value_kind:     hidden_remainder_x
      - .offset:         116
        .size:           2
        .value_kind:     hidden_remainder_y
      - .offset:         118
        .size:           2
        .value_kind:     hidden_remainder_z
      - .offset:         136
        .size:           8
        .value_kind:     hidden_global_offset_x
      - .offset:         144
        .size:           8
        .value_kind:     hidden_global_offset_y
      - .offset:         152
        .size:           8
        .value_kind:     hidden_global_offset_z
      - .offset:         160
        .size:           2
        .value_kind:     hidden_grid_dims
    .group_segment_fixed_size: 256
    .kernarg_segment_align: 8
    .kernarg_segment_size: 352
    .language:       OpenCL C
    .language_version:
      - 2
      - 0
    .max_flat_workgroup_size: 1024
    .name:           _ZL18rocblas_dot_kernelIiLb1ELi1024ELi32ELb0EfPKffEviT5_lT_lS2_lS3_liPT6_PT4_
    .private_segment_fixed_size: 0
    .sgpr_count:     29
    .sgpr_spill_count: 0
    .symbol:         _ZL18rocblas_dot_kernelIiLb1ELi1024ELi32ELb0EfPKffEviT5_lT_lS2_lS3_liPT6_PT4_.kd
    .uniform_work_group_size: 1
    .uses_dynamic_stack: false
    .vgpr_count:     11
    .vgpr_spill_count: 0
    .wavefront_size: 64
  - .args:
      - .offset:         0
        .size:           4
        .value_kind:     by_value
      - .actual_access:  read_only
        .address_space:  global
        .offset:         8
        .size:           8
        .value_kind:     global_buffer
      - .offset:         16
        .size:           8
        .value_kind:     by_value
      - .offset:         24
        .size:           4
        .value_kind:     by_value
      - .offset:         32
        .size:           8
        .value_kind:     by_value
      - .offset:         40
        .size:           4
        .value_kind:     by_value
      - .actual_access:  read_only
        .address_space:  global
        .offset:         48
        .size:           8
        .value_kind:     global_buffer
      - .actual_access:  write_only
        .address_space:  global
        .offset:         56
        .size:           8
        .value_kind:     global_buffer
      - .offset:         64
        .size:           4
        .value_kind:     hidden_block_count_x
      - .offset:         68
        .size:           4
        .value_kind:     hidden_block_count_y
      - .offset:         72
        .size:           4
        .value_kind:     hidden_block_count_z
      - .offset:         76
        .size:           2
        .value_kind:     hidden_group_size_x
      - .offset:         78
        .size:           2
        .value_kind:     hidden_group_size_y
      - .offset:         80
        .size:           2
        .value_kind:     hidden_group_size_z
      - .offset:         82
        .size:           2
        .value_kind:     hidden_remainder_x
      - .offset:         84
        .size:           2
        .value_kind:     hidden_remainder_y
      - .offset:         86
        .size:           2
        .value_kind:     hidden_remainder_z
      - .offset:         104
        .size:           8
        .value_kind:     hidden_global_offset_x
      - .offset:         112
        .size:           8
        .value_kind:     hidden_global_offset_y
      - .offset:         120
        .size:           8
        .value_kind:     hidden_global_offset_z
      - .offset:         128
        .size:           2
        .value_kind:     hidden_grid_dims
    .group_segment_fixed_size: 256
    .kernarg_segment_align: 8
    .kernarg_segment_size: 320
    .language:       OpenCL C
    .language_version:
      - 2
      - 0
    .max_flat_workgroup_size: 1024
    .name:           _ZL24rocblas_dot_kernel_magsqIiLb1ELi1024ELi32ELb0EfPKffEviT5_lT_liPT6_PT4_
    .private_segment_fixed_size: 0
    .sgpr_count:     24
    .sgpr_spill_count: 0
    .symbol:         _ZL24rocblas_dot_kernel_magsqIiLb1ELi1024ELi32ELb0EfPKffEviT5_lT_liPT6_PT4_.kd
    .uniform_work_group_size: 1
    .uses_dynamic_stack: false
    .vgpr_count:     10
    .vgpr_spill_count: 0
    .wavefront_size: 64
  - .args:
      - .offset:         0
        .size:           4
        .value_kind:     by_value
      - .actual_access:  read_only
        .address_space:  global
        .offset:         8
        .size:           8
        .value_kind:     global_buffer
      - .offset:         16
        .size:           8
        .value_kind:     by_value
      - .offset:         24
        .size:           8
        .value_kind:     by_value
      - .actual_access:  read_only
        .address_space:  global
        .offset:         32
        .size:           8
        .value_kind:     global_buffer
      - .offset:         40
        .size:           8
        .value_kind:     by_value
      - .offset:         48
        .size:           8
        .value_kind:     by_value
      - .offset:         56
        .size:           4
        .value_kind:     by_value
      - .actual_access:  write_only
        .address_space:  global
        .offset:         64
        .size:           8
        .value_kind:     global_buffer
      - .actual_access:  write_only
        .address_space:  global
        .offset:         72
        .size:           8
        .value_kind:     global_buffer
      - .offset:         80
        .size:           4
        .value_kind:     hidden_block_count_x
      - .offset:         84
        .size:           4
        .value_kind:     hidden_block_count_y
      - .offset:         88
        .size:           4
        .value_kind:     hidden_block_count_z
      - .offset:         92
        .size:           2
        .value_kind:     hidden_group_size_x
      - .offset:         94
        .size:           2
        .value_kind:     hidden_group_size_y
      - .offset:         96
        .size:           2
        .value_kind:     hidden_group_size_z
      - .offset:         98
        .size:           2
        .value_kind:     hidden_remainder_x
      - .offset:         100
        .size:           2
        .value_kind:     hidden_remainder_y
      - .offset:         102
        .size:           2
        .value_kind:     hidden_remainder_z
      - .offset:         120
        .size:           8
        .value_kind:     hidden_global_offset_x
      - .offset:         128
        .size:           8
        .value_kind:     hidden_global_offset_y
      - .offset:         136
        .size:           8
        .value_kind:     hidden_global_offset_z
      - .offset:         144
        .size:           2
        .value_kind:     hidden_grid_dims
    .group_segment_fixed_size: 256
    .kernarg_segment_align: 8
    .kernarg_segment_size: 336
    .language:       OpenCL C
    .language_version:
      - 2
      - 0
    .max_flat_workgroup_size: 512
    .name:           _ZL23rocblas_dot_kernel_inc1ILb0ELi512ELi4ELb0EfPKffEviT4_llS2_lliPT5_PT3_
    .private_segment_fixed_size: 0
    .sgpr_count:     32
    .sgpr_spill_count: 0
    .symbol:         _ZL23rocblas_dot_kernel_inc1ILb0ELi512ELi4ELb0EfPKffEviT4_llS2_lliPT5_PT3_.kd
    .uniform_work_group_size: 1
    .uses_dynamic_stack: false
    .vgpr_count:     14
    .vgpr_spill_count: 0
    .wavefront_size: 64
  - .args:
      - .offset:         0
        .size:           4
        .value_kind:     by_value
      - .actual_access:  read_only
        .address_space:  global
        .offset:         8
        .size:           8
        .value_kind:     global_buffer
      - .offset:         16
        .size:           8
        .value_kind:     by_value
      - .offset:         24
        .size:           4
        .value_kind:     by_value
      - .offset:         32
        .size:           8
        .value_kind:     by_value
      - .actual_access:  read_only
        .address_space:  global
        .offset:         40
        .size:           8
        .value_kind:     global_buffer
      - .offset:         48
        .size:           8
        .value_kind:     by_value
      - .offset:         56
        .size:           4
        .value_kind:     by_value
      - .offset:         64
        .size:           8
        .value_kind:     by_value
      - .offset:         72
        .size:           4
        .value_kind:     by_value
      - .actual_access:  write_only
        .address_space:  global
        .offset:         80
        .size:           8
        .value_kind:     global_buffer
      - .actual_access:  write_only
        .address_space:  global
        .offset:         88
        .size:           8
        .value_kind:     global_buffer
      - .offset:         96
        .size:           4
        .value_kind:     hidden_block_count_x
      - .offset:         100
        .size:           4
        .value_kind:     hidden_block_count_y
      - .offset:         104
        .size:           4
        .value_kind:     hidden_block_count_z
      - .offset:         108
        .size:           2
        .value_kind:     hidden_group_size_x
      - .offset:         110
        .size:           2
        .value_kind:     hidden_group_size_y
      - .offset:         112
        .size:           2
        .value_kind:     hidden_group_size_z
      - .offset:         114
        .size:           2
        .value_kind:     hidden_remainder_x
      - .offset:         116
        .size:           2
        .value_kind:     hidden_remainder_y
      - .offset:         118
        .size:           2
        .value_kind:     hidden_remainder_z
      - .offset:         136
        .size:           8
        .value_kind:     hidden_global_offset_x
      - .offset:         144
        .size:           8
        .value_kind:     hidden_global_offset_y
      - .offset:         152
        .size:           8
        .value_kind:     hidden_global_offset_z
      - .offset:         160
        .size:           2
        .value_kind:     hidden_grid_dims
    .group_segment_fixed_size: 256
    .kernarg_segment_align: 8
    .kernarg_segment_size: 352
    .language:       OpenCL C
    .language_version:
      - 2
      - 0
    .max_flat_workgroup_size: 512
    .name:           _ZL18rocblas_dot_kernelIiLb0ELi512ELi4ELb0EfPKffEviT5_lT_lS2_lS3_liPT6_PT4_
    .private_segment_fixed_size: 0
    .sgpr_count:     32
    .sgpr_spill_count: 0
    .symbol:         _ZL18rocblas_dot_kernelIiLb0ELi512ELi4ELb0EfPKffEviT5_lT_lS2_lS3_liPT6_PT4_.kd
    .uniform_work_group_size: 1
    .uses_dynamic_stack: false
    .vgpr_count:     11
    .vgpr_spill_count: 0
    .wavefront_size: 64
  - .args:
      - .offset:         0
        .size:           4
        .value_kind:     by_value
      - .actual_access:  read_only
        .address_space:  global
        .offset:         8
        .size:           8
        .value_kind:     global_buffer
      - .offset:         16
        .size:           8
        .value_kind:     by_value
      - .offset:         24
        .size:           4
        .value_kind:     by_value
      - .offset:         32
        .size:           8
        .value_kind:     by_value
      - .offset:         40
        .size:           4
        .value_kind:     by_value
      - .actual_access:  write_only
        .address_space:  global
        .offset:         48
        .size:           8
        .value_kind:     global_buffer
      - .actual_access:  write_only
        .address_space:  global
        .offset:         56
        .size:           8
        .value_kind:     global_buffer
      - .offset:         64
        .size:           4
        .value_kind:     hidden_block_count_x
      - .offset:         68
        .size:           4
        .value_kind:     hidden_block_count_y
      - .offset:         72
        .size:           4
        .value_kind:     hidden_block_count_z
      - .offset:         76
        .size:           2
        .value_kind:     hidden_group_size_x
      - .offset:         78
        .size:           2
        .value_kind:     hidden_group_size_y
      - .offset:         80
        .size:           2
        .value_kind:     hidden_group_size_z
      - .offset:         82
        .size:           2
        .value_kind:     hidden_remainder_x
      - .offset:         84
        .size:           2
        .value_kind:     hidden_remainder_y
      - .offset:         86
        .size:           2
        .value_kind:     hidden_remainder_z
      - .offset:         104
        .size:           8
        .value_kind:     hidden_global_offset_x
      - .offset:         112
        .size:           8
        .value_kind:     hidden_global_offset_y
      - .offset:         120
        .size:           8
        .value_kind:     hidden_global_offset_z
      - .offset:         128
        .size:           2
        .value_kind:     hidden_grid_dims
    .group_segment_fixed_size: 256
    .kernarg_segment_align: 8
    .kernarg_segment_size: 320
    .language:       OpenCL C
    .language_version:
      - 2
      - 0
    .max_flat_workgroup_size: 512
    .name:           _ZL24rocblas_dot_kernel_magsqIiLb0ELi512ELi4ELb0EfPKffEviT5_lT_liPT6_PT4_
    .private_segment_fixed_size: 0
    .sgpr_count:     28
    .sgpr_spill_count: 0
    .symbol:         _ZL24rocblas_dot_kernel_magsqIiLb0ELi512ELi4ELb0EfPKffEviT5_lT_liPT6_PT4_.kd
    .uniform_work_group_size: 1
    .uses_dynamic_stack: false
    .vgpr_count:     9
    .vgpr_spill_count: 0
    .wavefront_size: 64
  - .args:
      - .offset:         0
        .size:           4
        .value_kind:     by_value
      - .actual_access:  read_only
        .address_space:  global
        .offset:         8
        .size:           8
        .value_kind:     global_buffer
      - .offset:         16
        .size:           8
        .value_kind:     by_value
      - .offset:         24
        .size:           4
        .value_kind:     by_value
      - .offset:         32
        .size:           8
        .value_kind:     by_value
      - .actual_access:  read_only
        .address_space:  global
        .offset:         40
        .size:           8
        .value_kind:     global_buffer
      - .offset:         48
        .size:           8
        .value_kind:     by_value
      - .offset:         56
        .size:           4
        .value_kind:     by_value
      - .offset:         64
        .size:           8
        .value_kind:     by_value
      - .offset:         72
        .size:           4
        .value_kind:     by_value
      - .actual_access:  write_only
        .address_space:  global
        .offset:         80
        .size:           8
        .value_kind:     global_buffer
    .group_segment_fixed_size: 0
    .kernarg_segment_align: 8
    .kernarg_segment_size: 88
    .language:       OpenCL C
    .language_version:
      - 2
      - 0
    .max_flat_workgroup_size: 128
    .name:           _ZL28rocblas_dot_batched_4_kernelIiLi32ELi4ELb0EddPKdEviT5_lT_lS2_lS3_liPT4_
    .private_segment_fixed_size: 0
    .sgpr_count:     26
    .sgpr_spill_count: 0
    .symbol:         _ZL28rocblas_dot_batched_4_kernelIiLi32ELi4ELb0EddPKdEviT5_lT_lS2_lS3_liPT4_.kd
    .uniform_work_group_size: 1
    .uses_dynamic_stack: false
    .vgpr_count:     16
    .vgpr_spill_count: 0
    .wavefront_size: 64
  - .args:
      - .offset:         0
        .size:           4
        .value_kind:     by_value
      - .actual_access:  read_only
        .address_space:  global
        .offset:         8
        .size:           8
        .value_kind:     global_buffer
      - .offset:         16
        .size:           8
        .value_kind:     by_value
      - .offset:         24
        .size:           4
        .value_kind:     by_value
      - .offset:         32
        .size:           8
        .value_kind:     by_value
      - .actual_access:  read_only
        .address_space:  global
        .offset:         40
        .size:           8
        .value_kind:     global_buffer
      - .offset:         48
        .size:           8
        .value_kind:     by_value
      - .offset:         56
        .size:           4
        .value_kind:     by_value
      - .offset:         64
        .size:           8
        .value_kind:     by_value
      - .offset:         72
        .size:           4
        .value_kind:     by_value
      - .actual_access:  write_only
        .address_space:  global
        .offset:         80
        .size:           8
        .value_kind:     global_buffer
    .group_segment_fixed_size: 0
    .kernarg_segment_align: 8
    .kernarg_segment_size: 88
    .language:       OpenCL C
    .language_version:
      - 2
      - 0
    .max_flat_workgroup_size: 256
    .name:           _ZL28rocblas_dot_batched_4_kernelIiLi64ELi4ELb0EddPKdEviT5_lT_lS2_lS3_liPT4_
    .private_segment_fixed_size: 0
    .sgpr_count:     26
    .sgpr_spill_count: 0
    .symbol:         _ZL28rocblas_dot_batched_4_kernelIiLi64ELi4ELb0EddPKdEviT5_lT_lS2_lS3_liPT4_.kd
    .uniform_work_group_size: 1
    .uses_dynamic_stack: false
    .vgpr_count:     16
    .vgpr_spill_count: 0
    .wavefront_size: 64
  - .args:
      - .offset:         0
        .size:           4
        .value_kind:     by_value
      - .actual_access:  read_only
        .address_space:  global
        .offset:         8
        .size:           8
        .value_kind:     global_buffer
      - .offset:         16
        .size:           8
        .value_kind:     by_value
      - .offset:         24
        .size:           8
        .value_kind:     by_value
      - .actual_access:  read_only
        .address_space:  global
        .offset:         32
        .size:           8
        .value_kind:     global_buffer
      - .offset:         40
        .size:           8
        .value_kind:     by_value
      - .offset:         48
        .size:           8
        .value_kind:     by_value
      - .offset:         56
        .size:           4
        .value_kind:     by_value
      - .actual_access:  read_only
        .address_space:  global
        .offset:         64
        .size:           8
        .value_kind:     global_buffer
      - .actual_access:  write_only
        .address_space:  global
        .offset:         72
        .size:           8
        .value_kind:     global_buffer
    .group_segment_fixed_size: 512
    .kernarg_segment_align: 8
    .kernarg_segment_size: 80
    .language:       OpenCL C
    .language_version:
      - 2
      - 0
    .max_flat_workgroup_size: 1024
    .name:           _ZL26rocblas_dot_kernel_inc1by2ILb1ELi1024ELi32ELb0EdPKddEviT4_llS2_lliPT5_PT3_
    .private_segment_fixed_size: 0
    .sgpr_count:     26
    .sgpr_spill_count: 0
    .symbol:         _ZL26rocblas_dot_kernel_inc1by2ILb1ELi1024ELi32ELb0EdPKddEviT4_llS2_lliPT5_PT3_.kd
    .uniform_work_group_size: 1
    .uses_dynamic_stack: false
    .vgpr_count:     12
    .vgpr_spill_count: 0
    .wavefront_size: 64
  - .args:
      - .offset:         0
        .size:           4
        .value_kind:     by_value
      - .actual_access:  read_only
        .address_space:  global
        .offset:         8
        .size:           8
        .value_kind:     global_buffer
      - .offset:         16
        .size:           8
        .value_kind:     by_value
      - .offset:         24
        .size:           4
        .value_kind:     by_value
      - .offset:         32
        .size:           8
        .value_kind:     by_value
      - .actual_access:  read_only
        .address_space:  global
        .offset:         40
        .size:           8
        .value_kind:     global_buffer
      - .offset:         48
        .size:           8
        .value_kind:     by_value
      - .offset:         56
        .size:           4
        .value_kind:     by_value
      - .offset:         64
        .size:           8
        .value_kind:     by_value
      - .offset:         72
        .size:           4
        .value_kind:     by_value
      - .actual_access:  read_only
        .address_space:  global
        .offset:         80
        .size:           8
        .value_kind:     global_buffer
      - .actual_access:  write_only
        .address_space:  global
        .offset:         88
        .size:           8
        .value_kind:     global_buffer
      - .offset:         96
        .size:           4
        .value_kind:     hidden_block_count_x
      - .offset:         100
        .size:           4
        .value_kind:     hidden_block_count_y
      - .offset:         104
        .size:           4
        .value_kind:     hidden_block_count_z
      - .offset:         108
        .size:           2
        .value_kind:     hidden_group_size_x
      - .offset:         110
        .size:           2
        .value_kind:     hidden_group_size_y
      - .offset:         112
        .size:           2
        .value_kind:     hidden_group_size_z
      - .offset:         114
        .size:           2
        .value_kind:     hidden_remainder_x
      - .offset:         116
        .size:           2
        .value_kind:     hidden_remainder_y
      - .offset:         118
        .size:           2
        .value_kind:     hidden_remainder_z
      - .offset:         136
        .size:           8
        .value_kind:     hidden_global_offset_x
      - .offset:         144
        .size:           8
        .value_kind:     hidden_global_offset_y
      - .offset:         152
        .size:           8
        .value_kind:     hidden_global_offset_z
      - .offset:         160
        .size:           2
        .value_kind:     hidden_grid_dims
    .group_segment_fixed_size: 512
    .kernarg_segment_align: 8
    .kernarg_segment_size: 352
    .language:       OpenCL C
    .language_version:
      - 2
      - 0
    .max_flat_workgroup_size: 1024
    .name:           _ZL18rocblas_dot_kernelIiLb1ELi1024ELi32ELb0EdPKddEviT5_lT_lS2_lS3_liPT6_PT4_
    .private_segment_fixed_size: 0
    .sgpr_count:     29
    .sgpr_spill_count: 0
    .symbol:         _ZL18rocblas_dot_kernelIiLb1ELi1024ELi32ELb0EdPKddEviT5_lT_lS2_lS3_liPT6_PT4_.kd
    .uniform_work_group_size: 1
    .uses_dynamic_stack: false
    .vgpr_count:     14
    .vgpr_spill_count: 0
    .wavefront_size: 64
  - .args:
      - .offset:         0
        .size:           4
        .value_kind:     by_value
      - .actual_access:  read_only
        .address_space:  global
        .offset:         8
        .size:           8
        .value_kind:     global_buffer
      - .offset:         16
        .size:           8
        .value_kind:     by_value
      - .offset:         24
        .size:           4
        .value_kind:     by_value
      - .offset:         32
        .size:           8
        .value_kind:     by_value
      - .offset:         40
        .size:           4
        .value_kind:     by_value
      - .actual_access:  read_only
        .address_space:  global
        .offset:         48
        .size:           8
        .value_kind:     global_buffer
      - .actual_access:  write_only
        .address_space:  global
        .offset:         56
        .size:           8
        .value_kind:     global_buffer
      - .offset:         64
        .size:           4
        .value_kind:     hidden_block_count_x
      - .offset:         68
        .size:           4
        .value_kind:     hidden_block_count_y
      - .offset:         72
        .size:           4
        .value_kind:     hidden_block_count_z
      - .offset:         76
        .size:           2
        .value_kind:     hidden_group_size_x
      - .offset:         78
        .size:           2
        .value_kind:     hidden_group_size_y
      - .offset:         80
        .size:           2
        .value_kind:     hidden_group_size_z
      - .offset:         82
        .size:           2
        .value_kind:     hidden_remainder_x
      - .offset:         84
        .size:           2
        .value_kind:     hidden_remainder_y
      - .offset:         86
        .size:           2
        .value_kind:     hidden_remainder_z
      - .offset:         104
        .size:           8
        .value_kind:     hidden_global_offset_x
      - .offset:         112
        .size:           8
        .value_kind:     hidden_global_offset_y
      - .offset:         120
        .size:           8
        .value_kind:     hidden_global_offset_z
      - .offset:         128
        .size:           2
        .value_kind:     hidden_grid_dims
    .group_segment_fixed_size: 512
    .kernarg_segment_align: 8
    .kernarg_segment_size: 320
    .language:       OpenCL C
    .language_version:
      - 2
      - 0
    .max_flat_workgroup_size: 1024
    .name:           _ZL24rocblas_dot_kernel_magsqIiLb1ELi1024ELi32ELb0EdPKddEviT5_lT_liPT6_PT4_
    .private_segment_fixed_size: 0
    .sgpr_count:     24
    .sgpr_spill_count: 0
    .symbol:         _ZL24rocblas_dot_kernel_magsqIiLb1ELi1024ELi32ELb0EdPKddEviT5_lT_liPT6_PT4_.kd
    .uniform_work_group_size: 1
    .uses_dynamic_stack: false
    .vgpr_count:     12
    .vgpr_spill_count: 0
    .wavefront_size: 64
  - .args:
      - .offset:         0
        .size:           4
        .value_kind:     by_value
      - .actual_access:  read_only
        .address_space:  global
        .offset:         8
        .size:           8
        .value_kind:     global_buffer
      - .offset:         16
        .size:           8
        .value_kind:     by_value
      - .offset:         24
        .size:           8
        .value_kind:     by_value
      - .actual_access:  read_only
        .address_space:  global
        .offset:         32
        .size:           8
        .value_kind:     global_buffer
      - .offset:         40
        .size:           8
        .value_kind:     by_value
      - .offset:         48
        .size:           8
        .value_kind:     by_value
      - .offset:         56
        .size:           4
        .value_kind:     by_value
      - .actual_access:  write_only
        .address_space:  global
        .offset:         64
        .size:           8
        .value_kind:     global_buffer
      - .actual_access:  write_only
        .address_space:  global
        .offset:         72
        .size:           8
        .value_kind:     global_buffer
      - .offset:         80
        .size:           4
        .value_kind:     hidden_block_count_x
      - .offset:         84
        .size:           4
        .value_kind:     hidden_block_count_y
      - .offset:         88
        .size:           4
        .value_kind:     hidden_block_count_z
      - .offset:         92
        .size:           2
        .value_kind:     hidden_group_size_x
      - .offset:         94
        .size:           2
        .value_kind:     hidden_group_size_y
      - .offset:         96
        .size:           2
        .value_kind:     hidden_group_size_z
      - .offset:         98
        .size:           2
        .value_kind:     hidden_remainder_x
      - .offset:         100
        .size:           2
        .value_kind:     hidden_remainder_y
      - .offset:         102
        .size:           2
        .value_kind:     hidden_remainder_z
      - .offset:         120
        .size:           8
        .value_kind:     hidden_global_offset_x
      - .offset:         128
        .size:           8
        .value_kind:     hidden_global_offset_y
      - .offset:         136
        .size:           8
        .value_kind:     hidden_global_offset_z
      - .offset:         144
        .size:           2
        .value_kind:     hidden_grid_dims
    .group_segment_fixed_size: 512
    .kernarg_segment_align: 8
    .kernarg_segment_size: 336
    .language:       OpenCL C
    .language_version:
      - 2
      - 0
    .max_flat_workgroup_size: 512
    .name:           _ZL23rocblas_dot_kernel_inc1ILb0ELi512ELi2ELb0EdPKddEviT4_llS2_lliPT5_PT3_
    .private_segment_fixed_size: 0
    .sgpr_count:     26
    .sgpr_spill_count: 0
    .symbol:         _ZL23rocblas_dot_kernel_inc1ILb0ELi512ELi2ELb0EdPKddEviT4_llS2_lliPT5_PT3_.kd
    .uniform_work_group_size: 1
    .uses_dynamic_stack: false
    .vgpr_count:     11
    .vgpr_spill_count: 0
    .wavefront_size: 64
  - .args:
      - .offset:         0
        .size:           4
        .value_kind:     by_value
      - .actual_access:  read_only
        .address_space:  global
        .offset:         8
        .size:           8
        .value_kind:     global_buffer
      - .offset:         16
        .size:           8
        .value_kind:     by_value
      - .offset:         24
        .size:           4
        .value_kind:     by_value
      - .offset:         32
        .size:           8
        .value_kind:     by_value
      - .actual_access:  read_only
        .address_space:  global
        .offset:         40
        .size:           8
        .value_kind:     global_buffer
      - .offset:         48
        .size:           8
        .value_kind:     by_value
      - .offset:         56
        .size:           4
        .value_kind:     by_value
      - .offset:         64
        .size:           8
        .value_kind:     by_value
      - .offset:         72
        .size:           4
        .value_kind:     by_value
      - .actual_access:  write_only
        .address_space:  global
        .offset:         80
        .size:           8
        .value_kind:     global_buffer
      - .actual_access:  write_only
        .address_space:  global
        .offset:         88
        .size:           8
        .value_kind:     global_buffer
      - .offset:         96
        .size:           4
        .value_kind:     hidden_block_count_x
      - .offset:         100
        .size:           4
        .value_kind:     hidden_block_count_y
      - .offset:         104
        .size:           4
        .value_kind:     hidden_block_count_z
      - .offset:         108
        .size:           2
        .value_kind:     hidden_group_size_x
      - .offset:         110
        .size:           2
        .value_kind:     hidden_group_size_y
      - .offset:         112
        .size:           2
        .value_kind:     hidden_group_size_z
      - .offset:         114
        .size:           2
        .value_kind:     hidden_remainder_x
      - .offset:         116
        .size:           2
        .value_kind:     hidden_remainder_y
      - .offset:         118
        .size:           2
        .value_kind:     hidden_remainder_z
      - .offset:         136
        .size:           8
        .value_kind:     hidden_global_offset_x
      - .offset:         144
        .size:           8
        .value_kind:     hidden_global_offset_y
      - .offset:         152
        .size:           8
        .value_kind:     hidden_global_offset_z
      - .offset:         160
        .size:           2
        .value_kind:     hidden_grid_dims
    .group_segment_fixed_size: 512
    .kernarg_segment_align: 8
    .kernarg_segment_size: 352
    .language:       OpenCL C
    .language_version:
      - 2
      - 0
    .max_flat_workgroup_size: 512
    .name:           _ZL18rocblas_dot_kernelIiLb0ELi512ELi2ELb0EdPKddEviT5_lT_lS2_lS3_liPT6_PT4_
    .private_segment_fixed_size: 0
    .sgpr_count:     30
    .sgpr_spill_count: 0
    .symbol:         _ZL18rocblas_dot_kernelIiLb0ELi512ELi2ELb0EdPKddEviT5_lT_lS2_lS3_liPT6_PT4_.kd
    .uniform_work_group_size: 1
    .uses_dynamic_stack: false
    .vgpr_count:     11
    .vgpr_spill_count: 0
    .wavefront_size: 64
  - .args:
      - .offset:         0
        .size:           4
        .value_kind:     by_value
      - .actual_access:  read_only
        .address_space:  global
        .offset:         8
        .size:           8
        .value_kind:     global_buffer
      - .offset:         16
        .size:           8
        .value_kind:     by_value
      - .offset:         24
        .size:           4
        .value_kind:     by_value
      - .offset:         32
        .size:           8
        .value_kind:     by_value
      - .offset:         40
        .size:           4
        .value_kind:     by_value
      - .actual_access:  write_only
        .address_space:  global
        .offset:         48
        .size:           8
        .value_kind:     global_buffer
      - .actual_access:  write_only
        .address_space:  global
        .offset:         56
        .size:           8
        .value_kind:     global_buffer
      - .offset:         64
        .size:           4
        .value_kind:     hidden_block_count_x
      - .offset:         68
        .size:           4
        .value_kind:     hidden_block_count_y
      - .offset:         72
        .size:           4
        .value_kind:     hidden_block_count_z
      - .offset:         76
        .size:           2
        .value_kind:     hidden_group_size_x
      - .offset:         78
        .size:           2
        .value_kind:     hidden_group_size_y
      - .offset:         80
        .size:           2
        .value_kind:     hidden_group_size_z
      - .offset:         82
        .size:           2
        .value_kind:     hidden_remainder_x
      - .offset:         84
        .size:           2
        .value_kind:     hidden_remainder_y
      - .offset:         86
        .size:           2
        .value_kind:     hidden_remainder_z
      - .offset:         104
        .size:           8
        .value_kind:     hidden_global_offset_x
      - .offset:         112
        .size:           8
        .value_kind:     hidden_global_offset_y
      - .offset:         120
        .size:           8
        .value_kind:     hidden_global_offset_z
      - .offset:         128
        .size:           2
        .value_kind:     hidden_grid_dims
    .group_segment_fixed_size: 512
    .kernarg_segment_align: 8
    .kernarg_segment_size: 320
    .language:       OpenCL C
    .language_version:
      - 2
      - 0
    .max_flat_workgroup_size: 512
    .name:           _ZL24rocblas_dot_kernel_magsqIiLb0ELi512ELi2ELb0EdPKddEviT5_lT_liPT6_PT4_
    .private_segment_fixed_size: 0
    .sgpr_count:     21
    .sgpr_spill_count: 0
    .symbol:         _ZL24rocblas_dot_kernel_magsqIiLb0ELi512ELi2ELb0EdPKddEviT5_lT_liPT6_PT4_.kd
    .uniform_work_group_size: 1
    .uses_dynamic_stack: false
    .vgpr_count:     11
    .vgpr_spill_count: 0
    .wavefront_size: 64
  - .args:
      - .offset:         0
        .size:           4
        .value_kind:     by_value
      - .actual_access:  read_only
        .address_space:  global
        .offset:         8
        .size:           8
        .value_kind:     global_buffer
      - .offset:         16
        .size:           8
        .value_kind:     by_value
      - .offset:         24
        .size:           4
        .value_kind:     by_value
      - .offset:         32
        .size:           8
        .value_kind:     by_value
      - .actual_access:  read_only
        .address_space:  global
        .offset:         40
        .size:           8
        .value_kind:     global_buffer
      - .offset:         48
        .size:           8
        .value_kind:     by_value
      - .offset:         56
        .size:           4
        .value_kind:     by_value
      - .offset:         64
        .size:           8
        .value_kind:     by_value
      - .offset:         72
        .size:           4
        .value_kind:     by_value
      - .actual_access:  write_only
        .address_space:  global
        .offset:         80
        .size:           8
        .value_kind:     global_buffer
    .group_segment_fixed_size: 0
    .kernarg_segment_align: 8
    .kernarg_segment_size: 88
    .language:       OpenCL C
    .language_version:
      - 2
      - 0
    .max_flat_workgroup_size: 128
    .name:           _ZL28rocblas_dot_batched_4_kernelIiLi32ELi4ELb0E19rocblas_complex_numIfES1_PKS1_EviT5_lT_lS4_lS5_liPT4_
    .private_segment_fixed_size: 0
    .sgpr_count:     28
    .sgpr_spill_count: 0
    .symbol:         _ZL28rocblas_dot_batched_4_kernelIiLi32ELi4ELb0E19rocblas_complex_numIfES1_PKS1_EviT5_lT_lS4_lS5_liPT4_.kd
    .uniform_work_group_size: 1
    .uses_dynamic_stack: false
    .vgpr_count:     16
    .vgpr_spill_count: 0
    .wavefront_size: 64
  - .args:
      - .offset:         0
        .size:           4
        .value_kind:     by_value
      - .actual_access:  read_only
        .address_space:  global
        .offset:         8
        .size:           8
        .value_kind:     global_buffer
      - .offset:         16
        .size:           8
        .value_kind:     by_value
      - .offset:         24
        .size:           4
        .value_kind:     by_value
      - .offset:         32
        .size:           8
        .value_kind:     by_value
      - .actual_access:  read_only
        .address_space:  global
        .offset:         40
        .size:           8
        .value_kind:     global_buffer
      - .offset:         48
        .size:           8
        .value_kind:     by_value
      - .offset:         56
        .size:           4
        .value_kind:     by_value
      - .offset:         64
        .size:           8
        .value_kind:     by_value
      - .offset:         72
        .size:           4
        .value_kind:     by_value
      - .actual_access:  write_only
        .address_space:  global
        .offset:         80
        .size:           8
        .value_kind:     global_buffer
    .group_segment_fixed_size: 0
    .kernarg_segment_align: 8
    .kernarg_segment_size: 88
    .language:       OpenCL C
    .language_version:
      - 2
      - 0
    .max_flat_workgroup_size: 256
    .name:           _ZL28rocblas_dot_batched_4_kernelIiLi64ELi4ELb0E19rocblas_complex_numIfES1_PKS1_EviT5_lT_lS4_lS5_liPT4_
    .private_segment_fixed_size: 0
    .sgpr_count:     28
    .sgpr_spill_count: 0
    .symbol:         _ZL28rocblas_dot_batched_4_kernelIiLi64ELi4ELb0E19rocblas_complex_numIfES1_PKS1_EviT5_lT_lS4_lS5_liPT4_.kd
    .uniform_work_group_size: 1
    .uses_dynamic_stack: false
    .vgpr_count:     16
    .vgpr_spill_count: 0
    .wavefront_size: 64
  - .args:
      - .offset:         0
        .size:           4
        .value_kind:     by_value
      - .actual_access:  read_only
        .address_space:  global
        .offset:         8
        .size:           8
        .value_kind:     global_buffer
      - .offset:         16
        .size:           8
        .value_kind:     by_value
      - .offset:         24
        .size:           8
        .value_kind:     by_value
      - .actual_access:  read_only
        .address_space:  global
        .offset:         32
        .size:           8
        .value_kind:     global_buffer
      - .offset:         40
        .size:           8
        .value_kind:     by_value
      - .offset:         48
        .size:           8
        .value_kind:     by_value
      - .offset:         56
        .size:           4
        .value_kind:     by_value
      - .actual_access:  read_only
        .address_space:  global
        .offset:         64
        .size:           8
        .value_kind:     global_buffer
      - .actual_access:  write_only
        .address_space:  global
        .offset:         72
        .size:           8
        .value_kind:     global_buffer
    .group_segment_fixed_size: 512
    .kernarg_segment_align: 8
    .kernarg_segment_size: 80
    .language:       OpenCL C
    .language_version:
      - 2
      - 0
    .max_flat_workgroup_size: 1024
    .name:           _ZL26rocblas_dot_kernel_inc1by2ILb1ELi1024ELi32ELb0E19rocblas_complex_numIfEPKS1_S1_EviT4_llS4_lliPT5_PT3_
    .private_segment_fixed_size: 0
    .sgpr_count:     26
    .sgpr_spill_count: 0
    .symbol:         _ZL26rocblas_dot_kernel_inc1by2ILb1ELi1024ELi32ELb0E19rocblas_complex_numIfEPKS1_S1_EviT4_llS4_lliPT5_PT3_.kd
    .uniform_work_group_size: 1
    .uses_dynamic_stack: false
    .vgpr_count:     13
    .vgpr_spill_count: 0
    .wavefront_size: 64
  - .args:
      - .offset:         0
        .size:           4
        .value_kind:     by_value
      - .actual_access:  read_only
        .address_space:  global
        .offset:         8
        .size:           8
        .value_kind:     global_buffer
      - .offset:         16
        .size:           8
        .value_kind:     by_value
      - .offset:         24
        .size:           4
        .value_kind:     by_value
      - .offset:         32
        .size:           8
        .value_kind:     by_value
      - .actual_access:  read_only
        .address_space:  global
        .offset:         40
        .size:           8
        .value_kind:     global_buffer
      - .offset:         48
        .size:           8
        .value_kind:     by_value
      - .offset:         56
        .size:           4
        .value_kind:     by_value
      - .offset:         64
        .size:           8
        .value_kind:     by_value
      - .offset:         72
        .size:           4
        .value_kind:     by_value
      - .actual_access:  read_only
        .address_space:  global
        .offset:         80
        .size:           8
        .value_kind:     global_buffer
      - .actual_access:  write_only
        .address_space:  global
        .offset:         88
        .size:           8
        .value_kind:     global_buffer
      - .offset:         96
        .size:           4
        .value_kind:     hidden_block_count_x
      - .offset:         100
        .size:           4
        .value_kind:     hidden_block_count_y
      - .offset:         104
        .size:           4
        .value_kind:     hidden_block_count_z
      - .offset:         108
        .size:           2
        .value_kind:     hidden_group_size_x
      - .offset:         110
        .size:           2
        .value_kind:     hidden_group_size_y
      - .offset:         112
        .size:           2
        .value_kind:     hidden_group_size_z
      - .offset:         114
        .size:           2
        .value_kind:     hidden_remainder_x
      - .offset:         116
        .size:           2
        .value_kind:     hidden_remainder_y
      - .offset:         118
        .size:           2
        .value_kind:     hidden_remainder_z
      - .offset:         136
        .size:           8
        .value_kind:     hidden_global_offset_x
      - .offset:         144
        .size:           8
        .value_kind:     hidden_global_offset_y
      - .offset:         152
        .size:           8
        .value_kind:     hidden_global_offset_z
      - .offset:         160
        .size:           2
        .value_kind:     hidden_grid_dims
    .group_segment_fixed_size: 512
    .kernarg_segment_align: 8
    .kernarg_segment_size: 352
    .language:       OpenCL C
    .language_version:
      - 2
      - 0
    .max_flat_workgroup_size: 1024
    .name:           _ZL18rocblas_dot_kernelIiLb1ELi1024ELi32ELb0E19rocblas_complex_numIfEPKS1_S1_EviT5_lT_lS4_lS5_liPT6_PT4_
    .private_segment_fixed_size: 0
    .sgpr_count:     29
    .sgpr_spill_count: 0
    .symbol:         _ZL18rocblas_dot_kernelIiLb1ELi1024ELi32ELb0E19rocblas_complex_numIfEPKS1_S1_EviT5_lT_lS4_lS5_liPT6_PT4_.kd
    .uniform_work_group_size: 1
    .uses_dynamic_stack: false
    .vgpr_count:     15
    .vgpr_spill_count: 0
    .wavefront_size: 64
  - .args:
      - .offset:         0
        .size:           4
        .value_kind:     by_value
      - .actual_access:  read_only
        .address_space:  global
        .offset:         8
        .size:           8
        .value_kind:     global_buffer
      - .offset:         16
        .size:           8
        .value_kind:     by_value
      - .offset:         24
        .size:           4
        .value_kind:     by_value
      - .offset:         32
        .size:           8
        .value_kind:     by_value
      - .offset:         40
        .size:           4
        .value_kind:     by_value
      - .actual_access:  read_only
        .address_space:  global
        .offset:         48
        .size:           8
        .value_kind:     global_buffer
      - .actual_access:  write_only
        .address_space:  global
        .offset:         56
        .size:           8
        .value_kind:     global_buffer
      - .offset:         64
        .size:           4
        .value_kind:     hidden_block_count_x
      - .offset:         68
        .size:           4
        .value_kind:     hidden_block_count_y
      - .offset:         72
        .size:           4
        .value_kind:     hidden_block_count_z
      - .offset:         76
        .size:           2
        .value_kind:     hidden_group_size_x
      - .offset:         78
        .size:           2
        .value_kind:     hidden_group_size_y
      - .offset:         80
        .size:           2
        .value_kind:     hidden_group_size_z
      - .offset:         82
        .size:           2
        .value_kind:     hidden_remainder_x
      - .offset:         84
        .size:           2
        .value_kind:     hidden_remainder_y
      - .offset:         86
        .size:           2
        .value_kind:     hidden_remainder_z
      - .offset:         104
        .size:           8
        .value_kind:     hidden_global_offset_x
      - .offset:         112
        .size:           8
        .value_kind:     hidden_global_offset_y
      - .offset:         120
        .size:           8
        .value_kind:     hidden_global_offset_z
      - .offset:         128
        .size:           2
        .value_kind:     hidden_grid_dims
    .group_segment_fixed_size: 512
    .kernarg_segment_align: 8
    .kernarg_segment_size: 320
    .language:       OpenCL C
    .language_version:
      - 2
      - 0
    .max_flat_workgroup_size: 1024
    .name:           _ZL24rocblas_dot_kernel_magsqIiLb1ELi1024ELi32ELb0E19rocblas_complex_numIfEPKS1_S1_EviT5_lT_liPT6_PT4_
    .private_segment_fixed_size: 0
    .sgpr_count:     24
    .sgpr_spill_count: 0
    .symbol:         _ZL24rocblas_dot_kernel_magsqIiLb1ELi1024ELi32ELb0E19rocblas_complex_numIfEPKS1_S1_EviT5_lT_liPT6_PT4_.kd
    .uniform_work_group_size: 1
    .uses_dynamic_stack: false
    .vgpr_count:     12
    .vgpr_spill_count: 0
    .wavefront_size: 64
  - .args:
      - .offset:         0
        .size:           4
        .value_kind:     by_value
      - .actual_access:  read_only
        .address_space:  global
        .offset:         8
        .size:           8
        .value_kind:     global_buffer
      - .offset:         16
        .size:           8
        .value_kind:     by_value
      - .offset:         24
        .size:           4
        .value_kind:     by_value
      - .offset:         32
        .size:           8
        .value_kind:     by_value
      - .actual_access:  read_only
        .address_space:  global
        .offset:         40
        .size:           8
        .value_kind:     global_buffer
      - .offset:         48
        .size:           8
        .value_kind:     by_value
      - .offset:         56
        .size:           4
        .value_kind:     by_value
      - .offset:         64
        .size:           8
        .value_kind:     by_value
      - .actual_access:  read_only
        .address_space:  global
        .offset:         72
        .size:           8
        .value_kind:     global_buffer
      - .actual_access:  read_only
        .address_space:  global
        .offset:         80
        .size:           8
        .value_kind:     global_buffer
    .group_segment_fixed_size: 0
    .kernarg_segment_align: 8
    .kernarg_segment_size: 88
    .language:       OpenCL C
    .language_version:
      - 2
      - 0
    .max_flat_workgroup_size: 1024
    .name:           _ZL38rocblas_dot_kernel_gfx942_float_doubleIiLi1024E19rocblas_complex_numIfEPKS1_S1_EviT2_lT_lS4_lS5_lPT3_PT1_
    .private_segment_fixed_size: 0
    .sgpr_count:     4
    .sgpr_spill_count: 0
    .symbol:         _ZL38rocblas_dot_kernel_gfx942_float_doubleIiLi1024E19rocblas_complex_numIfEPKS1_S1_EviT2_lT_lS4_lS5_lPT3_PT1_.kd
    .uniform_work_group_size: 1
    .uses_dynamic_stack: false
    .vgpr_count:     0
    .vgpr_spill_count: 0
    .wavefront_size: 64
  - .args:
      - .offset:         0
        .size:           4
        .value_kind:     by_value
      - .actual_access:  read_only
        .address_space:  global
        .offset:         8
        .size:           8
        .value_kind:     global_buffer
      - .actual_access:  write_only
        .address_space:  global
        .offset:         16
        .size:           8
        .value_kind:     global_buffer
    .group_segment_fixed_size: 512
    .kernarg_segment_align: 8
    .kernarg_segment_size: 24
    .language:       OpenCL C
    .language_version:
      - 2
      - 0
    .max_flat_workgroup_size: 1024
    .name:           _ZL30rocblas_reduction_kernel_part2ILi1024ELi4E25rocblas_finalize_identity19rocblas_complex_numIfES2_EviPT2_PT3_
    .private_segment_fixed_size: 0
    .sgpr_count:     18
    .sgpr_spill_count: 0
    .symbol:         _ZL30rocblas_reduction_kernel_part2ILi1024ELi4E25rocblas_finalize_identity19rocblas_complex_numIfES2_EviPT2_PT3_.kd
    .uniform_work_group_size: 1
    .uses_dynamic_stack: false
    .vgpr_count:     14
    .vgpr_spill_count: 0
    .wavefront_size: 64
  - .args:
      - .offset:         0
        .size:           4
        .value_kind:     by_value
      - .actual_access:  read_only
        .address_space:  global
        .offset:         8
        .size:           8
        .value_kind:     global_buffer
      - .offset:         16
        .size:           8
        .value_kind:     by_value
      - .offset:         24
        .size:           8
        .value_kind:     by_value
      - .actual_access:  read_only
        .address_space:  global
        .offset:         32
        .size:           8
        .value_kind:     global_buffer
      - .offset:         40
        .size:           8
        .value_kind:     by_value
      - .offset:         48
        .size:           8
        .value_kind:     by_value
      - .offset:         56
        .size:           4
        .value_kind:     by_value
      - .actual_access:  write_only
        .address_space:  global
        .offset:         64
        .size:           8
        .value_kind:     global_buffer
      - .actual_access:  write_only
        .address_space:  global
        .offset:         72
        .size:           8
        .value_kind:     global_buffer
      - .offset:         80
        .size:           4
        .value_kind:     hidden_block_count_x
      - .offset:         84
        .size:           4
        .value_kind:     hidden_block_count_y
      - .offset:         88
        .size:           4
        .value_kind:     hidden_block_count_z
      - .offset:         92
        .size:           2
        .value_kind:     hidden_group_size_x
      - .offset:         94
        .size:           2
        .value_kind:     hidden_group_size_y
      - .offset:         96
        .size:           2
        .value_kind:     hidden_group_size_z
      - .offset:         98
        .size:           2
        .value_kind:     hidden_remainder_x
      - .offset:         100
        .size:           2
        .value_kind:     hidden_remainder_y
      - .offset:         102
        .size:           2
        .value_kind:     hidden_remainder_z
      - .offset:         120
        .size:           8
        .value_kind:     hidden_global_offset_x
      - .offset:         128
        .size:           8
        .value_kind:     hidden_global_offset_y
      - .offset:         136
        .size:           8
        .value_kind:     hidden_global_offset_z
      - .offset:         144
        .size:           2
        .value_kind:     hidden_grid_dims
    .group_segment_fixed_size: 512
    .kernarg_segment_align: 8
    .kernarg_segment_size: 336
    .language:       OpenCL C
    .language_version:
      - 2
      - 0
    .max_flat_workgroup_size: 512
    .name:           _ZL23rocblas_dot_kernel_inc1ILb0ELi512ELi2ELb0E19rocblas_complex_numIfEPKS1_S1_EviT4_llS4_lliPT5_PT3_
    .private_segment_fixed_size: 0
    .sgpr_count:     26
    .sgpr_spill_count: 0
    .symbol:         _ZL23rocblas_dot_kernel_inc1ILb0ELi512ELi2ELb0E19rocblas_complex_numIfEPKS1_S1_EviT4_llS4_lliPT5_PT3_.kd
    .uniform_work_group_size: 1
    .uses_dynamic_stack: false
    .vgpr_count:     11
    .vgpr_spill_count: 0
    .wavefront_size: 64
  - .args:
      - .offset:         0
        .size:           4
        .value_kind:     by_value
      - .actual_access:  read_only
        .address_space:  global
        .offset:         8
        .size:           8
        .value_kind:     global_buffer
      - .offset:         16
        .size:           8
        .value_kind:     by_value
      - .offset:         24
        .size:           4
        .value_kind:     by_value
      - .offset:         32
        .size:           8
        .value_kind:     by_value
      - .actual_access:  read_only
        .address_space:  global
        .offset:         40
        .size:           8
        .value_kind:     global_buffer
      - .offset:         48
        .size:           8
        .value_kind:     by_value
      - .offset:         56
        .size:           4
        .value_kind:     by_value
      - .offset:         64
        .size:           8
        .value_kind:     by_value
      - .offset:         72
        .size:           4
        .value_kind:     by_value
      - .actual_access:  write_only
        .address_space:  global
        .offset:         80
        .size:           8
        .value_kind:     global_buffer
      - .actual_access:  write_only
        .address_space:  global
        .offset:         88
        .size:           8
        .value_kind:     global_buffer
      - .offset:         96
        .size:           4
        .value_kind:     hidden_block_count_x
      - .offset:         100
        .size:           4
        .value_kind:     hidden_block_count_y
      - .offset:         104
        .size:           4
        .value_kind:     hidden_block_count_z
      - .offset:         108
        .size:           2
        .value_kind:     hidden_group_size_x
      - .offset:         110
        .size:           2
        .value_kind:     hidden_group_size_y
      - .offset:         112
        .size:           2
        .value_kind:     hidden_group_size_z
      - .offset:         114
        .size:           2
        .value_kind:     hidden_remainder_x
      - .offset:         116
        .size:           2
        .value_kind:     hidden_remainder_y
      - .offset:         118
        .size:           2
        .value_kind:     hidden_remainder_z
      - .offset:         136
        .size:           8
        .value_kind:     hidden_global_offset_x
      - .offset:         144
        .size:           8
        .value_kind:     hidden_global_offset_y
      - .offset:         152
        .size:           8
        .value_kind:     hidden_global_offset_z
      - .offset:         160
        .size:           2
        .value_kind:     hidden_grid_dims
    .group_segment_fixed_size: 512
    .kernarg_segment_align: 8
    .kernarg_segment_size: 352
    .language:       OpenCL C
    .language_version:
      - 2
      - 0
    .max_flat_workgroup_size: 512
    .name:           _ZL18rocblas_dot_kernelIiLb0ELi512ELi2ELb0E19rocblas_complex_numIfEPKS1_S1_EviT5_lT_lS4_lS5_liPT6_PT4_
    .private_segment_fixed_size: 0
    .sgpr_count:     30
    .sgpr_spill_count: 0
    .symbol:         _ZL18rocblas_dot_kernelIiLb0ELi512ELi2ELb0E19rocblas_complex_numIfEPKS1_S1_EviT5_lT_lS4_lS5_liPT6_PT4_.kd
    .uniform_work_group_size: 1
    .uses_dynamic_stack: false
    .vgpr_count:     11
    .vgpr_spill_count: 0
    .wavefront_size: 64
  - .args:
      - .offset:         0
        .size:           4
        .value_kind:     by_value
      - .actual_access:  read_only
        .address_space:  global
        .offset:         8
        .size:           8
        .value_kind:     global_buffer
      - .offset:         16
        .size:           8
        .value_kind:     by_value
      - .offset:         24
        .size:           4
        .value_kind:     by_value
      - .offset:         32
        .size:           8
        .value_kind:     by_value
      - .offset:         40
        .size:           4
        .value_kind:     by_value
      - .actual_access:  write_only
        .address_space:  global
        .offset:         48
        .size:           8
        .value_kind:     global_buffer
      - .actual_access:  write_only
        .address_space:  global
        .offset:         56
        .size:           8
        .value_kind:     global_buffer
      - .offset:         64
        .size:           4
        .value_kind:     hidden_block_count_x
      - .offset:         68
        .size:           4
        .value_kind:     hidden_block_count_y
      - .offset:         72
        .size:           4
        .value_kind:     hidden_block_count_z
      - .offset:         76
        .size:           2
        .value_kind:     hidden_group_size_x
      - .offset:         78
        .size:           2
        .value_kind:     hidden_group_size_y
      - .offset:         80
        .size:           2
        .value_kind:     hidden_group_size_z
      - .offset:         82
        .size:           2
        .value_kind:     hidden_remainder_x
      - .offset:         84
        .size:           2
        .value_kind:     hidden_remainder_y
      - .offset:         86
        .size:           2
        .value_kind:     hidden_remainder_z
      - .offset:         104
        .size:           8
        .value_kind:     hidden_global_offset_x
      - .offset:         112
        .size:           8
        .value_kind:     hidden_global_offset_y
      - .offset:         120
        .size:           8
        .value_kind:     hidden_global_offset_z
      - .offset:         128
        .size:           2
        .value_kind:     hidden_grid_dims
    .group_segment_fixed_size: 512
    .kernarg_segment_align: 8
    .kernarg_segment_size: 320
    .language:       OpenCL C
    .language_version:
      - 2
      - 0
    .max_flat_workgroup_size: 512
    .name:           _ZL24rocblas_dot_kernel_magsqIiLb0ELi512ELi2ELb0E19rocblas_complex_numIfEPKS1_S1_EviT5_lT_liPT6_PT4_
    .private_segment_fixed_size: 0
    .sgpr_count:     21
    .sgpr_spill_count: 0
    .symbol:         _ZL24rocblas_dot_kernel_magsqIiLb0ELi512ELi2ELb0E19rocblas_complex_numIfEPKS1_S1_EviT5_lT_liPT6_PT4_.kd
    .uniform_work_group_size: 1
    .uses_dynamic_stack: false
    .vgpr_count:     11
    .vgpr_spill_count: 0
    .wavefront_size: 64
  - .args:
      - .offset:         0
        .size:           4
        .value_kind:     by_value
      - .actual_access:  read_only
        .address_space:  global
        .offset:         8
        .size:           8
        .value_kind:     global_buffer
      - .actual_access:  write_only
        .address_space:  global
        .offset:         16
        .size:           8
        .value_kind:     global_buffer
    .group_segment_fixed_size: 512
    .kernarg_segment_align: 8
    .kernarg_segment_size: 24
    .language:       OpenCL C
    .language_version:
      - 2
      - 0
    .max_flat_workgroup_size: 512
    .name:           _ZL30rocblas_reduction_kernel_part2ILi512ELi2E25rocblas_finalize_identity19rocblas_complex_numIfES2_EviPT2_PT3_
    .private_segment_fixed_size: 0
    .sgpr_count:     18
    .sgpr_spill_count: 0
    .symbol:         _ZL30rocblas_reduction_kernel_part2ILi512ELi2E25rocblas_finalize_identity19rocblas_complex_numIfES2_EviPT2_PT3_.kd
    .uniform_work_group_size: 1
    .uses_dynamic_stack: false
    .vgpr_count:     11
    .vgpr_spill_count: 0
    .wavefront_size: 64
  - .args:
      - .offset:         0
        .size:           4
        .value_kind:     by_value
      - .actual_access:  read_only
        .address_space:  global
        .offset:         8
        .size:           8
        .value_kind:     global_buffer
      - .offset:         16
        .size:           8
        .value_kind:     by_value
      - .offset:         24
        .size:           4
        .value_kind:     by_value
      - .offset:         32
        .size:           8
        .value_kind:     by_value
      - .actual_access:  read_only
        .address_space:  global
        .offset:         40
        .size:           8
        .value_kind:     global_buffer
      - .offset:         48
        .size:           8
        .value_kind:     by_value
      - .offset:         56
        .size:           4
        .value_kind:     by_value
      - .offset:         64
        .size:           8
        .value_kind:     by_value
      - .offset:         72
        .size:           4
        .value_kind:     by_value
      - .actual_access:  write_only
        .address_space:  global
        .offset:         80
        .size:           8
        .value_kind:     global_buffer
    .group_segment_fixed_size: 0
    .kernarg_segment_align: 8
    .kernarg_segment_size: 88
    .language:       OpenCL C
    .language_version:
      - 2
      - 0
    .max_flat_workgroup_size: 128
    .name:           _ZL28rocblas_dot_batched_4_kernelIiLi32ELi4ELb0E19rocblas_complex_numIdES1_PKS1_EviT5_lT_lS4_lS5_liPT4_
    .private_segment_fixed_size: 0
    .sgpr_count:     28
    .sgpr_spill_count: 0
    .symbol:         _ZL28rocblas_dot_batched_4_kernelIiLi32ELi4ELb0E19rocblas_complex_numIdES1_PKS1_EviT5_lT_lS4_lS5_liPT4_.kd
    .uniform_work_group_size: 1
    .uses_dynamic_stack: false
    .vgpr_count:     22
    .vgpr_spill_count: 0
    .wavefront_size: 64
  - .args:
      - .offset:         0
        .size:           4
        .value_kind:     by_value
      - .actual_access:  read_only
        .address_space:  global
        .offset:         8
        .size:           8
        .value_kind:     global_buffer
      - .offset:         16
        .size:           8
        .value_kind:     by_value
      - .offset:         24
        .size:           4
        .value_kind:     by_value
      - .offset:         32
        .size:           8
        .value_kind:     by_value
      - .actual_access:  read_only
        .address_space:  global
        .offset:         40
        .size:           8
        .value_kind:     global_buffer
      - .offset:         48
        .size:           8
        .value_kind:     by_value
      - .offset:         56
        .size:           4
        .value_kind:     by_value
      - .offset:         64
        .size:           8
        .value_kind:     by_value
      - .offset:         72
        .size:           4
        .value_kind:     by_value
      - .actual_access:  write_only
        .address_space:  global
        .offset:         80
        .size:           8
        .value_kind:     global_buffer
    .group_segment_fixed_size: 0
    .kernarg_segment_align: 8
    .kernarg_segment_size: 88
    .language:       OpenCL C
    .language_version:
      - 2
      - 0
    .max_flat_workgroup_size: 256
    .name:           _ZL28rocblas_dot_batched_4_kernelIiLi64ELi4ELb0E19rocblas_complex_numIdES1_PKS1_EviT5_lT_lS4_lS5_liPT4_
    .private_segment_fixed_size: 0
    .sgpr_count:     28
    .sgpr_spill_count: 0
    .symbol:         _ZL28rocblas_dot_batched_4_kernelIiLi64ELi4ELb0E19rocblas_complex_numIdES1_PKS1_EviT5_lT_lS4_lS5_liPT4_.kd
    .uniform_work_group_size: 1
    .uses_dynamic_stack: false
    .vgpr_count:     22
    .vgpr_spill_count: 0
    .wavefront_size: 64
  - .args:
      - .offset:         0
        .size:           4
        .value_kind:     by_value
      - .actual_access:  read_only
        .address_space:  global
        .offset:         8
        .size:           8
        .value_kind:     global_buffer
      - .offset:         16
        .size:           8
        .value_kind:     by_value
      - .offset:         24
        .size:           8
        .value_kind:     by_value
      - .actual_access:  read_only
        .address_space:  global
        .offset:         32
        .size:           8
        .value_kind:     global_buffer
      - .offset:         40
        .size:           8
        .value_kind:     by_value
      - .offset:         48
        .size:           8
        .value_kind:     by_value
      - .offset:         56
        .size:           4
        .value_kind:     by_value
      - .actual_access:  read_only
        .address_space:  global
        .offset:         64
        .size:           8
        .value_kind:     global_buffer
      - .actual_access:  write_only
        .address_space:  global
        .offset:         72
        .size:           8
        .value_kind:     global_buffer
    .group_segment_fixed_size: 1024
    .kernarg_segment_align: 8
    .kernarg_segment_size: 80
    .language:       OpenCL C
    .language_version:
      - 2
      - 0
    .max_flat_workgroup_size: 1024
    .name:           _ZL26rocblas_dot_kernel_inc1by2ILb1ELi1024ELi32ELb0E19rocblas_complex_numIdEPKS1_S1_EviT4_llS4_lliPT5_PT3_
    .private_segment_fixed_size: 0
    .sgpr_count:     26
    .sgpr_spill_count: 0
    .symbol:         _ZL26rocblas_dot_kernel_inc1by2ILb1ELi1024ELi32ELb0E19rocblas_complex_numIdEPKS1_S1_EviT4_llS4_lliPT5_PT3_.kd
    .uniform_work_group_size: 1
    .uses_dynamic_stack: false
    .vgpr_count:     20
    .vgpr_spill_count: 0
    .wavefront_size: 64
  - .args:
      - .offset:         0
        .size:           4
        .value_kind:     by_value
      - .actual_access:  read_only
        .address_space:  global
        .offset:         8
        .size:           8
        .value_kind:     global_buffer
      - .offset:         16
        .size:           8
        .value_kind:     by_value
      - .offset:         24
        .size:           4
        .value_kind:     by_value
      - .offset:         32
        .size:           8
        .value_kind:     by_value
      - .actual_access:  read_only
        .address_space:  global
        .offset:         40
        .size:           8
        .value_kind:     global_buffer
      - .offset:         48
        .size:           8
        .value_kind:     by_value
      - .offset:         56
        .size:           4
        .value_kind:     by_value
      - .offset:         64
        .size:           8
        .value_kind:     by_value
      - .offset:         72
        .size:           4
        .value_kind:     by_value
      - .actual_access:  read_only
        .address_space:  global
        .offset:         80
        .size:           8
        .value_kind:     global_buffer
      - .actual_access:  write_only
        .address_space:  global
        .offset:         88
        .size:           8
        .value_kind:     global_buffer
      - .offset:         96
        .size:           4
        .value_kind:     hidden_block_count_x
      - .offset:         100
        .size:           4
        .value_kind:     hidden_block_count_y
      - .offset:         104
        .size:           4
        .value_kind:     hidden_block_count_z
      - .offset:         108
        .size:           2
        .value_kind:     hidden_group_size_x
      - .offset:         110
        .size:           2
        .value_kind:     hidden_group_size_y
      - .offset:         112
        .size:           2
        .value_kind:     hidden_group_size_z
      - .offset:         114
        .size:           2
        .value_kind:     hidden_remainder_x
      - .offset:         116
        .size:           2
        .value_kind:     hidden_remainder_y
      - .offset:         118
        .size:           2
        .value_kind:     hidden_remainder_z
      - .offset:         136
        .size:           8
        .value_kind:     hidden_global_offset_x
      - .offset:         144
        .size:           8
        .value_kind:     hidden_global_offset_y
      - .offset:         152
        .size:           8
        .value_kind:     hidden_global_offset_z
      - .offset:         160
        .size:           2
        .value_kind:     hidden_grid_dims
    .group_segment_fixed_size: 1024
    .kernarg_segment_align: 8
    .kernarg_segment_size: 352
    .language:       OpenCL C
    .language_version:
      - 2
      - 0
    .max_flat_workgroup_size: 1024
    .name:           _ZL18rocblas_dot_kernelIiLb1ELi1024ELi32ELb0E19rocblas_complex_numIdEPKS1_S1_EviT5_lT_lS4_lS5_liPT6_PT4_
    .private_segment_fixed_size: 0
    .sgpr_count:     29
    .sgpr_spill_count: 0
    .symbol:         _ZL18rocblas_dot_kernelIiLb1ELi1024ELi32ELb0E19rocblas_complex_numIdEPKS1_S1_EviT5_lT_lS4_lS5_liPT6_PT4_.kd
    .uniform_work_group_size: 1
    .uses_dynamic_stack: false
    .vgpr_count:     22
    .vgpr_spill_count: 0
    .wavefront_size: 64
  - .args:
      - .offset:         0
        .size:           4
        .value_kind:     by_value
      - .actual_access:  read_only
        .address_space:  global
        .offset:         8
        .size:           8
        .value_kind:     global_buffer
      - .offset:         16
        .size:           8
        .value_kind:     by_value
      - .offset:         24
        .size:           4
        .value_kind:     by_value
      - .offset:         32
        .size:           8
        .value_kind:     by_value
      - .offset:         40
        .size:           4
        .value_kind:     by_value
      - .actual_access:  read_only
        .address_space:  global
        .offset:         48
        .size:           8
        .value_kind:     global_buffer
      - .actual_access:  write_only
        .address_space:  global
        .offset:         56
        .size:           8
        .value_kind:     global_buffer
      - .offset:         64
        .size:           4
        .value_kind:     hidden_block_count_x
      - .offset:         68
        .size:           4
        .value_kind:     hidden_block_count_y
      - .offset:         72
        .size:           4
        .value_kind:     hidden_block_count_z
      - .offset:         76
        .size:           2
        .value_kind:     hidden_group_size_x
      - .offset:         78
        .size:           2
        .value_kind:     hidden_group_size_y
      - .offset:         80
        .size:           2
        .value_kind:     hidden_group_size_z
      - .offset:         82
        .size:           2
        .value_kind:     hidden_remainder_x
      - .offset:         84
        .size:           2
        .value_kind:     hidden_remainder_y
      - .offset:         86
        .size:           2
        .value_kind:     hidden_remainder_z
      - .offset:         104
        .size:           8
        .value_kind:     hidden_global_offset_x
      - .offset:         112
        .size:           8
        .value_kind:     hidden_global_offset_y
      - .offset:         120
        .size:           8
        .value_kind:     hidden_global_offset_z
      - .offset:         128
        .size:           2
        .value_kind:     hidden_grid_dims
    .group_segment_fixed_size: 1024
    .kernarg_segment_align: 8
    .kernarg_segment_size: 320
    .language:       OpenCL C
    .language_version:
      - 2
      - 0
    .max_flat_workgroup_size: 1024
    .name:           _ZL24rocblas_dot_kernel_magsqIiLb1ELi1024ELi32ELb0E19rocblas_complex_numIdEPKS1_S1_EviT5_lT_liPT6_PT4_
    .private_segment_fixed_size: 0
    .sgpr_count:     24
    .sgpr_spill_count: 0
    .symbol:         _ZL24rocblas_dot_kernel_magsqIiLb1ELi1024ELi32ELb0E19rocblas_complex_numIdEPKS1_S1_EviT5_lT_liPT6_PT4_.kd
    .uniform_work_group_size: 1
    .uses_dynamic_stack: false
    .vgpr_count:     16
    .vgpr_spill_count: 0
    .wavefront_size: 64
  - .args:
      - .offset:         0
        .size:           4
        .value_kind:     by_value
      - .actual_access:  read_only
        .address_space:  global
        .offset:         8
        .size:           8
        .value_kind:     global_buffer
      - .offset:         16
        .size:           8
        .value_kind:     by_value
      - .offset:         24
        .size:           4
        .value_kind:     by_value
      - .offset:         32
        .size:           8
        .value_kind:     by_value
      - .actual_access:  read_only
        .address_space:  global
        .offset:         40
        .size:           8
        .value_kind:     global_buffer
      - .offset:         48
        .size:           8
        .value_kind:     by_value
      - .offset:         56
        .size:           4
        .value_kind:     by_value
      - .offset:         64
        .size:           8
        .value_kind:     by_value
      - .actual_access:  read_only
        .address_space:  global
        .offset:         72
        .size:           8
        .value_kind:     global_buffer
      - .actual_access:  read_only
        .address_space:  global
        .offset:         80
        .size:           8
        .value_kind:     global_buffer
    .group_segment_fixed_size: 0
    .kernarg_segment_align: 8
    .kernarg_segment_size: 88
    .language:       OpenCL C
    .language_version:
      - 2
      - 0
    .max_flat_workgroup_size: 1024
    .name:           _ZL38rocblas_dot_kernel_gfx942_float_doubleIiLi1024E19rocblas_complex_numIdEPKS1_S1_EviT2_lT_lS4_lS5_lPT3_PT1_
    .private_segment_fixed_size: 0
    .sgpr_count:     4
    .sgpr_spill_count: 0
    .symbol:         _ZL38rocblas_dot_kernel_gfx942_float_doubleIiLi1024E19rocblas_complex_numIdEPKS1_S1_EviT2_lT_lS4_lS5_lPT3_PT1_.kd
    .uniform_work_group_size: 1
    .uses_dynamic_stack: false
    .vgpr_count:     0
    .vgpr_spill_count: 0
    .wavefront_size: 64
  - .args:
      - .offset:         0
        .size:           4
        .value_kind:     by_value
      - .actual_access:  read_only
        .address_space:  global
        .offset:         8
        .size:           8
        .value_kind:     global_buffer
      - .actual_access:  write_only
        .address_space:  global
        .offset:         16
        .size:           8
        .value_kind:     global_buffer
    .group_segment_fixed_size: 1024
    .kernarg_segment_align: 8
    .kernarg_segment_size: 24
    .language:       OpenCL C
    .language_version:
      - 2
      - 0
    .max_flat_workgroup_size: 1024
    .name:           _ZL30rocblas_reduction_kernel_part2ILi1024ELi4E25rocblas_finalize_identity19rocblas_complex_numIdES2_EviPT2_PT3_
    .private_segment_fixed_size: 0
    .sgpr_count:     20
    .sgpr_spill_count: 0
    .symbol:         _ZL30rocblas_reduction_kernel_part2ILi1024ELi4E25rocblas_finalize_identity19rocblas_complex_numIdES2_EviPT2_PT3_.kd
    .uniform_work_group_size: 1
    .uses_dynamic_stack: false
    .vgpr_count:     20
    .vgpr_spill_count: 0
    .wavefront_size: 64
  - .args:
      - .offset:         0
        .size:           4
        .value_kind:     by_value
      - .actual_access:  read_only
        .address_space:  global
        .offset:         8
        .size:           8
        .value_kind:     global_buffer
      - .offset:         16
        .size:           8
        .value_kind:     by_value
      - .offset:         24
        .size:           8
        .value_kind:     by_value
      - .actual_access:  read_only
        .address_space:  global
        .offset:         32
        .size:           8
        .value_kind:     global_buffer
      - .offset:         40
        .size:           8
        .value_kind:     by_value
      - .offset:         48
        .size:           8
        .value_kind:     by_value
      - .offset:         56
        .size:           4
        .value_kind:     by_value
      - .actual_access:  write_only
        .address_space:  global
        .offset:         64
        .size:           8
        .value_kind:     global_buffer
      - .actual_access:  write_only
        .address_space:  global
        .offset:         72
        .size:           8
        .value_kind:     global_buffer
      - .offset:         80
        .size:           4
        .value_kind:     hidden_block_count_x
      - .offset:         84
        .size:           4
        .value_kind:     hidden_block_count_y
      - .offset:         88
        .size:           4
        .value_kind:     hidden_block_count_z
      - .offset:         92
        .size:           2
        .value_kind:     hidden_group_size_x
      - .offset:         94
        .size:           2
        .value_kind:     hidden_group_size_y
      - .offset:         96
        .size:           2
        .value_kind:     hidden_group_size_z
      - .offset:         98
        .size:           2
        .value_kind:     hidden_remainder_x
      - .offset:         100
        .size:           2
        .value_kind:     hidden_remainder_y
      - .offset:         102
        .size:           2
        .value_kind:     hidden_remainder_z
      - .offset:         120
        .size:           8
        .value_kind:     hidden_global_offset_x
      - .offset:         128
        .size:           8
        .value_kind:     hidden_global_offset_y
      - .offset:         136
        .size:           8
        .value_kind:     hidden_global_offset_z
      - .offset:         144
        .size:           2
        .value_kind:     hidden_grid_dims
    .group_segment_fixed_size: 1024
    .kernarg_segment_align: 8
    .kernarg_segment_size: 336
    .language:       OpenCL C
    .language_version:
      - 2
      - 0
    .max_flat_workgroup_size: 512
    .name:           _ZL23rocblas_dot_kernel_inc1ILb0ELi512ELi2ELb0E19rocblas_complex_numIdEPKS1_S1_EviT4_llS4_lliPT5_PT3_
    .private_segment_fixed_size: 0
    .sgpr_count:     26
    .sgpr_spill_count: 0
    .symbol:         _ZL23rocblas_dot_kernel_inc1ILb0ELi512ELi2ELb0E19rocblas_complex_numIdEPKS1_S1_EviT4_llS4_lliPT5_PT3_.kd
    .uniform_work_group_size: 1
    .uses_dynamic_stack: false
    .vgpr_count:     15
    .vgpr_spill_count: 0
    .wavefront_size: 64
  - .args:
      - .offset:         0
        .size:           4
        .value_kind:     by_value
      - .actual_access:  read_only
        .address_space:  global
        .offset:         8
        .size:           8
        .value_kind:     global_buffer
      - .offset:         16
        .size:           8
        .value_kind:     by_value
      - .offset:         24
        .size:           4
        .value_kind:     by_value
      - .offset:         32
        .size:           8
        .value_kind:     by_value
      - .actual_access:  read_only
        .address_space:  global
        .offset:         40
        .size:           8
        .value_kind:     global_buffer
      - .offset:         48
        .size:           8
        .value_kind:     by_value
      - .offset:         56
        .size:           4
        .value_kind:     by_value
      - .offset:         64
        .size:           8
        .value_kind:     by_value
      - .offset:         72
        .size:           4
        .value_kind:     by_value
      - .actual_access:  write_only
        .address_space:  global
        .offset:         80
        .size:           8
        .value_kind:     global_buffer
      - .actual_access:  write_only
        .address_space:  global
        .offset:         88
        .size:           8
        .value_kind:     global_buffer
      - .offset:         96
        .size:           4
        .value_kind:     hidden_block_count_x
      - .offset:         100
        .size:           4
        .value_kind:     hidden_block_count_y
      - .offset:         104
        .size:           4
        .value_kind:     hidden_block_count_z
      - .offset:         108
        .size:           2
        .value_kind:     hidden_group_size_x
      - .offset:         110
        .size:           2
        .value_kind:     hidden_group_size_y
      - .offset:         112
        .size:           2
        .value_kind:     hidden_group_size_z
      - .offset:         114
        .size:           2
        .value_kind:     hidden_remainder_x
      - .offset:         116
        .size:           2
        .value_kind:     hidden_remainder_y
      - .offset:         118
        .size:           2
        .value_kind:     hidden_remainder_z
      - .offset:         136
        .size:           8
        .value_kind:     hidden_global_offset_x
      - .offset:         144
        .size:           8
        .value_kind:     hidden_global_offset_y
      - .offset:         152
        .size:           8
        .value_kind:     hidden_global_offset_z
      - .offset:         160
        .size:           2
        .value_kind:     hidden_grid_dims
    .group_segment_fixed_size: 1024
    .kernarg_segment_align: 8
    .kernarg_segment_size: 352
    .language:       OpenCL C
    .language_version:
      - 2
      - 0
    .max_flat_workgroup_size: 512
    .name:           _ZL18rocblas_dot_kernelIiLb0ELi512ELi2ELb0E19rocblas_complex_numIdEPKS1_S1_EviT5_lT_lS4_lS5_liPT6_PT4_
    .private_segment_fixed_size: 0
    .sgpr_count:     30
    .sgpr_spill_count: 0
    .symbol:         _ZL18rocblas_dot_kernelIiLb0ELi512ELi2ELb0E19rocblas_complex_numIdEPKS1_S1_EviT5_lT_lS4_lS5_liPT6_PT4_.kd
    .uniform_work_group_size: 1
    .uses_dynamic_stack: false
    .vgpr_count:     15
    .vgpr_spill_count: 0
    .wavefront_size: 64
  - .args:
      - .offset:         0
        .size:           4
        .value_kind:     by_value
      - .actual_access:  read_only
        .address_space:  global
        .offset:         8
        .size:           8
        .value_kind:     global_buffer
      - .offset:         16
        .size:           8
        .value_kind:     by_value
      - .offset:         24
        .size:           4
        .value_kind:     by_value
      - .offset:         32
        .size:           8
        .value_kind:     by_value
      - .offset:         40
        .size:           4
        .value_kind:     by_value
      - .actual_access:  write_only
        .address_space:  global
        .offset:         48
        .size:           8
        .value_kind:     global_buffer
      - .actual_access:  write_only
        .address_space:  global
        .offset:         56
        .size:           8
        .value_kind:     global_buffer
      - .offset:         64
        .size:           4
        .value_kind:     hidden_block_count_x
      - .offset:         68
        .size:           4
        .value_kind:     hidden_block_count_y
      - .offset:         72
        .size:           4
        .value_kind:     hidden_block_count_z
      - .offset:         76
        .size:           2
        .value_kind:     hidden_group_size_x
      - .offset:         78
        .size:           2
        .value_kind:     hidden_group_size_y
      - .offset:         80
        .size:           2
        .value_kind:     hidden_group_size_z
      - .offset:         82
        .size:           2
        .value_kind:     hidden_remainder_x
      - .offset:         84
        .size:           2
        .value_kind:     hidden_remainder_y
      - .offset:         86
        .size:           2
        .value_kind:     hidden_remainder_z
      - .offset:         104
        .size:           8
        .value_kind:     hidden_global_offset_x
      - .offset:         112
        .size:           8
        .value_kind:     hidden_global_offset_y
      - .offset:         120
        .size:           8
        .value_kind:     hidden_global_offset_z
      - .offset:         128
        .size:           2
        .value_kind:     hidden_grid_dims
    .group_segment_fixed_size: 1024
    .kernarg_segment_align: 8
    .kernarg_segment_size: 320
    .language:       OpenCL C
    .language_version:
      - 2
      - 0
    .max_flat_workgroup_size: 512
    .name:           _ZL24rocblas_dot_kernel_magsqIiLb0ELi512ELi2ELb0E19rocblas_complex_numIdEPKS1_S1_EviT5_lT_liPT6_PT4_
    .private_segment_fixed_size: 0
    .sgpr_count:     21
    .sgpr_spill_count: 0
    .symbol:         _ZL24rocblas_dot_kernel_magsqIiLb0ELi512ELi2ELb0E19rocblas_complex_numIdEPKS1_S1_EviT5_lT_liPT6_PT4_.kd
    .uniform_work_group_size: 1
    .uses_dynamic_stack: false
    .vgpr_count:     15
    .vgpr_spill_count: 0
    .wavefront_size: 64
  - .args:
      - .offset:         0
        .size:           4
        .value_kind:     by_value
      - .actual_access:  read_only
        .address_space:  global
        .offset:         8
        .size:           8
        .value_kind:     global_buffer
      - .actual_access:  write_only
        .address_space:  global
        .offset:         16
        .size:           8
        .value_kind:     global_buffer
    .group_segment_fixed_size: 1024
    .kernarg_segment_align: 8
    .kernarg_segment_size: 24
    .language:       OpenCL C
    .language_version:
      - 2
      - 0
    .max_flat_workgroup_size: 512
    .name:           _ZL30rocblas_reduction_kernel_part2ILi512ELi2E25rocblas_finalize_identity19rocblas_complex_numIdES2_EviPT2_PT3_
    .private_segment_fixed_size: 0
    .sgpr_count:     20
    .sgpr_spill_count: 0
    .symbol:         _ZL30rocblas_reduction_kernel_part2ILi512ELi2E25rocblas_finalize_identity19rocblas_complex_numIdES2_EviPT2_PT3_.kd
    .uniform_work_group_size: 1
    .uses_dynamic_stack: false
    .vgpr_count:     16
    .vgpr_spill_count: 0
    .wavefront_size: 64
  - .args:
      - .offset:         0
        .size:           4
        .value_kind:     by_value
      - .actual_access:  read_only
        .address_space:  global
        .offset:         8
        .size:           8
        .value_kind:     global_buffer
      - .offset:         16
        .size:           8
        .value_kind:     by_value
      - .offset:         24
        .size:           4
        .value_kind:     by_value
      - .offset:         32
        .size:           8
        .value_kind:     by_value
      - .actual_access:  read_only
        .address_space:  global
        .offset:         40
        .size:           8
        .value_kind:     global_buffer
      - .offset:         48
        .size:           8
        .value_kind:     by_value
      - .offset:         56
        .size:           4
        .value_kind:     by_value
      - .offset:         64
        .size:           8
        .value_kind:     by_value
      - .offset:         72
        .size:           4
        .value_kind:     by_value
      - .actual_access:  write_only
        .address_space:  global
        .offset:         80
        .size:           8
        .value_kind:     global_buffer
    .group_segment_fixed_size: 0
    .kernarg_segment_align: 8
    .kernarg_segment_size: 88
    .language:       OpenCL C
    .language_version:
      - 2
      - 0
    .max_flat_workgroup_size: 128
    .name:           _ZL28rocblas_dot_batched_4_kernelIiLi32ELi4ELb1E19rocblas_complex_numIfES1_PKS1_EviT5_lT_lS4_lS5_liPT4_
    .private_segment_fixed_size: 0
    .sgpr_count:     28
    .sgpr_spill_count: 0
    .symbol:         _ZL28rocblas_dot_batched_4_kernelIiLi32ELi4ELb1E19rocblas_complex_numIfES1_PKS1_EviT5_lT_lS4_lS5_liPT4_.kd
    .uniform_work_group_size: 1
    .uses_dynamic_stack: false
    .vgpr_count:     16
    .vgpr_spill_count: 0
    .wavefront_size: 64
  - .args:
      - .offset:         0
        .size:           4
        .value_kind:     by_value
      - .actual_access:  read_only
        .address_space:  global
        .offset:         8
        .size:           8
        .value_kind:     global_buffer
      - .offset:         16
        .size:           8
        .value_kind:     by_value
      - .offset:         24
        .size:           4
        .value_kind:     by_value
      - .offset:         32
        .size:           8
        .value_kind:     by_value
      - .actual_access:  read_only
        .address_space:  global
        .offset:         40
        .size:           8
        .value_kind:     global_buffer
      - .offset:         48
        .size:           8
        .value_kind:     by_value
      - .offset:         56
        .size:           4
        .value_kind:     by_value
      - .offset:         64
        .size:           8
        .value_kind:     by_value
      - .offset:         72
        .size:           4
        .value_kind:     by_value
      - .actual_access:  write_only
        .address_space:  global
        .offset:         80
        .size:           8
        .value_kind:     global_buffer
    .group_segment_fixed_size: 0
    .kernarg_segment_align: 8
    .kernarg_segment_size: 88
    .language:       OpenCL C
    .language_version:
      - 2
      - 0
    .max_flat_workgroup_size: 256
    .name:           _ZL28rocblas_dot_batched_4_kernelIiLi64ELi4ELb1E19rocblas_complex_numIfES1_PKS1_EviT5_lT_lS4_lS5_liPT4_
    .private_segment_fixed_size: 0
    .sgpr_count:     28
    .sgpr_spill_count: 0
    .symbol:         _ZL28rocblas_dot_batched_4_kernelIiLi64ELi4ELb1E19rocblas_complex_numIfES1_PKS1_EviT5_lT_lS4_lS5_liPT4_.kd
    .uniform_work_group_size: 1
    .uses_dynamic_stack: false
    .vgpr_count:     16
    .vgpr_spill_count: 0
    .wavefront_size: 64
  - .args:
      - .offset:         0
        .size:           4
        .value_kind:     by_value
      - .actual_access:  read_only
        .address_space:  global
        .offset:         8
        .size:           8
        .value_kind:     global_buffer
      - .offset:         16
        .size:           8
        .value_kind:     by_value
      - .offset:         24
        .size:           8
        .value_kind:     by_value
      - .actual_access:  read_only
        .address_space:  global
        .offset:         32
        .size:           8
        .value_kind:     global_buffer
      - .offset:         40
        .size:           8
        .value_kind:     by_value
      - .offset:         48
        .size:           8
        .value_kind:     by_value
      - .offset:         56
        .size:           4
        .value_kind:     by_value
      - .actual_access:  read_only
        .address_space:  global
        .offset:         64
        .size:           8
        .value_kind:     global_buffer
      - .actual_access:  write_only
        .address_space:  global
        .offset:         72
        .size:           8
        .value_kind:     global_buffer
    .group_segment_fixed_size: 512
    .kernarg_segment_align: 8
    .kernarg_segment_size: 80
    .language:       OpenCL C
    .language_version:
      - 2
      - 0
    .max_flat_workgroup_size: 1024
    .name:           _ZL26rocblas_dot_kernel_inc1by2ILb1ELi1024ELi32ELb1E19rocblas_complex_numIfEPKS1_S1_EviT4_llS4_lliPT5_PT3_
    .private_segment_fixed_size: 0
    .sgpr_count:     26
    .sgpr_spill_count: 0
    .symbol:         _ZL26rocblas_dot_kernel_inc1by2ILb1ELi1024ELi32ELb1E19rocblas_complex_numIfEPKS1_S1_EviT4_llS4_lliPT5_PT3_.kd
    .uniform_work_group_size: 1
    .uses_dynamic_stack: false
    .vgpr_count:     13
    .vgpr_spill_count: 0
    .wavefront_size: 64
  - .args:
      - .offset:         0
        .size:           4
        .value_kind:     by_value
      - .actual_access:  read_only
        .address_space:  global
        .offset:         8
        .size:           8
        .value_kind:     global_buffer
      - .offset:         16
        .size:           8
        .value_kind:     by_value
      - .offset:         24
        .size:           4
        .value_kind:     by_value
      - .offset:         32
        .size:           8
        .value_kind:     by_value
      - .actual_access:  read_only
        .address_space:  global
        .offset:         40
        .size:           8
        .value_kind:     global_buffer
      - .offset:         48
        .size:           8
        .value_kind:     by_value
      - .offset:         56
        .size:           4
        .value_kind:     by_value
      - .offset:         64
        .size:           8
        .value_kind:     by_value
      - .offset:         72
        .size:           4
        .value_kind:     by_value
      - .actual_access:  read_only
        .address_space:  global
        .offset:         80
        .size:           8
        .value_kind:     global_buffer
      - .actual_access:  write_only
        .address_space:  global
        .offset:         88
        .size:           8
        .value_kind:     global_buffer
      - .offset:         96
        .size:           4
        .value_kind:     hidden_block_count_x
      - .offset:         100
        .size:           4
        .value_kind:     hidden_block_count_y
      - .offset:         104
        .size:           4
        .value_kind:     hidden_block_count_z
      - .offset:         108
        .size:           2
        .value_kind:     hidden_group_size_x
      - .offset:         110
        .size:           2
        .value_kind:     hidden_group_size_y
      - .offset:         112
        .size:           2
        .value_kind:     hidden_group_size_z
      - .offset:         114
        .size:           2
        .value_kind:     hidden_remainder_x
      - .offset:         116
        .size:           2
        .value_kind:     hidden_remainder_y
      - .offset:         118
        .size:           2
        .value_kind:     hidden_remainder_z
      - .offset:         136
        .size:           8
        .value_kind:     hidden_global_offset_x
      - .offset:         144
        .size:           8
        .value_kind:     hidden_global_offset_y
      - .offset:         152
        .size:           8
        .value_kind:     hidden_global_offset_z
      - .offset:         160
        .size:           2
        .value_kind:     hidden_grid_dims
    .group_segment_fixed_size: 512
    .kernarg_segment_align: 8
    .kernarg_segment_size: 352
    .language:       OpenCL C
    .language_version:
      - 2
      - 0
    .max_flat_workgroup_size: 1024
    .name:           _ZL18rocblas_dot_kernelIiLb1ELi1024ELi32ELb1E19rocblas_complex_numIfEPKS1_S1_EviT5_lT_lS4_lS5_liPT6_PT4_
    .private_segment_fixed_size: 0
    .sgpr_count:     29
    .sgpr_spill_count: 0
    .symbol:         _ZL18rocblas_dot_kernelIiLb1ELi1024ELi32ELb1E19rocblas_complex_numIfEPKS1_S1_EviT5_lT_lS4_lS5_liPT6_PT4_.kd
    .uniform_work_group_size: 1
    .uses_dynamic_stack: false
    .vgpr_count:     15
    .vgpr_spill_count: 0
    .wavefront_size: 64
  - .args:
      - .offset:         0
        .size:           4
        .value_kind:     by_value
      - .actual_access:  read_only
        .address_space:  global
        .offset:         8
        .size:           8
        .value_kind:     global_buffer
      - .offset:         16
        .size:           8
        .value_kind:     by_value
      - .offset:         24
        .size:           4
        .value_kind:     by_value
      - .offset:         32
        .size:           8
        .value_kind:     by_value
      - .offset:         40
        .size:           4
        .value_kind:     by_value
      - .actual_access:  read_only
        .address_space:  global
        .offset:         48
        .size:           8
        .value_kind:     global_buffer
      - .actual_access:  write_only
        .address_space:  global
        .offset:         56
        .size:           8
        .value_kind:     global_buffer
      - .offset:         64
        .size:           4
        .value_kind:     hidden_block_count_x
      - .offset:         68
        .size:           4
        .value_kind:     hidden_block_count_y
      - .offset:         72
        .size:           4
        .value_kind:     hidden_block_count_z
      - .offset:         76
        .size:           2
        .value_kind:     hidden_group_size_x
      - .offset:         78
        .size:           2
        .value_kind:     hidden_group_size_y
      - .offset:         80
        .size:           2
        .value_kind:     hidden_group_size_z
      - .offset:         82
        .size:           2
        .value_kind:     hidden_remainder_x
      - .offset:         84
        .size:           2
        .value_kind:     hidden_remainder_y
      - .offset:         86
        .size:           2
        .value_kind:     hidden_remainder_z
      - .offset:         104
        .size:           8
        .value_kind:     hidden_global_offset_x
      - .offset:         112
        .size:           8
        .value_kind:     hidden_global_offset_y
      - .offset:         120
        .size:           8
        .value_kind:     hidden_global_offset_z
      - .offset:         128
        .size:           2
        .value_kind:     hidden_grid_dims
    .group_segment_fixed_size: 512
    .kernarg_segment_align: 8
    .kernarg_segment_size: 320
    .language:       OpenCL C
    .language_version:
      - 2
      - 0
    .max_flat_workgroup_size: 1024
    .name:           _ZL24rocblas_dot_kernel_magsqIiLb1ELi1024ELi32ELb1E19rocblas_complex_numIfEPKS1_S1_EviT5_lT_liPT6_PT4_
    .private_segment_fixed_size: 0
    .sgpr_count:     24
    .sgpr_spill_count: 0
    .symbol:         _ZL24rocblas_dot_kernel_magsqIiLb1ELi1024ELi32ELb1E19rocblas_complex_numIfEPKS1_S1_EviT5_lT_liPT6_PT4_.kd
    .uniform_work_group_size: 1
    .uses_dynamic_stack: false
    .vgpr_count:     12
    .vgpr_spill_count: 0
    .wavefront_size: 64
  - .args:
      - .offset:         0
        .size:           4
        .value_kind:     by_value
      - .actual_access:  read_only
        .address_space:  global
        .offset:         8
        .size:           8
        .value_kind:     global_buffer
      - .offset:         16
        .size:           8
        .value_kind:     by_value
      - .offset:         24
        .size:           8
        .value_kind:     by_value
      - .actual_access:  read_only
        .address_space:  global
        .offset:         32
        .size:           8
        .value_kind:     global_buffer
      - .offset:         40
        .size:           8
        .value_kind:     by_value
      - .offset:         48
        .size:           8
        .value_kind:     by_value
      - .offset:         56
        .size:           4
        .value_kind:     by_value
      - .actual_access:  write_only
        .address_space:  global
        .offset:         64
        .size:           8
        .value_kind:     global_buffer
      - .actual_access:  write_only
        .address_space:  global
        .offset:         72
        .size:           8
        .value_kind:     global_buffer
      - .offset:         80
        .size:           4
        .value_kind:     hidden_block_count_x
      - .offset:         84
        .size:           4
        .value_kind:     hidden_block_count_y
      - .offset:         88
        .size:           4
        .value_kind:     hidden_block_count_z
      - .offset:         92
        .size:           2
        .value_kind:     hidden_group_size_x
      - .offset:         94
        .size:           2
        .value_kind:     hidden_group_size_y
      - .offset:         96
        .size:           2
        .value_kind:     hidden_group_size_z
      - .offset:         98
        .size:           2
        .value_kind:     hidden_remainder_x
      - .offset:         100
        .size:           2
        .value_kind:     hidden_remainder_y
      - .offset:         102
        .size:           2
        .value_kind:     hidden_remainder_z
      - .offset:         120
        .size:           8
        .value_kind:     hidden_global_offset_x
      - .offset:         128
        .size:           8
        .value_kind:     hidden_global_offset_y
      - .offset:         136
        .size:           8
        .value_kind:     hidden_global_offset_z
      - .offset:         144
        .size:           2
        .value_kind:     hidden_grid_dims
    .group_segment_fixed_size: 512
    .kernarg_segment_align: 8
    .kernarg_segment_size: 336
    .language:       OpenCL C
    .language_version:
      - 2
      - 0
    .max_flat_workgroup_size: 512
    .name:           _ZL23rocblas_dot_kernel_inc1ILb0ELi512ELi2ELb1E19rocblas_complex_numIfEPKS1_S1_EviT4_llS4_lliPT5_PT3_
    .private_segment_fixed_size: 0
    .sgpr_count:     26
    .sgpr_spill_count: 0
    .symbol:         _ZL23rocblas_dot_kernel_inc1ILb0ELi512ELi2ELb1E19rocblas_complex_numIfEPKS1_S1_EviT4_llS4_lliPT5_PT3_.kd
    .uniform_work_group_size: 1
    .uses_dynamic_stack: false
    .vgpr_count:     11
    .vgpr_spill_count: 0
    .wavefront_size: 64
  - .args:
      - .offset:         0
        .size:           4
        .value_kind:     by_value
      - .actual_access:  read_only
        .address_space:  global
        .offset:         8
        .size:           8
        .value_kind:     global_buffer
      - .offset:         16
        .size:           8
        .value_kind:     by_value
      - .offset:         24
        .size:           4
        .value_kind:     by_value
      - .offset:         32
        .size:           8
        .value_kind:     by_value
      - .actual_access:  read_only
        .address_space:  global
        .offset:         40
        .size:           8
        .value_kind:     global_buffer
      - .offset:         48
        .size:           8
        .value_kind:     by_value
      - .offset:         56
        .size:           4
        .value_kind:     by_value
      - .offset:         64
        .size:           8
        .value_kind:     by_value
      - .offset:         72
        .size:           4
        .value_kind:     by_value
      - .actual_access:  write_only
        .address_space:  global
        .offset:         80
        .size:           8
        .value_kind:     global_buffer
      - .actual_access:  write_only
        .address_space:  global
        .offset:         88
        .size:           8
        .value_kind:     global_buffer
      - .offset:         96
        .size:           4
        .value_kind:     hidden_block_count_x
      - .offset:         100
        .size:           4
        .value_kind:     hidden_block_count_y
      - .offset:         104
        .size:           4
        .value_kind:     hidden_block_count_z
      - .offset:         108
        .size:           2
        .value_kind:     hidden_group_size_x
      - .offset:         110
        .size:           2
        .value_kind:     hidden_group_size_y
      - .offset:         112
        .size:           2
        .value_kind:     hidden_group_size_z
      - .offset:         114
        .size:           2
        .value_kind:     hidden_remainder_x
      - .offset:         116
        .size:           2
        .value_kind:     hidden_remainder_y
      - .offset:         118
        .size:           2
        .value_kind:     hidden_remainder_z
      - .offset:         136
        .size:           8
        .value_kind:     hidden_global_offset_x
      - .offset:         144
        .size:           8
        .value_kind:     hidden_global_offset_y
      - .offset:         152
        .size:           8
        .value_kind:     hidden_global_offset_z
      - .offset:         160
        .size:           2
        .value_kind:     hidden_grid_dims
    .group_segment_fixed_size: 512
    .kernarg_segment_align: 8
    .kernarg_segment_size: 352
    .language:       OpenCL C
    .language_version:
      - 2
      - 0
    .max_flat_workgroup_size: 512
    .name:           _ZL18rocblas_dot_kernelIiLb0ELi512ELi2ELb1E19rocblas_complex_numIfEPKS1_S1_EviT5_lT_lS4_lS5_liPT6_PT4_
    .private_segment_fixed_size: 0
    .sgpr_count:     30
    .sgpr_spill_count: 0
    .symbol:         _ZL18rocblas_dot_kernelIiLb0ELi512ELi2ELb1E19rocblas_complex_numIfEPKS1_S1_EviT5_lT_lS4_lS5_liPT6_PT4_.kd
    .uniform_work_group_size: 1
    .uses_dynamic_stack: false
    .vgpr_count:     11
    .vgpr_spill_count: 0
    .wavefront_size: 64
  - .args:
      - .offset:         0
        .size:           4
        .value_kind:     by_value
      - .actual_access:  read_only
        .address_space:  global
        .offset:         8
        .size:           8
        .value_kind:     global_buffer
      - .offset:         16
        .size:           8
        .value_kind:     by_value
      - .offset:         24
        .size:           4
        .value_kind:     by_value
      - .offset:         32
        .size:           8
        .value_kind:     by_value
      - .offset:         40
        .size:           4
        .value_kind:     by_value
      - .actual_access:  write_only
        .address_space:  global
        .offset:         48
        .size:           8
        .value_kind:     global_buffer
      - .actual_access:  write_only
        .address_space:  global
        .offset:         56
        .size:           8
        .value_kind:     global_buffer
      - .offset:         64
        .size:           4
        .value_kind:     hidden_block_count_x
      - .offset:         68
        .size:           4
        .value_kind:     hidden_block_count_y
      - .offset:         72
        .size:           4
        .value_kind:     hidden_block_count_z
      - .offset:         76
        .size:           2
        .value_kind:     hidden_group_size_x
      - .offset:         78
        .size:           2
        .value_kind:     hidden_group_size_y
      - .offset:         80
        .size:           2
        .value_kind:     hidden_group_size_z
      - .offset:         82
        .size:           2
        .value_kind:     hidden_remainder_x
      - .offset:         84
        .size:           2
        .value_kind:     hidden_remainder_y
      - .offset:         86
        .size:           2
        .value_kind:     hidden_remainder_z
      - .offset:         104
        .size:           8
        .value_kind:     hidden_global_offset_x
      - .offset:         112
        .size:           8
        .value_kind:     hidden_global_offset_y
      - .offset:         120
        .size:           8
        .value_kind:     hidden_global_offset_z
      - .offset:         128
        .size:           2
        .value_kind:     hidden_grid_dims
    .group_segment_fixed_size: 512
    .kernarg_segment_align: 8
    .kernarg_segment_size: 320
    .language:       OpenCL C
    .language_version:
      - 2
      - 0
    .max_flat_workgroup_size: 512
    .name:           _ZL24rocblas_dot_kernel_magsqIiLb0ELi512ELi2ELb1E19rocblas_complex_numIfEPKS1_S1_EviT5_lT_liPT6_PT4_
    .private_segment_fixed_size: 0
    .sgpr_count:     21
    .sgpr_spill_count: 0
    .symbol:         _ZL24rocblas_dot_kernel_magsqIiLb0ELi512ELi2ELb1E19rocblas_complex_numIfEPKS1_S1_EviT5_lT_liPT6_PT4_.kd
    .uniform_work_group_size: 1
    .uses_dynamic_stack: false
    .vgpr_count:     11
    .vgpr_spill_count: 0
    .wavefront_size: 64
  - .args:
      - .offset:         0
        .size:           4
        .value_kind:     by_value
      - .actual_access:  read_only
        .address_space:  global
        .offset:         8
        .size:           8
        .value_kind:     global_buffer
      - .offset:         16
        .size:           8
        .value_kind:     by_value
      - .offset:         24
        .size:           4
        .value_kind:     by_value
      - .offset:         32
        .size:           8
        .value_kind:     by_value
      - .actual_access:  read_only
        .address_space:  global
        .offset:         40
        .size:           8
        .value_kind:     global_buffer
      - .offset:         48
        .size:           8
        .value_kind:     by_value
      - .offset:         56
        .size:           4
        .value_kind:     by_value
      - .offset:         64
        .size:           8
        .value_kind:     by_value
      - .offset:         72
        .size:           4
        .value_kind:     by_value
      - .actual_access:  write_only
        .address_space:  global
        .offset:         80
        .size:           8
        .value_kind:     global_buffer
    .group_segment_fixed_size: 0
    .kernarg_segment_align: 8
    .kernarg_segment_size: 88
    .language:       OpenCL C
    .language_version:
      - 2
      - 0
    .max_flat_workgroup_size: 128
    .name:           _ZL28rocblas_dot_batched_4_kernelIiLi32ELi4ELb1E19rocblas_complex_numIdES1_PKS1_EviT5_lT_lS4_lS5_liPT4_
    .private_segment_fixed_size: 0
    .sgpr_count:     28
    .sgpr_spill_count: 0
    .symbol:         _ZL28rocblas_dot_batched_4_kernelIiLi32ELi4ELb1E19rocblas_complex_numIdES1_PKS1_EviT5_lT_lS4_lS5_liPT4_.kd
    .uniform_work_group_size: 1
    .uses_dynamic_stack: false
    .vgpr_count:     22
    .vgpr_spill_count: 0
    .wavefront_size: 64
  - .args:
      - .offset:         0
        .size:           4
        .value_kind:     by_value
      - .actual_access:  read_only
        .address_space:  global
        .offset:         8
        .size:           8
        .value_kind:     global_buffer
      - .offset:         16
        .size:           8
        .value_kind:     by_value
      - .offset:         24
        .size:           4
        .value_kind:     by_value
      - .offset:         32
        .size:           8
        .value_kind:     by_value
      - .actual_access:  read_only
        .address_space:  global
        .offset:         40
        .size:           8
        .value_kind:     global_buffer
      - .offset:         48
        .size:           8
        .value_kind:     by_value
      - .offset:         56
        .size:           4
        .value_kind:     by_value
      - .offset:         64
        .size:           8
        .value_kind:     by_value
      - .offset:         72
        .size:           4
        .value_kind:     by_value
      - .actual_access:  write_only
        .address_space:  global
        .offset:         80
        .size:           8
        .value_kind:     global_buffer
    .group_segment_fixed_size: 0
    .kernarg_segment_align: 8
    .kernarg_segment_size: 88
    .language:       OpenCL C
    .language_version:
      - 2
      - 0
    .max_flat_workgroup_size: 256
    .name:           _ZL28rocblas_dot_batched_4_kernelIiLi64ELi4ELb1E19rocblas_complex_numIdES1_PKS1_EviT5_lT_lS4_lS5_liPT4_
    .private_segment_fixed_size: 0
    .sgpr_count:     28
    .sgpr_spill_count: 0
    .symbol:         _ZL28rocblas_dot_batched_4_kernelIiLi64ELi4ELb1E19rocblas_complex_numIdES1_PKS1_EviT5_lT_lS4_lS5_liPT4_.kd
    .uniform_work_group_size: 1
    .uses_dynamic_stack: false
    .vgpr_count:     22
    .vgpr_spill_count: 0
    .wavefront_size: 64
  - .args:
      - .offset:         0
        .size:           4
        .value_kind:     by_value
      - .actual_access:  read_only
        .address_space:  global
        .offset:         8
        .size:           8
        .value_kind:     global_buffer
      - .offset:         16
        .size:           8
        .value_kind:     by_value
      - .offset:         24
        .size:           8
        .value_kind:     by_value
      - .actual_access:  read_only
        .address_space:  global
        .offset:         32
        .size:           8
        .value_kind:     global_buffer
      - .offset:         40
        .size:           8
        .value_kind:     by_value
      - .offset:         48
        .size:           8
        .value_kind:     by_value
      - .offset:         56
        .size:           4
        .value_kind:     by_value
      - .actual_access:  read_only
        .address_space:  global
        .offset:         64
        .size:           8
        .value_kind:     global_buffer
      - .actual_access:  write_only
        .address_space:  global
        .offset:         72
        .size:           8
        .value_kind:     global_buffer
    .group_segment_fixed_size: 1024
    .kernarg_segment_align: 8
    .kernarg_segment_size: 80
    .language:       OpenCL C
    .language_version:
      - 2
      - 0
    .max_flat_workgroup_size: 1024
    .name:           _ZL26rocblas_dot_kernel_inc1by2ILb1ELi1024ELi32ELb1E19rocblas_complex_numIdEPKS1_S1_EviT4_llS4_lliPT5_PT3_
    .private_segment_fixed_size: 0
    .sgpr_count:     26
    .sgpr_spill_count: 0
    .symbol:         _ZL26rocblas_dot_kernel_inc1by2ILb1ELi1024ELi32ELb1E19rocblas_complex_numIdEPKS1_S1_EviT4_llS4_lliPT5_PT3_.kd
    .uniform_work_group_size: 1
    .uses_dynamic_stack: false
    .vgpr_count:     20
    .vgpr_spill_count: 0
    .wavefront_size: 64
  - .args:
      - .offset:         0
        .size:           4
        .value_kind:     by_value
      - .actual_access:  read_only
        .address_space:  global
        .offset:         8
        .size:           8
        .value_kind:     global_buffer
      - .offset:         16
        .size:           8
        .value_kind:     by_value
      - .offset:         24
        .size:           4
        .value_kind:     by_value
      - .offset:         32
        .size:           8
        .value_kind:     by_value
      - .actual_access:  read_only
        .address_space:  global
        .offset:         40
        .size:           8
        .value_kind:     global_buffer
      - .offset:         48
        .size:           8
        .value_kind:     by_value
      - .offset:         56
        .size:           4
        .value_kind:     by_value
      - .offset:         64
        .size:           8
        .value_kind:     by_value
      - .offset:         72
        .size:           4
        .value_kind:     by_value
      - .actual_access:  read_only
        .address_space:  global
        .offset:         80
        .size:           8
        .value_kind:     global_buffer
      - .actual_access:  write_only
        .address_space:  global
        .offset:         88
        .size:           8
        .value_kind:     global_buffer
      - .offset:         96
        .size:           4
        .value_kind:     hidden_block_count_x
      - .offset:         100
        .size:           4
        .value_kind:     hidden_block_count_y
      - .offset:         104
        .size:           4
        .value_kind:     hidden_block_count_z
      - .offset:         108
        .size:           2
        .value_kind:     hidden_group_size_x
      - .offset:         110
        .size:           2
        .value_kind:     hidden_group_size_y
      - .offset:         112
        .size:           2
        .value_kind:     hidden_group_size_z
      - .offset:         114
        .size:           2
        .value_kind:     hidden_remainder_x
      - .offset:         116
        .size:           2
        .value_kind:     hidden_remainder_y
      - .offset:         118
        .size:           2
        .value_kind:     hidden_remainder_z
      - .offset:         136
        .size:           8
        .value_kind:     hidden_global_offset_x
      - .offset:         144
        .size:           8
        .value_kind:     hidden_global_offset_y
      - .offset:         152
        .size:           8
        .value_kind:     hidden_global_offset_z
      - .offset:         160
        .size:           2
        .value_kind:     hidden_grid_dims
    .group_segment_fixed_size: 1024
    .kernarg_segment_align: 8
    .kernarg_segment_size: 352
    .language:       OpenCL C
    .language_version:
      - 2
      - 0
    .max_flat_workgroup_size: 1024
    .name:           _ZL18rocblas_dot_kernelIiLb1ELi1024ELi32ELb1E19rocblas_complex_numIdEPKS1_S1_EviT5_lT_lS4_lS5_liPT6_PT4_
    .private_segment_fixed_size: 0
    .sgpr_count:     29
    .sgpr_spill_count: 0
    .symbol:         _ZL18rocblas_dot_kernelIiLb1ELi1024ELi32ELb1E19rocblas_complex_numIdEPKS1_S1_EviT5_lT_lS4_lS5_liPT6_PT4_.kd
    .uniform_work_group_size: 1
    .uses_dynamic_stack: false
    .vgpr_count:     22
    .vgpr_spill_count: 0
    .wavefront_size: 64
  - .args:
      - .offset:         0
        .size:           4
        .value_kind:     by_value
      - .actual_access:  read_only
        .address_space:  global
        .offset:         8
        .size:           8
        .value_kind:     global_buffer
      - .offset:         16
        .size:           8
        .value_kind:     by_value
      - .offset:         24
        .size:           4
        .value_kind:     by_value
      - .offset:         32
        .size:           8
        .value_kind:     by_value
      - .offset:         40
        .size:           4
        .value_kind:     by_value
      - .actual_access:  read_only
        .address_space:  global
        .offset:         48
        .size:           8
        .value_kind:     global_buffer
      - .actual_access:  write_only
        .address_space:  global
        .offset:         56
        .size:           8
        .value_kind:     global_buffer
      - .offset:         64
        .size:           4
        .value_kind:     hidden_block_count_x
      - .offset:         68
        .size:           4
        .value_kind:     hidden_block_count_y
      - .offset:         72
        .size:           4
        .value_kind:     hidden_block_count_z
      - .offset:         76
        .size:           2
        .value_kind:     hidden_group_size_x
      - .offset:         78
        .size:           2
        .value_kind:     hidden_group_size_y
      - .offset:         80
        .size:           2
        .value_kind:     hidden_group_size_z
      - .offset:         82
        .size:           2
        .value_kind:     hidden_remainder_x
      - .offset:         84
        .size:           2
        .value_kind:     hidden_remainder_y
      - .offset:         86
        .size:           2
        .value_kind:     hidden_remainder_z
      - .offset:         104
        .size:           8
        .value_kind:     hidden_global_offset_x
      - .offset:         112
        .size:           8
        .value_kind:     hidden_global_offset_y
      - .offset:         120
        .size:           8
        .value_kind:     hidden_global_offset_z
      - .offset:         128
        .size:           2
        .value_kind:     hidden_grid_dims
    .group_segment_fixed_size: 1024
    .kernarg_segment_align: 8
    .kernarg_segment_size: 320
    .language:       OpenCL C
    .language_version:
      - 2
      - 0
    .max_flat_workgroup_size: 1024
    .name:           _ZL24rocblas_dot_kernel_magsqIiLb1ELi1024ELi32ELb1E19rocblas_complex_numIdEPKS1_S1_EviT5_lT_liPT6_PT4_
    .private_segment_fixed_size: 0
    .sgpr_count:     24
    .sgpr_spill_count: 0
    .symbol:         _ZL24rocblas_dot_kernel_magsqIiLb1ELi1024ELi32ELb1E19rocblas_complex_numIdEPKS1_S1_EviT5_lT_liPT6_PT4_.kd
    .uniform_work_group_size: 1
    .uses_dynamic_stack: false
    .vgpr_count:     17
    .vgpr_spill_count: 0
    .wavefront_size: 64
  - .args:
      - .offset:         0
        .size:           4
        .value_kind:     by_value
      - .actual_access:  read_only
        .address_space:  global
        .offset:         8
        .size:           8
        .value_kind:     global_buffer
      - .offset:         16
        .size:           8
        .value_kind:     by_value
      - .offset:         24
        .size:           8
        .value_kind:     by_value
      - .actual_access:  read_only
        .address_space:  global
        .offset:         32
        .size:           8
        .value_kind:     global_buffer
      - .offset:         40
        .size:           8
        .value_kind:     by_value
      - .offset:         48
        .size:           8
        .value_kind:     by_value
      - .offset:         56
        .size:           4
        .value_kind:     by_value
      - .actual_access:  write_only
        .address_space:  global
        .offset:         64
        .size:           8
        .value_kind:     global_buffer
      - .actual_access:  write_only
        .address_space:  global
        .offset:         72
        .size:           8
        .value_kind:     global_buffer
      - .offset:         80
        .size:           4
        .value_kind:     hidden_block_count_x
      - .offset:         84
        .size:           4
        .value_kind:     hidden_block_count_y
      - .offset:         88
        .size:           4
        .value_kind:     hidden_block_count_z
      - .offset:         92
        .size:           2
        .value_kind:     hidden_group_size_x
      - .offset:         94
        .size:           2
        .value_kind:     hidden_group_size_y
      - .offset:         96
        .size:           2
        .value_kind:     hidden_group_size_z
      - .offset:         98
        .size:           2
        .value_kind:     hidden_remainder_x
      - .offset:         100
        .size:           2
        .value_kind:     hidden_remainder_y
      - .offset:         102
        .size:           2
        .value_kind:     hidden_remainder_z
      - .offset:         120
        .size:           8
        .value_kind:     hidden_global_offset_x
      - .offset:         128
        .size:           8
        .value_kind:     hidden_global_offset_y
      - .offset:         136
        .size:           8
        .value_kind:     hidden_global_offset_z
      - .offset:         144
        .size:           2
        .value_kind:     hidden_grid_dims
    .group_segment_fixed_size: 1024
    .kernarg_segment_align: 8
    .kernarg_segment_size: 336
    .language:       OpenCL C
    .language_version:
      - 2
      - 0
    .max_flat_workgroup_size: 512
    .name:           _ZL23rocblas_dot_kernel_inc1ILb0ELi512ELi2ELb1E19rocblas_complex_numIdEPKS1_S1_EviT4_llS4_lliPT5_PT3_
    .private_segment_fixed_size: 0
    .sgpr_count:     26
    .sgpr_spill_count: 0
    .symbol:         _ZL23rocblas_dot_kernel_inc1ILb0ELi512ELi2ELb1E19rocblas_complex_numIdEPKS1_S1_EviT4_llS4_lliPT5_PT3_.kd
    .uniform_work_group_size: 1
    .uses_dynamic_stack: false
    .vgpr_count:     15
    .vgpr_spill_count: 0
    .wavefront_size: 64
  - .args:
      - .offset:         0
        .size:           4
        .value_kind:     by_value
      - .actual_access:  read_only
        .address_space:  global
        .offset:         8
        .size:           8
        .value_kind:     global_buffer
      - .offset:         16
        .size:           8
        .value_kind:     by_value
      - .offset:         24
        .size:           4
        .value_kind:     by_value
      - .offset:         32
        .size:           8
        .value_kind:     by_value
      - .actual_access:  read_only
        .address_space:  global
        .offset:         40
        .size:           8
        .value_kind:     global_buffer
      - .offset:         48
        .size:           8
        .value_kind:     by_value
      - .offset:         56
        .size:           4
        .value_kind:     by_value
      - .offset:         64
        .size:           8
        .value_kind:     by_value
      - .offset:         72
        .size:           4
        .value_kind:     by_value
      - .actual_access:  write_only
        .address_space:  global
        .offset:         80
        .size:           8
        .value_kind:     global_buffer
      - .actual_access:  write_only
        .address_space:  global
        .offset:         88
        .size:           8
        .value_kind:     global_buffer
      - .offset:         96
        .size:           4
        .value_kind:     hidden_block_count_x
      - .offset:         100
        .size:           4
        .value_kind:     hidden_block_count_y
      - .offset:         104
        .size:           4
        .value_kind:     hidden_block_count_z
      - .offset:         108
        .size:           2
        .value_kind:     hidden_group_size_x
      - .offset:         110
        .size:           2
        .value_kind:     hidden_group_size_y
      - .offset:         112
        .size:           2
        .value_kind:     hidden_group_size_z
      - .offset:         114
        .size:           2
        .value_kind:     hidden_remainder_x
      - .offset:         116
        .size:           2
        .value_kind:     hidden_remainder_y
      - .offset:         118
        .size:           2
        .value_kind:     hidden_remainder_z
      - .offset:         136
        .size:           8
        .value_kind:     hidden_global_offset_x
      - .offset:         144
        .size:           8
        .value_kind:     hidden_global_offset_y
      - .offset:         152
        .size:           8
        .value_kind:     hidden_global_offset_z
      - .offset:         160
        .size:           2
        .value_kind:     hidden_grid_dims
    .group_segment_fixed_size: 1024
    .kernarg_segment_align: 8
    .kernarg_segment_size: 352
    .language:       OpenCL C
    .language_version:
      - 2
      - 0
    .max_flat_workgroup_size: 512
    .name:           _ZL18rocblas_dot_kernelIiLb0ELi512ELi2ELb1E19rocblas_complex_numIdEPKS1_S1_EviT5_lT_lS4_lS5_liPT6_PT4_
    .private_segment_fixed_size: 0
    .sgpr_count:     30
    .sgpr_spill_count: 0
    .symbol:         _ZL18rocblas_dot_kernelIiLb0ELi512ELi2ELb1E19rocblas_complex_numIdEPKS1_S1_EviT5_lT_lS4_lS5_liPT6_PT4_.kd
    .uniform_work_group_size: 1
    .uses_dynamic_stack: false
    .vgpr_count:     15
    .vgpr_spill_count: 0
    .wavefront_size: 64
  - .args:
      - .offset:         0
        .size:           4
        .value_kind:     by_value
      - .actual_access:  read_only
        .address_space:  global
        .offset:         8
        .size:           8
        .value_kind:     global_buffer
      - .offset:         16
        .size:           8
        .value_kind:     by_value
      - .offset:         24
        .size:           4
        .value_kind:     by_value
      - .offset:         32
        .size:           8
        .value_kind:     by_value
      - .offset:         40
        .size:           4
        .value_kind:     by_value
      - .actual_access:  write_only
        .address_space:  global
        .offset:         48
        .size:           8
        .value_kind:     global_buffer
      - .actual_access:  write_only
        .address_space:  global
        .offset:         56
        .size:           8
        .value_kind:     global_buffer
      - .offset:         64
        .size:           4
        .value_kind:     hidden_block_count_x
      - .offset:         68
        .size:           4
        .value_kind:     hidden_block_count_y
      - .offset:         72
        .size:           4
        .value_kind:     hidden_block_count_z
      - .offset:         76
        .size:           2
        .value_kind:     hidden_group_size_x
      - .offset:         78
        .size:           2
        .value_kind:     hidden_group_size_y
      - .offset:         80
        .size:           2
        .value_kind:     hidden_group_size_z
      - .offset:         82
        .size:           2
        .value_kind:     hidden_remainder_x
      - .offset:         84
        .size:           2
        .value_kind:     hidden_remainder_y
      - .offset:         86
        .size:           2
        .value_kind:     hidden_remainder_z
      - .offset:         104
        .size:           8
        .value_kind:     hidden_global_offset_x
      - .offset:         112
        .size:           8
        .value_kind:     hidden_global_offset_y
      - .offset:         120
        .size:           8
        .value_kind:     hidden_global_offset_z
      - .offset:         128
        .size:           2
        .value_kind:     hidden_grid_dims
    .group_segment_fixed_size: 1024
    .kernarg_segment_align: 8
    .kernarg_segment_size: 320
    .language:       OpenCL C
    .language_version:
      - 2
      - 0
    .max_flat_workgroup_size: 512
    .name:           _ZL24rocblas_dot_kernel_magsqIiLb0ELi512ELi2ELb1E19rocblas_complex_numIdEPKS1_S1_EviT5_lT_liPT6_PT4_
    .private_segment_fixed_size: 0
    .sgpr_count:     21
    .sgpr_spill_count: 0
    .symbol:         _ZL24rocblas_dot_kernel_magsqIiLb0ELi512ELi2ELb1E19rocblas_complex_numIdEPKS1_S1_EviT5_lT_liPT6_PT4_.kd
    .uniform_work_group_size: 1
    .uses_dynamic_stack: false
    .vgpr_count:     15
    .vgpr_spill_count: 0
    .wavefront_size: 64
  - .args:
      - .offset:         0
        .size:           4
        .value_kind:     by_value
      - .actual_access:  read_only
        .address_space:  global
        .offset:         8
        .size:           8
        .value_kind:     global_buffer
      - .offset:         16
        .size:           8
        .value_kind:     by_value
      - .offset:         24
        .size:           4
        .value_kind:     by_value
      - .offset:         32
        .size:           8
        .value_kind:     by_value
      - .actual_access:  read_only
        .address_space:  global
        .offset:         40
        .size:           8
        .value_kind:     global_buffer
      - .offset:         48
        .size:           8
        .value_kind:     by_value
      - .offset:         56
        .size:           4
        .value_kind:     by_value
      - .offset:         64
        .size:           8
        .value_kind:     by_value
      - .offset:         72
        .size:           4
        .value_kind:     by_value
      - .actual_access:  write_only
        .address_space:  global
        .offset:         80
        .size:           8
        .value_kind:     global_buffer
    .group_segment_fixed_size: 0
    .kernarg_segment_align: 8
    .kernarg_segment_size: 88
    .language:       OpenCL C
    .language_version:
      - 2
      - 0
    .max_flat_workgroup_size: 128
    .name:           _ZL28rocblas_dot_batched_4_kernelIiLi32ELi4ELb0EDF16_DF16_PKPKDF16_EviT5_lT_lS4_lS5_liPT4_
    .private_segment_fixed_size: 0
    .sgpr_count:     22
    .sgpr_spill_count: 0
    .symbol:         _ZL28rocblas_dot_batched_4_kernelIiLi32ELi4ELb0EDF16_DF16_PKPKDF16_EviT5_lT_lS4_lS5_liPT4_.kd
    .uniform_work_group_size: 1
    .uses_dynamic_stack: false
    .vgpr_count:     16
    .vgpr_spill_count: 0
    .wavefront_size: 64
  - .args:
      - .offset:         0
        .size:           4
        .value_kind:     by_value
      - .actual_access:  read_only
        .address_space:  global
        .offset:         8
        .size:           8
        .value_kind:     global_buffer
      - .offset:         16
        .size:           8
        .value_kind:     by_value
      - .offset:         24
        .size:           4
        .value_kind:     by_value
      - .offset:         32
        .size:           8
        .value_kind:     by_value
      - .actual_access:  read_only
        .address_space:  global
        .offset:         40
        .size:           8
        .value_kind:     global_buffer
      - .offset:         48
        .size:           8
        .value_kind:     by_value
      - .offset:         56
        .size:           4
        .value_kind:     by_value
      - .offset:         64
        .size:           8
        .value_kind:     by_value
      - .offset:         72
        .size:           4
        .value_kind:     by_value
      - .actual_access:  write_only
        .address_space:  global
        .offset:         80
        .size:           8
        .value_kind:     global_buffer
    .group_segment_fixed_size: 0
    .kernarg_segment_align: 8
    .kernarg_segment_size: 88
    .language:       OpenCL C
    .language_version:
      - 2
      - 0
    .max_flat_workgroup_size: 256
    .name:           _ZL28rocblas_dot_batched_4_kernelIiLi64ELi4ELb0EDF16_DF16_PKPKDF16_EviT5_lT_lS4_lS5_liPT4_
    .private_segment_fixed_size: 0
    .sgpr_count:     24
    .sgpr_spill_count: 0
    .symbol:         _ZL28rocblas_dot_batched_4_kernelIiLi64ELi4ELb0EDF16_DF16_PKPKDF16_EviT5_lT_lS4_lS5_liPT4_.kd
    .uniform_work_group_size: 1
    .uses_dynamic_stack: false
    .vgpr_count:     14
    .vgpr_spill_count: 0
    .wavefront_size: 64
  - .args:
      - .offset:         0
        .size:           4
        .value_kind:     by_value
      - .actual_access:  read_only
        .address_space:  global
        .offset:         8
        .size:           8
        .value_kind:     global_buffer
      - .offset:         16
        .size:           8
        .value_kind:     by_value
      - .offset:         24
        .size:           8
        .value_kind:     by_value
      - .actual_access:  read_only
        .address_space:  global
        .offset:         32
        .size:           8
        .value_kind:     global_buffer
      - .offset:         40
        .size:           8
        .value_kind:     by_value
      - .offset:         48
        .size:           8
        .value_kind:     by_value
      - .offset:         56
        .size:           4
        .value_kind:     by_value
      - .actual_access:  read_only
        .address_space:  global
        .offset:         64
        .size:           8
        .value_kind:     global_buffer
      - .actual_access:  write_only
        .address_space:  global
        .offset:         72
        .size:           8
        .value_kind:     global_buffer
    .group_segment_fixed_size: 128
    .kernarg_segment_align: 8
    .kernarg_segment_size: 80
    .language:       OpenCL C
    .language_version:
      - 2
      - 0
    .max_flat_workgroup_size: 1024
    .name:           _ZL26rocblas_dot_kernel_inc1by2ILb1ELi1024ELi32ELb0EDF16_PKPKDF16_DF16_EviT4_llS4_lliPT5_PT3_
    .private_segment_fixed_size: 0
    .sgpr_count:     28
    .sgpr_spill_count: 0
    .symbol:         _ZL26rocblas_dot_kernel_inc1by2ILb1ELi1024ELi32ELb0EDF16_PKPKDF16_DF16_EviT4_llS4_lliPT5_PT3_.kd
    .uniform_work_group_size: 1
    .uses_dynamic_stack: false
    .vgpr_count:     10
    .vgpr_spill_count: 0
    .wavefront_size: 64
  - .args:
      - .offset:         0
        .size:           4
        .value_kind:     by_value
      - .actual_access:  read_only
        .address_space:  global
        .offset:         8
        .size:           8
        .value_kind:     global_buffer
      - .offset:         16
        .size:           8
        .value_kind:     by_value
      - .offset:         24
        .size:           4
        .value_kind:     by_value
      - .offset:         32
        .size:           8
        .value_kind:     by_value
      - .actual_access:  read_only
        .address_space:  global
        .offset:         40
        .size:           8
        .value_kind:     global_buffer
      - .offset:         48
        .size:           8
        .value_kind:     by_value
      - .offset:         56
        .size:           4
        .value_kind:     by_value
      - .offset:         64
        .size:           8
        .value_kind:     by_value
      - .offset:         72
        .size:           4
        .value_kind:     by_value
      - .actual_access:  read_only
        .address_space:  global
        .offset:         80
        .size:           8
        .value_kind:     global_buffer
      - .actual_access:  write_only
        .address_space:  global
        .offset:         88
        .size:           8
        .value_kind:     global_buffer
      - .offset:         96
        .size:           4
        .value_kind:     hidden_block_count_x
      - .offset:         100
        .size:           4
        .value_kind:     hidden_block_count_y
      - .offset:         104
        .size:           4
        .value_kind:     hidden_block_count_z
      - .offset:         108
        .size:           2
        .value_kind:     hidden_group_size_x
      - .offset:         110
        .size:           2
        .value_kind:     hidden_group_size_y
      - .offset:         112
        .size:           2
        .value_kind:     hidden_group_size_z
      - .offset:         114
        .size:           2
        .value_kind:     hidden_remainder_x
      - .offset:         116
        .size:           2
        .value_kind:     hidden_remainder_y
      - .offset:         118
        .size:           2
        .value_kind:     hidden_remainder_z
      - .offset:         136
        .size:           8
        .value_kind:     hidden_global_offset_x
      - .offset:         144
        .size:           8
        .value_kind:     hidden_global_offset_y
      - .offset:         152
        .size:           8
        .value_kind:     hidden_global_offset_z
      - .offset:         160
        .size:           2
        .value_kind:     hidden_grid_dims
    .group_segment_fixed_size: 128
    .kernarg_segment_align: 8
    .kernarg_segment_size: 352
    .language:       OpenCL C
    .language_version:
      - 2
      - 0
    .max_flat_workgroup_size: 1024
    .name:           _ZL18rocblas_dot_kernelIiLb1ELi1024ELi32ELb0EDF16_PKPKDF16_DF16_EviT5_lT_lS4_lS5_liPT6_PT4_
    .private_segment_fixed_size: 0
    .sgpr_count:     28
    .sgpr_spill_count: 0
    .symbol:         _ZL18rocblas_dot_kernelIiLb1ELi1024ELi32ELb0EDF16_PKPKDF16_DF16_EviT5_lT_lS4_lS5_liPT6_PT4_.kd
    .uniform_work_group_size: 1
    .uses_dynamic_stack: false
    .vgpr_count:     11
    .vgpr_spill_count: 0
    .wavefront_size: 64
  - .args:
      - .offset:         0
        .size:           4
        .value_kind:     by_value
      - .actual_access:  read_only
        .address_space:  global
        .offset:         8
        .size:           8
        .value_kind:     global_buffer
      - .offset:         16
        .size:           8
        .value_kind:     by_value
      - .offset:         24
        .size:           4
        .value_kind:     by_value
      - .offset:         32
        .size:           8
        .value_kind:     by_value
      - .offset:         40
        .size:           4
        .value_kind:     by_value
      - .actual_access:  read_only
        .address_space:  global
        .offset:         48
        .size:           8
        .value_kind:     global_buffer
      - .actual_access:  write_only
        .address_space:  global
        .offset:         56
        .size:           8
        .value_kind:     global_buffer
      - .offset:         64
        .size:           4
        .value_kind:     hidden_block_count_x
      - .offset:         68
        .size:           4
        .value_kind:     hidden_block_count_y
      - .offset:         72
        .size:           4
        .value_kind:     hidden_block_count_z
      - .offset:         76
        .size:           2
        .value_kind:     hidden_group_size_x
      - .offset:         78
        .size:           2
        .value_kind:     hidden_group_size_y
      - .offset:         80
        .size:           2
        .value_kind:     hidden_group_size_z
      - .offset:         82
        .size:           2
        .value_kind:     hidden_remainder_x
      - .offset:         84
        .size:           2
        .value_kind:     hidden_remainder_y
      - .offset:         86
        .size:           2
        .value_kind:     hidden_remainder_z
      - .offset:         104
        .size:           8
        .value_kind:     hidden_global_offset_x
      - .offset:         112
        .size:           8
        .value_kind:     hidden_global_offset_y
      - .offset:         120
        .size:           8
        .value_kind:     hidden_global_offset_z
      - .offset:         128
        .size:           2
        .value_kind:     hidden_grid_dims
    .group_segment_fixed_size: 128
    .kernarg_segment_align: 8
    .kernarg_segment_size: 320
    .language:       OpenCL C
    .language_version:
      - 2
      - 0
    .max_flat_workgroup_size: 1024
    .name:           _ZL24rocblas_dot_kernel_magsqIiLb1ELi1024ELi32ELb0EDF16_PKPKDF16_DF16_EviT5_lT_liPT6_PT4_
    .private_segment_fixed_size: 0
    .sgpr_count:     24
    .sgpr_spill_count: 0
    .symbol:         _ZL24rocblas_dot_kernel_magsqIiLb1ELi1024ELi32ELb0EDF16_PKPKDF16_DF16_EviT5_lT_liPT6_PT4_.kd
    .uniform_work_group_size: 1
    .uses_dynamic_stack: false
    .vgpr_count:     10
    .vgpr_spill_count: 0
    .wavefront_size: 64
  - .args:
      - .offset:         0
        .size:           4
        .value_kind:     by_value
      - .actual_access:  read_only
        .address_space:  global
        .offset:         8
        .size:           8
        .value_kind:     global_buffer
      - .offset:         16
        .size:           8
        .value_kind:     by_value
      - .offset:         24
        .size:           8
        .value_kind:     by_value
      - .actual_access:  read_only
        .address_space:  global
        .offset:         32
        .size:           8
        .value_kind:     global_buffer
      - .offset:         40
        .size:           8
        .value_kind:     by_value
      - .offset:         48
        .size:           8
        .value_kind:     by_value
      - .offset:         56
        .size:           4
        .value_kind:     by_value
      - .actual_access:  write_only
        .address_space:  global
        .offset:         64
        .size:           8
        .value_kind:     global_buffer
      - .actual_access:  write_only
        .address_space:  global
        .offset:         72
        .size:           8
        .value_kind:     global_buffer
      - .offset:         80
        .size:           4
        .value_kind:     hidden_block_count_x
      - .offset:         84
        .size:           4
        .value_kind:     hidden_block_count_y
      - .offset:         88
        .size:           4
        .value_kind:     hidden_block_count_z
      - .offset:         92
        .size:           2
        .value_kind:     hidden_group_size_x
      - .offset:         94
        .size:           2
        .value_kind:     hidden_group_size_y
      - .offset:         96
        .size:           2
        .value_kind:     hidden_group_size_z
      - .offset:         98
        .size:           2
        .value_kind:     hidden_remainder_x
      - .offset:         100
        .size:           2
        .value_kind:     hidden_remainder_y
      - .offset:         102
        .size:           2
        .value_kind:     hidden_remainder_z
      - .offset:         120
        .size:           8
        .value_kind:     hidden_global_offset_x
      - .offset:         128
        .size:           8
        .value_kind:     hidden_global_offset_y
      - .offset:         136
        .size:           8
        .value_kind:     hidden_global_offset_z
      - .offset:         144
        .size:           2
        .value_kind:     hidden_grid_dims
    .group_segment_fixed_size: 128
    .kernarg_segment_align: 8
    .kernarg_segment_size: 336
    .language:       OpenCL C
    .language_version:
      - 2
      - 0
    .max_flat_workgroup_size: 512
    .name:           _ZL23rocblas_dot_kernel_inc1ILb0ELi512ELi8ELb0EDF16_PKPKDF16_DF16_EviT4_llS4_lliPT5_PT3_
    .private_segment_fixed_size: 0
    .sgpr_count:     32
    .sgpr_spill_count: 0
    .symbol:         _ZL23rocblas_dot_kernel_inc1ILb0ELi512ELi8ELb0EDF16_PKPKDF16_DF16_EviT4_llS4_lliPT5_PT3_.kd
    .uniform_work_group_size: 1
    .uses_dynamic_stack: false
    .vgpr_count:     14
    .vgpr_spill_count: 0
    .wavefront_size: 64
  - .args:
      - .offset:         0
        .size:           4
        .value_kind:     by_value
      - .actual_access:  read_only
        .address_space:  global
        .offset:         8
        .size:           8
        .value_kind:     global_buffer
      - .offset:         16
        .size:           8
        .value_kind:     by_value
      - .offset:         24
        .size:           4
        .value_kind:     by_value
      - .offset:         32
        .size:           8
        .value_kind:     by_value
      - .actual_access:  read_only
        .address_space:  global
        .offset:         40
        .size:           8
        .value_kind:     global_buffer
      - .offset:         48
        .size:           8
        .value_kind:     by_value
      - .offset:         56
        .size:           4
        .value_kind:     by_value
      - .offset:         64
        .size:           8
        .value_kind:     by_value
      - .offset:         72
        .size:           4
        .value_kind:     by_value
      - .actual_access:  write_only
        .address_space:  global
        .offset:         80
        .size:           8
        .value_kind:     global_buffer
      - .actual_access:  write_only
        .address_space:  global
        .offset:         88
        .size:           8
        .value_kind:     global_buffer
      - .offset:         96
        .size:           4
        .value_kind:     hidden_block_count_x
      - .offset:         100
        .size:           4
        .value_kind:     hidden_block_count_y
      - .offset:         104
        .size:           4
        .value_kind:     hidden_block_count_z
      - .offset:         108
        .size:           2
        .value_kind:     hidden_group_size_x
      - .offset:         110
        .size:           2
        .value_kind:     hidden_group_size_y
      - .offset:         112
        .size:           2
        .value_kind:     hidden_group_size_z
      - .offset:         114
        .size:           2
        .value_kind:     hidden_remainder_x
      - .offset:         116
        .size:           2
        .value_kind:     hidden_remainder_y
      - .offset:         118
        .size:           2
        .value_kind:     hidden_remainder_z
      - .offset:         136
        .size:           8
        .value_kind:     hidden_global_offset_x
      - .offset:         144
        .size:           8
        .value_kind:     hidden_global_offset_y
      - .offset:         152
        .size:           8
        .value_kind:     hidden_global_offset_z
      - .offset:         160
        .size:           2
        .value_kind:     hidden_grid_dims
    .group_segment_fixed_size: 128
    .kernarg_segment_align: 8
    .kernarg_segment_size: 352
    .language:       OpenCL C
    .language_version:
      - 2
      - 0
    .max_flat_workgroup_size: 512
    .name:           _ZL18rocblas_dot_kernelIiLb0ELi512ELi8ELb0EDF16_PKPKDF16_DF16_EviT5_lT_lS4_lS5_liPT6_PT4_
    .private_segment_fixed_size: 0
    .sgpr_count:     32
    .sgpr_spill_count: 0
    .symbol:         _ZL18rocblas_dot_kernelIiLb0ELi512ELi8ELb0EDF16_PKPKDF16_DF16_EviT5_lT_lS4_lS5_liPT6_PT4_.kd
    .uniform_work_group_size: 1
    .uses_dynamic_stack: false
    .vgpr_count:     11
    .vgpr_spill_count: 0
    .wavefront_size: 64
  - .args:
      - .offset:         0
        .size:           4
        .value_kind:     by_value
      - .actual_access:  read_only
        .address_space:  global
        .offset:         8
        .size:           8
        .value_kind:     global_buffer
      - .offset:         16
        .size:           8
        .value_kind:     by_value
      - .offset:         24
        .size:           4
        .value_kind:     by_value
      - .offset:         32
        .size:           8
        .value_kind:     by_value
      - .offset:         40
        .size:           4
        .value_kind:     by_value
      - .actual_access:  write_only
        .address_space:  global
        .offset:         48
        .size:           8
        .value_kind:     global_buffer
      - .actual_access:  write_only
        .address_space:  global
        .offset:         56
        .size:           8
        .value_kind:     global_buffer
      - .offset:         64
        .size:           4
        .value_kind:     hidden_block_count_x
      - .offset:         68
        .size:           4
        .value_kind:     hidden_block_count_y
      - .offset:         72
        .size:           4
        .value_kind:     hidden_block_count_z
      - .offset:         76
        .size:           2
        .value_kind:     hidden_group_size_x
      - .offset:         78
        .size:           2
        .value_kind:     hidden_group_size_y
      - .offset:         80
        .size:           2
        .value_kind:     hidden_group_size_z
      - .offset:         82
        .size:           2
        .value_kind:     hidden_remainder_x
      - .offset:         84
        .size:           2
        .value_kind:     hidden_remainder_y
      - .offset:         86
        .size:           2
        .value_kind:     hidden_remainder_z
      - .offset:         104
        .size:           8
        .value_kind:     hidden_global_offset_x
      - .offset:         112
        .size:           8
        .value_kind:     hidden_global_offset_y
      - .offset:         120
        .size:           8
        .value_kind:     hidden_global_offset_z
      - .offset:         128
        .size:           2
        .value_kind:     hidden_grid_dims
    .group_segment_fixed_size: 128
    .kernarg_segment_align: 8
    .kernarg_segment_size: 320
    .language:       OpenCL C
    .language_version:
      - 2
      - 0
    .max_flat_workgroup_size: 512
    .name:           _ZL24rocblas_dot_kernel_magsqIiLb0ELi512ELi8ELb0EDF16_PKPKDF16_DF16_EviT5_lT_liPT6_PT4_
    .private_segment_fixed_size: 0
    .sgpr_count:     28
    .sgpr_spill_count: 0
    .symbol:         _ZL24rocblas_dot_kernel_magsqIiLb0ELi512ELi8ELb0EDF16_PKPKDF16_DF16_EviT5_lT_liPT6_PT4_.kd
    .uniform_work_group_size: 1
    .uses_dynamic_stack: false
    .vgpr_count:     9
    .vgpr_spill_count: 0
    .wavefront_size: 64
  - .args:
      - .offset:         0
        .size:           4
        .value_kind:     by_value
      - .actual_access:  read_only
        .address_space:  global
        .offset:         8
        .size:           8
        .value_kind:     global_buffer
      - .offset:         16
        .size:           8
        .value_kind:     by_value
      - .offset:         24
        .size:           4
        .value_kind:     by_value
      - .offset:         32
        .size:           8
        .value_kind:     by_value
      - .actual_access:  read_only
        .address_space:  global
        .offset:         40
        .size:           8
        .value_kind:     global_buffer
      - .offset:         48
        .size:           8
        .value_kind:     by_value
      - .offset:         56
        .size:           4
        .value_kind:     by_value
      - .offset:         64
        .size:           8
        .value_kind:     by_value
      - .offset:         72
        .size:           4
        .value_kind:     by_value
      - .actual_access:  write_only
        .address_space:  global
        .offset:         80
        .size:           8
        .value_kind:     global_buffer
    .group_segment_fixed_size: 0
    .kernarg_segment_align: 8
    .kernarg_segment_size: 88
    .language:       OpenCL C
    .language_version:
      - 2
      - 0
    .max_flat_workgroup_size: 128
    .name:           _ZL28rocblas_dot_batched_4_kernelIiLi32ELi4ELb0Ef16rocblas_bfloat16PKPKS0_EviT5_lT_lS5_lS6_liPT4_
    .private_segment_fixed_size: 0
    .sgpr_count:     22
    .sgpr_spill_count: 0
    .symbol:         _ZL28rocblas_dot_batched_4_kernelIiLi32ELi4ELb0Ef16rocblas_bfloat16PKPKS0_EviT5_lT_lS5_lS6_liPT4_.kd
    .uniform_work_group_size: 1
    .uses_dynamic_stack: false
    .vgpr_count:     16
    .vgpr_spill_count: 0
    .wavefront_size: 64
  - .args:
      - .offset:         0
        .size:           4
        .value_kind:     by_value
      - .actual_access:  read_only
        .address_space:  global
        .offset:         8
        .size:           8
        .value_kind:     global_buffer
      - .offset:         16
        .size:           8
        .value_kind:     by_value
      - .offset:         24
        .size:           4
        .value_kind:     by_value
      - .offset:         32
        .size:           8
        .value_kind:     by_value
      - .actual_access:  read_only
        .address_space:  global
        .offset:         40
        .size:           8
        .value_kind:     global_buffer
      - .offset:         48
        .size:           8
        .value_kind:     by_value
      - .offset:         56
        .size:           4
        .value_kind:     by_value
      - .offset:         64
        .size:           8
        .value_kind:     by_value
      - .offset:         72
        .size:           4
        .value_kind:     by_value
      - .actual_access:  write_only
        .address_space:  global
        .offset:         80
        .size:           8
        .value_kind:     global_buffer
    .group_segment_fixed_size: 0
    .kernarg_segment_align: 8
    .kernarg_segment_size: 88
    .language:       OpenCL C
    .language_version:
      - 2
      - 0
    .max_flat_workgroup_size: 256
    .name:           _ZL28rocblas_dot_batched_4_kernelIiLi64ELi4ELb0Ef16rocblas_bfloat16PKPKS0_EviT5_lT_lS5_lS6_liPT4_
    .private_segment_fixed_size: 0
    .sgpr_count:     24
    .sgpr_spill_count: 0
    .symbol:         _ZL28rocblas_dot_batched_4_kernelIiLi64ELi4ELb0Ef16rocblas_bfloat16PKPKS0_EviT5_lT_lS5_lS6_liPT4_.kd
    .uniform_work_group_size: 1
    .uses_dynamic_stack: false
    .vgpr_count:     14
    .vgpr_spill_count: 0
    .wavefront_size: 64
  - .args:
      - .offset:         0
        .size:           4
        .value_kind:     by_value
      - .actual_access:  read_only
        .address_space:  global
        .offset:         8
        .size:           8
        .value_kind:     global_buffer
      - .offset:         16
        .size:           8
        .value_kind:     by_value
      - .offset:         24
        .size:           8
        .value_kind:     by_value
      - .actual_access:  read_only
        .address_space:  global
        .offset:         32
        .size:           8
        .value_kind:     global_buffer
      - .offset:         40
        .size:           8
        .value_kind:     by_value
      - .offset:         48
        .size:           8
        .value_kind:     by_value
      - .offset:         56
        .size:           4
        .value_kind:     by_value
      - .actual_access:  read_only
        .address_space:  global
        .offset:         64
        .size:           8
        .value_kind:     global_buffer
      - .actual_access:  write_only
        .address_space:  global
        .offset:         72
        .size:           8
        .value_kind:     global_buffer
    .group_segment_fixed_size: 256
    .kernarg_segment_align: 8
    .kernarg_segment_size: 80
    .language:       OpenCL C
    .language_version:
      - 2
      - 0
    .max_flat_workgroup_size: 1024
    .name:           _ZL26rocblas_dot_kernel_inc1by2ILb1ELi1024ELi32ELb0E16rocblas_bfloat16PKPKS0_fEviT4_llS5_lliPT5_PT3_
    .private_segment_fixed_size: 0
    .sgpr_count:     28
    .sgpr_spill_count: 0
    .symbol:         _ZL26rocblas_dot_kernel_inc1by2ILb1ELi1024ELi32ELb0E16rocblas_bfloat16PKPKS0_fEviT4_llS5_lliPT5_PT3_.kd
    .uniform_work_group_size: 1
    .uses_dynamic_stack: false
    .vgpr_count:     11
    .vgpr_spill_count: 0
    .wavefront_size: 64
  - .args:
      - .offset:         0
        .size:           4
        .value_kind:     by_value
      - .actual_access:  read_only
        .address_space:  global
        .offset:         8
        .size:           8
        .value_kind:     global_buffer
      - .offset:         16
        .size:           8
        .value_kind:     by_value
      - .offset:         24
        .size:           4
        .value_kind:     by_value
      - .offset:         32
        .size:           8
        .value_kind:     by_value
      - .actual_access:  read_only
        .address_space:  global
        .offset:         40
        .size:           8
        .value_kind:     global_buffer
      - .offset:         48
        .size:           8
        .value_kind:     by_value
      - .offset:         56
        .size:           4
        .value_kind:     by_value
      - .offset:         64
        .size:           8
        .value_kind:     by_value
      - .offset:         72
        .size:           4
        .value_kind:     by_value
      - .actual_access:  read_only
        .address_space:  global
        .offset:         80
        .size:           8
        .value_kind:     global_buffer
      - .actual_access:  write_only
        .address_space:  global
        .offset:         88
        .size:           8
        .value_kind:     global_buffer
      - .offset:         96
        .size:           4
        .value_kind:     hidden_block_count_x
      - .offset:         100
        .size:           4
        .value_kind:     hidden_block_count_y
      - .offset:         104
        .size:           4
        .value_kind:     hidden_block_count_z
      - .offset:         108
        .size:           2
        .value_kind:     hidden_group_size_x
      - .offset:         110
        .size:           2
        .value_kind:     hidden_group_size_y
      - .offset:         112
        .size:           2
        .value_kind:     hidden_group_size_z
      - .offset:         114
        .size:           2
        .value_kind:     hidden_remainder_x
      - .offset:         116
        .size:           2
        .value_kind:     hidden_remainder_y
      - .offset:         118
        .size:           2
        .value_kind:     hidden_remainder_z
      - .offset:         136
        .size:           8
        .value_kind:     hidden_global_offset_x
      - .offset:         144
        .size:           8
        .value_kind:     hidden_global_offset_y
      - .offset:         152
        .size:           8
        .value_kind:     hidden_global_offset_z
      - .offset:         160
        .size:           2
        .value_kind:     hidden_grid_dims
    .group_segment_fixed_size: 256
    .kernarg_segment_align: 8
    .kernarg_segment_size: 352
    .language:       OpenCL C
    .language_version:
      - 2
      - 0
    .max_flat_workgroup_size: 1024
    .name:           _ZL18rocblas_dot_kernelIiLb1ELi1024ELi32ELb0E16rocblas_bfloat16PKPKS0_fEviT5_lT_lS5_lS6_liPT6_PT4_
    .private_segment_fixed_size: 0
    .sgpr_count:     28
    .sgpr_spill_count: 0
    .symbol:         _ZL18rocblas_dot_kernelIiLb1ELi1024ELi32ELb0E16rocblas_bfloat16PKPKS0_fEviT5_lT_lS5_lS6_liPT6_PT4_.kd
    .uniform_work_group_size: 1
    .uses_dynamic_stack: false
    .vgpr_count:     11
    .vgpr_spill_count: 0
    .wavefront_size: 64
  - .args:
      - .offset:         0
        .size:           4
        .value_kind:     by_value
      - .actual_access:  read_only
        .address_space:  global
        .offset:         8
        .size:           8
        .value_kind:     global_buffer
      - .offset:         16
        .size:           8
        .value_kind:     by_value
      - .offset:         24
        .size:           4
        .value_kind:     by_value
      - .offset:         32
        .size:           8
        .value_kind:     by_value
      - .offset:         40
        .size:           4
        .value_kind:     by_value
      - .actual_access:  read_only
        .address_space:  global
        .offset:         48
        .size:           8
        .value_kind:     global_buffer
      - .actual_access:  write_only
        .address_space:  global
        .offset:         56
        .size:           8
        .value_kind:     global_buffer
      - .offset:         64
        .size:           4
        .value_kind:     hidden_block_count_x
      - .offset:         68
        .size:           4
        .value_kind:     hidden_block_count_y
      - .offset:         72
        .size:           4
        .value_kind:     hidden_block_count_z
      - .offset:         76
        .size:           2
        .value_kind:     hidden_group_size_x
      - .offset:         78
        .size:           2
        .value_kind:     hidden_group_size_y
      - .offset:         80
        .size:           2
        .value_kind:     hidden_group_size_z
      - .offset:         82
        .size:           2
        .value_kind:     hidden_remainder_x
      - .offset:         84
        .size:           2
        .value_kind:     hidden_remainder_y
      - .offset:         86
        .size:           2
        .value_kind:     hidden_remainder_z
      - .offset:         104
        .size:           8
        .value_kind:     hidden_global_offset_x
      - .offset:         112
        .size:           8
        .value_kind:     hidden_global_offset_y
      - .offset:         120
        .size:           8
        .value_kind:     hidden_global_offset_z
      - .offset:         128
        .size:           2
        .value_kind:     hidden_grid_dims
    .group_segment_fixed_size: 256
    .kernarg_segment_align: 8
    .kernarg_segment_size: 320
    .language:       OpenCL C
    .language_version:
      - 2
      - 0
    .max_flat_workgroup_size: 1024
    .name:           _ZL24rocblas_dot_kernel_magsqIiLb1ELi1024ELi32ELb0E16rocblas_bfloat16PKPKS0_fEviT5_lT_liPT6_PT4_
    .private_segment_fixed_size: 0
    .sgpr_count:     24
    .sgpr_spill_count: 0
    .symbol:         _ZL24rocblas_dot_kernel_magsqIiLb1ELi1024ELi32ELb0E16rocblas_bfloat16PKPKS0_fEviT5_lT_liPT6_PT4_.kd
    .uniform_work_group_size: 1
    .uses_dynamic_stack: false
    .vgpr_count:     10
    .vgpr_spill_count: 0
    .wavefront_size: 64
  - .args:
      - .offset:         0
        .size:           4
        .value_kind:     by_value
      - .actual_access:  read_only
        .address_space:  global
        .offset:         8
        .size:           8
        .value_kind:     global_buffer
      - .offset:         16
        .size:           8
        .value_kind:     by_value
      - .offset:         24
        .size:           8
        .value_kind:     by_value
      - .actual_access:  read_only
        .address_space:  global
        .offset:         32
        .size:           8
        .value_kind:     global_buffer
      - .offset:         40
        .size:           8
        .value_kind:     by_value
      - .offset:         48
        .size:           8
        .value_kind:     by_value
      - .offset:         56
        .size:           4
        .value_kind:     by_value
      - .actual_access:  write_only
        .address_space:  global
        .offset:         64
        .size:           8
        .value_kind:     global_buffer
      - .actual_access:  write_only
        .address_space:  global
        .offset:         72
        .size:           8
        .value_kind:     global_buffer
      - .offset:         80
        .size:           4
        .value_kind:     hidden_block_count_x
      - .offset:         84
        .size:           4
        .value_kind:     hidden_block_count_y
      - .offset:         88
        .size:           4
        .value_kind:     hidden_block_count_z
      - .offset:         92
        .size:           2
        .value_kind:     hidden_group_size_x
      - .offset:         94
        .size:           2
        .value_kind:     hidden_group_size_y
      - .offset:         96
        .size:           2
        .value_kind:     hidden_group_size_z
      - .offset:         98
        .size:           2
        .value_kind:     hidden_remainder_x
      - .offset:         100
        .size:           2
        .value_kind:     hidden_remainder_y
      - .offset:         102
        .size:           2
        .value_kind:     hidden_remainder_z
      - .offset:         120
        .size:           8
        .value_kind:     hidden_global_offset_x
      - .offset:         128
        .size:           8
        .value_kind:     hidden_global_offset_y
      - .offset:         136
        .size:           8
        .value_kind:     hidden_global_offset_z
      - .offset:         144
        .size:           2
        .value_kind:     hidden_grid_dims
    .group_segment_fixed_size: 256
    .kernarg_segment_align: 8
    .kernarg_segment_size: 336
    .language:       OpenCL C
    .language_version:
      - 2
      - 0
    .max_flat_workgroup_size: 512
    .name:           _ZL23rocblas_dot_kernel_inc1ILb0ELi512ELi8ELb0E16rocblas_bfloat16PKPKS0_fEviT4_llS5_lliPT5_PT3_
    .private_segment_fixed_size: 0
    .sgpr_count:     32
    .sgpr_spill_count: 0
    .symbol:         _ZL23rocblas_dot_kernel_inc1ILb0ELi512ELi8ELb0E16rocblas_bfloat16PKPKS0_fEviT4_llS5_lliPT5_PT3_.kd
    .uniform_work_group_size: 1
    .uses_dynamic_stack: false
    .vgpr_count:     14
    .vgpr_spill_count: 0
    .wavefront_size: 64
  - .args:
      - .offset:         0
        .size:           4
        .value_kind:     by_value
      - .actual_access:  read_only
        .address_space:  global
        .offset:         8
        .size:           8
        .value_kind:     global_buffer
      - .offset:         16
        .size:           8
        .value_kind:     by_value
      - .offset:         24
        .size:           4
        .value_kind:     by_value
      - .offset:         32
        .size:           8
        .value_kind:     by_value
      - .actual_access:  read_only
        .address_space:  global
        .offset:         40
        .size:           8
        .value_kind:     global_buffer
      - .offset:         48
        .size:           8
        .value_kind:     by_value
      - .offset:         56
        .size:           4
        .value_kind:     by_value
      - .offset:         64
        .size:           8
        .value_kind:     by_value
      - .offset:         72
        .size:           4
        .value_kind:     by_value
      - .actual_access:  write_only
        .address_space:  global
        .offset:         80
        .size:           8
        .value_kind:     global_buffer
      - .actual_access:  write_only
        .address_space:  global
        .offset:         88
        .size:           8
        .value_kind:     global_buffer
      - .offset:         96
        .size:           4
        .value_kind:     hidden_block_count_x
      - .offset:         100
        .size:           4
        .value_kind:     hidden_block_count_y
      - .offset:         104
        .size:           4
        .value_kind:     hidden_block_count_z
      - .offset:         108
        .size:           2
        .value_kind:     hidden_group_size_x
      - .offset:         110
        .size:           2
        .value_kind:     hidden_group_size_y
      - .offset:         112
        .size:           2
        .value_kind:     hidden_group_size_z
      - .offset:         114
        .size:           2
        .value_kind:     hidden_remainder_x
      - .offset:         116
        .size:           2
        .value_kind:     hidden_remainder_y
      - .offset:         118
        .size:           2
        .value_kind:     hidden_remainder_z
      - .offset:         136
        .size:           8
        .value_kind:     hidden_global_offset_x
      - .offset:         144
        .size:           8
        .value_kind:     hidden_global_offset_y
      - .offset:         152
        .size:           8
        .value_kind:     hidden_global_offset_z
      - .offset:         160
        .size:           2
        .value_kind:     hidden_grid_dims
    .group_segment_fixed_size: 256
    .kernarg_segment_align: 8
    .kernarg_segment_size: 352
    .language:       OpenCL C
    .language_version:
      - 2
      - 0
    .max_flat_workgroup_size: 512
    .name:           _ZL18rocblas_dot_kernelIiLb0ELi512ELi8ELb0E16rocblas_bfloat16PKPKS0_fEviT5_lT_lS5_lS6_liPT6_PT4_
    .private_segment_fixed_size: 0
    .sgpr_count:     32
    .sgpr_spill_count: 0
    .symbol:         _ZL18rocblas_dot_kernelIiLb0ELi512ELi8ELb0E16rocblas_bfloat16PKPKS0_fEviT5_lT_lS5_lS6_liPT6_PT4_.kd
    .uniform_work_group_size: 1
    .uses_dynamic_stack: false
    .vgpr_count:     11
    .vgpr_spill_count: 0
    .wavefront_size: 64
  - .args:
      - .offset:         0
        .size:           4
        .value_kind:     by_value
      - .actual_access:  read_only
        .address_space:  global
        .offset:         8
        .size:           8
        .value_kind:     global_buffer
      - .offset:         16
        .size:           8
        .value_kind:     by_value
      - .offset:         24
        .size:           4
        .value_kind:     by_value
      - .offset:         32
        .size:           8
        .value_kind:     by_value
      - .offset:         40
        .size:           4
        .value_kind:     by_value
      - .actual_access:  write_only
        .address_space:  global
        .offset:         48
        .size:           8
        .value_kind:     global_buffer
      - .actual_access:  write_only
        .address_space:  global
        .offset:         56
        .size:           8
        .value_kind:     global_buffer
      - .offset:         64
        .size:           4
        .value_kind:     hidden_block_count_x
      - .offset:         68
        .size:           4
        .value_kind:     hidden_block_count_y
      - .offset:         72
        .size:           4
        .value_kind:     hidden_block_count_z
      - .offset:         76
        .size:           2
        .value_kind:     hidden_group_size_x
      - .offset:         78
        .size:           2
        .value_kind:     hidden_group_size_y
      - .offset:         80
        .size:           2
        .value_kind:     hidden_group_size_z
      - .offset:         82
        .size:           2
        .value_kind:     hidden_remainder_x
      - .offset:         84
        .size:           2
        .value_kind:     hidden_remainder_y
      - .offset:         86
        .size:           2
        .value_kind:     hidden_remainder_z
      - .offset:         104
        .size:           8
        .value_kind:     hidden_global_offset_x
      - .offset:         112
        .size:           8
        .value_kind:     hidden_global_offset_y
      - .offset:         120
        .size:           8
        .value_kind:     hidden_global_offset_z
      - .offset:         128
        .size:           2
        .value_kind:     hidden_grid_dims
    .group_segment_fixed_size: 256
    .kernarg_segment_align: 8
    .kernarg_segment_size: 320
    .language:       OpenCL C
    .language_version:
      - 2
      - 0
    .max_flat_workgroup_size: 512
    .name:           _ZL24rocblas_dot_kernel_magsqIiLb0ELi512ELi8ELb0E16rocblas_bfloat16PKPKS0_fEviT5_lT_liPT6_PT4_
    .private_segment_fixed_size: 0
    .sgpr_count:     28
    .sgpr_spill_count: 0
    .symbol:         _ZL24rocblas_dot_kernel_magsqIiLb0ELi512ELi8ELb0E16rocblas_bfloat16PKPKS0_fEviT5_lT_liPT6_PT4_.kd
    .uniform_work_group_size: 1
    .uses_dynamic_stack: false
    .vgpr_count:     9
    .vgpr_spill_count: 0
    .wavefront_size: 64
  - .args:
      - .offset:         0
        .size:           4
        .value_kind:     by_value
      - .actual_access:  read_only
        .address_space:  global
        .offset:         8
        .size:           8
        .value_kind:     global_buffer
      - .offset:         16
        .size:           8
        .value_kind:     by_value
      - .offset:         24
        .size:           4
        .value_kind:     by_value
      - .offset:         32
        .size:           8
        .value_kind:     by_value
      - .actual_access:  read_only
        .address_space:  global
        .offset:         40
        .size:           8
        .value_kind:     global_buffer
      - .offset:         48
        .size:           8
        .value_kind:     by_value
      - .offset:         56
        .size:           4
        .value_kind:     by_value
      - .offset:         64
        .size:           8
        .value_kind:     by_value
      - .offset:         72
        .size:           4
        .value_kind:     by_value
      - .actual_access:  write_only
        .address_space:  global
        .offset:         80
        .size:           8
        .value_kind:     global_buffer
    .group_segment_fixed_size: 0
    .kernarg_segment_align: 8
    .kernarg_segment_size: 88
    .language:       OpenCL C
    .language_version:
      - 2
      - 0
    .max_flat_workgroup_size: 128
    .name:           _ZL28rocblas_dot_batched_4_kernelIiLi32ELi4ELb0EffPKPKfEviT5_lT_lS4_lS5_liPT4_
    .private_segment_fixed_size: 0
    .sgpr_count:     22
    .sgpr_spill_count: 0
    .symbol:         _ZL28rocblas_dot_batched_4_kernelIiLi32ELi4ELb0EffPKPKfEviT5_lT_lS4_lS5_liPT4_.kd
    .uniform_work_group_size: 1
    .uses_dynamic_stack: false
    .vgpr_count:     16
    .vgpr_spill_count: 0
    .wavefront_size: 64
  - .args:
      - .offset:         0
        .size:           4
        .value_kind:     by_value
      - .actual_access:  read_only
        .address_space:  global
        .offset:         8
        .size:           8
        .value_kind:     global_buffer
      - .offset:         16
        .size:           8
        .value_kind:     by_value
      - .offset:         24
        .size:           4
        .value_kind:     by_value
      - .offset:         32
        .size:           8
        .value_kind:     by_value
      - .actual_access:  read_only
        .address_space:  global
        .offset:         40
        .size:           8
        .value_kind:     global_buffer
      - .offset:         48
        .size:           8
        .value_kind:     by_value
      - .offset:         56
        .size:           4
        .value_kind:     by_value
      - .offset:         64
        .size:           8
        .value_kind:     by_value
      - .offset:         72
        .size:           4
        .value_kind:     by_value
      - .actual_access:  write_only
        .address_space:  global
        .offset:         80
        .size:           8
        .value_kind:     global_buffer
    .group_segment_fixed_size: 0
    .kernarg_segment_align: 8
    .kernarg_segment_size: 88
    .language:       OpenCL C
    .language_version:
      - 2
      - 0
    .max_flat_workgroup_size: 256
    .name:           _ZL28rocblas_dot_batched_4_kernelIiLi64ELi4ELb0EffPKPKfEviT5_lT_lS4_lS5_liPT4_
    .private_segment_fixed_size: 0
    .sgpr_count:     24
    .sgpr_spill_count: 0
    .symbol:         _ZL28rocblas_dot_batched_4_kernelIiLi64ELi4ELb0EffPKPKfEviT5_lT_lS4_lS5_liPT4_.kd
    .uniform_work_group_size: 1
    .uses_dynamic_stack: false
    .vgpr_count:     14
    .vgpr_spill_count: 0
    .wavefront_size: 64
  - .args:
      - .offset:         0
        .size:           4
        .value_kind:     by_value
      - .actual_access:  read_only
        .address_space:  global
        .offset:         8
        .size:           8
        .value_kind:     global_buffer
      - .offset:         16
        .size:           8
        .value_kind:     by_value
      - .offset:         24
        .size:           8
        .value_kind:     by_value
      - .actual_access:  read_only
        .address_space:  global
        .offset:         32
        .size:           8
        .value_kind:     global_buffer
      - .offset:         40
        .size:           8
        .value_kind:     by_value
      - .offset:         48
        .size:           8
        .value_kind:     by_value
      - .offset:         56
        .size:           4
        .value_kind:     by_value
      - .actual_access:  read_only
        .address_space:  global
        .offset:         64
        .size:           8
        .value_kind:     global_buffer
      - .actual_access:  write_only
        .address_space:  global
        .offset:         72
        .size:           8
        .value_kind:     global_buffer
    .group_segment_fixed_size: 256
    .kernarg_segment_align: 8
    .kernarg_segment_size: 80
    .language:       OpenCL C
    .language_version:
      - 2
      - 0
    .max_flat_workgroup_size: 1024
    .name:           _ZL26rocblas_dot_kernel_inc1by2ILb1ELi1024ELi32ELb0EfPKPKffEviT4_llS4_lliPT5_PT3_
    .private_segment_fixed_size: 0
    .sgpr_count:     28
    .sgpr_spill_count: 0
    .symbol:         _ZL26rocblas_dot_kernel_inc1by2ILb1ELi1024ELi32ELb0EfPKPKffEviT4_llS4_lliPT5_PT3_.kd
    .uniform_work_group_size: 1
    .uses_dynamic_stack: false
    .vgpr_count:     11
    .vgpr_spill_count: 0
    .wavefront_size: 64
  - .args:
      - .offset:         0
        .size:           4
        .value_kind:     by_value
      - .actual_access:  read_only
        .address_space:  global
        .offset:         8
        .size:           8
        .value_kind:     global_buffer
      - .offset:         16
        .size:           8
        .value_kind:     by_value
      - .offset:         24
        .size:           4
        .value_kind:     by_value
      - .offset:         32
        .size:           8
        .value_kind:     by_value
      - .actual_access:  read_only
        .address_space:  global
        .offset:         40
        .size:           8
        .value_kind:     global_buffer
      - .offset:         48
        .size:           8
        .value_kind:     by_value
      - .offset:         56
        .size:           4
        .value_kind:     by_value
      - .offset:         64
        .size:           8
        .value_kind:     by_value
      - .offset:         72
        .size:           4
        .value_kind:     by_value
      - .actual_access:  read_only
        .address_space:  global
        .offset:         80
        .size:           8
        .value_kind:     global_buffer
      - .actual_access:  write_only
        .address_space:  global
        .offset:         88
        .size:           8
        .value_kind:     global_buffer
      - .offset:         96
        .size:           4
        .value_kind:     hidden_block_count_x
      - .offset:         100
        .size:           4
        .value_kind:     hidden_block_count_y
      - .offset:         104
        .size:           4
        .value_kind:     hidden_block_count_z
      - .offset:         108
        .size:           2
        .value_kind:     hidden_group_size_x
      - .offset:         110
        .size:           2
        .value_kind:     hidden_group_size_y
      - .offset:         112
        .size:           2
        .value_kind:     hidden_group_size_z
      - .offset:         114
        .size:           2
        .value_kind:     hidden_remainder_x
      - .offset:         116
        .size:           2
        .value_kind:     hidden_remainder_y
      - .offset:         118
        .size:           2
        .value_kind:     hidden_remainder_z
      - .offset:         136
        .size:           8
        .value_kind:     hidden_global_offset_x
      - .offset:         144
        .size:           8
        .value_kind:     hidden_global_offset_y
      - .offset:         152
        .size:           8
        .value_kind:     hidden_global_offset_z
      - .offset:         160
        .size:           2
        .value_kind:     hidden_grid_dims
    .group_segment_fixed_size: 256
    .kernarg_segment_align: 8
    .kernarg_segment_size: 352
    .language:       OpenCL C
    .language_version:
      - 2
      - 0
    .max_flat_workgroup_size: 1024
    .name:           _ZL18rocblas_dot_kernelIiLb1ELi1024ELi32ELb0EfPKPKffEviT5_lT_lS4_lS5_liPT6_PT4_
    .private_segment_fixed_size: 0
    .sgpr_count:     28
    .sgpr_spill_count: 0
    .symbol:         _ZL18rocblas_dot_kernelIiLb1ELi1024ELi32ELb0EfPKPKffEviT5_lT_lS4_lS5_liPT6_PT4_.kd
    .uniform_work_group_size: 1
    .uses_dynamic_stack: false
    .vgpr_count:     11
    .vgpr_spill_count: 0
    .wavefront_size: 64
  - .args:
      - .offset:         0
        .size:           4
        .value_kind:     by_value
      - .actual_access:  read_only
        .address_space:  global
        .offset:         8
        .size:           8
        .value_kind:     global_buffer
      - .offset:         16
        .size:           8
        .value_kind:     by_value
      - .offset:         24
        .size:           4
        .value_kind:     by_value
      - .offset:         32
        .size:           8
        .value_kind:     by_value
      - .offset:         40
        .size:           4
        .value_kind:     by_value
      - .actual_access:  read_only
        .address_space:  global
        .offset:         48
        .size:           8
        .value_kind:     global_buffer
      - .actual_access:  write_only
        .address_space:  global
        .offset:         56
        .size:           8
        .value_kind:     global_buffer
      - .offset:         64
        .size:           4
        .value_kind:     hidden_block_count_x
      - .offset:         68
        .size:           4
        .value_kind:     hidden_block_count_y
      - .offset:         72
        .size:           4
        .value_kind:     hidden_block_count_z
      - .offset:         76
        .size:           2
        .value_kind:     hidden_group_size_x
      - .offset:         78
        .size:           2
        .value_kind:     hidden_group_size_y
      - .offset:         80
        .size:           2
        .value_kind:     hidden_group_size_z
      - .offset:         82
        .size:           2
        .value_kind:     hidden_remainder_x
      - .offset:         84
        .size:           2
        .value_kind:     hidden_remainder_y
      - .offset:         86
        .size:           2
        .value_kind:     hidden_remainder_z
      - .offset:         104
        .size:           8
        .value_kind:     hidden_global_offset_x
      - .offset:         112
        .size:           8
        .value_kind:     hidden_global_offset_y
      - .offset:         120
        .size:           8
        .value_kind:     hidden_global_offset_z
      - .offset:         128
        .size:           2
        .value_kind:     hidden_grid_dims
    .group_segment_fixed_size: 256
    .kernarg_segment_align: 8
    .kernarg_segment_size: 320
    .language:       OpenCL C
    .language_version:
      - 2
      - 0
    .max_flat_workgroup_size: 1024
    .name:           _ZL24rocblas_dot_kernel_magsqIiLb1ELi1024ELi32ELb0EfPKPKffEviT5_lT_liPT6_PT4_
    .private_segment_fixed_size: 0
    .sgpr_count:     24
    .sgpr_spill_count: 0
    .symbol:         _ZL24rocblas_dot_kernel_magsqIiLb1ELi1024ELi32ELb0EfPKPKffEviT5_lT_liPT6_PT4_.kd
    .uniform_work_group_size: 1
    .uses_dynamic_stack: false
    .vgpr_count:     10
    .vgpr_spill_count: 0
    .wavefront_size: 64
  - .args:
      - .offset:         0
        .size:           4
        .value_kind:     by_value
      - .actual_access:  read_only
        .address_space:  global
        .offset:         8
        .size:           8
        .value_kind:     global_buffer
      - .offset:         16
        .size:           8
        .value_kind:     by_value
      - .offset:         24
        .size:           8
        .value_kind:     by_value
      - .actual_access:  read_only
        .address_space:  global
        .offset:         32
        .size:           8
        .value_kind:     global_buffer
      - .offset:         40
        .size:           8
        .value_kind:     by_value
      - .offset:         48
        .size:           8
        .value_kind:     by_value
      - .offset:         56
        .size:           4
        .value_kind:     by_value
      - .actual_access:  write_only
        .address_space:  global
        .offset:         64
        .size:           8
        .value_kind:     global_buffer
      - .actual_access:  write_only
        .address_space:  global
        .offset:         72
        .size:           8
        .value_kind:     global_buffer
      - .offset:         80
        .size:           4
        .value_kind:     hidden_block_count_x
      - .offset:         84
        .size:           4
        .value_kind:     hidden_block_count_y
      - .offset:         88
        .size:           4
        .value_kind:     hidden_block_count_z
      - .offset:         92
        .size:           2
        .value_kind:     hidden_group_size_x
      - .offset:         94
        .size:           2
        .value_kind:     hidden_group_size_y
      - .offset:         96
        .size:           2
        .value_kind:     hidden_group_size_z
      - .offset:         98
        .size:           2
        .value_kind:     hidden_remainder_x
      - .offset:         100
        .size:           2
        .value_kind:     hidden_remainder_y
      - .offset:         102
        .size:           2
        .value_kind:     hidden_remainder_z
      - .offset:         120
        .size:           8
        .value_kind:     hidden_global_offset_x
      - .offset:         128
        .size:           8
        .value_kind:     hidden_global_offset_y
      - .offset:         136
        .size:           8
        .value_kind:     hidden_global_offset_z
      - .offset:         144
        .size:           2
        .value_kind:     hidden_grid_dims
    .group_segment_fixed_size: 256
    .kernarg_segment_align: 8
    .kernarg_segment_size: 336
    .language:       OpenCL C
    .language_version:
      - 2
      - 0
    .max_flat_workgroup_size: 512
    .name:           _ZL23rocblas_dot_kernel_inc1ILb0ELi512ELi4ELb0EfPKPKffEviT4_llS4_lliPT5_PT3_
    .private_segment_fixed_size: 0
    .sgpr_count:     32
    .sgpr_spill_count: 0
    .symbol:         _ZL23rocblas_dot_kernel_inc1ILb0ELi512ELi4ELb0EfPKPKffEviT4_llS4_lliPT5_PT3_.kd
    .uniform_work_group_size: 1
    .uses_dynamic_stack: false
    .vgpr_count:     14
    .vgpr_spill_count: 0
    .wavefront_size: 64
  - .args:
      - .offset:         0
        .size:           4
        .value_kind:     by_value
      - .actual_access:  read_only
        .address_space:  global
        .offset:         8
        .size:           8
        .value_kind:     global_buffer
      - .offset:         16
        .size:           8
        .value_kind:     by_value
      - .offset:         24
        .size:           4
        .value_kind:     by_value
      - .offset:         32
        .size:           8
        .value_kind:     by_value
      - .actual_access:  read_only
        .address_space:  global
        .offset:         40
        .size:           8
        .value_kind:     global_buffer
      - .offset:         48
        .size:           8
        .value_kind:     by_value
      - .offset:         56
        .size:           4
        .value_kind:     by_value
      - .offset:         64
        .size:           8
        .value_kind:     by_value
      - .offset:         72
        .size:           4
        .value_kind:     by_value
      - .actual_access:  write_only
        .address_space:  global
        .offset:         80
        .size:           8
        .value_kind:     global_buffer
      - .actual_access:  write_only
        .address_space:  global
        .offset:         88
        .size:           8
        .value_kind:     global_buffer
      - .offset:         96
        .size:           4
        .value_kind:     hidden_block_count_x
      - .offset:         100
        .size:           4
        .value_kind:     hidden_block_count_y
      - .offset:         104
        .size:           4
        .value_kind:     hidden_block_count_z
      - .offset:         108
        .size:           2
        .value_kind:     hidden_group_size_x
      - .offset:         110
        .size:           2
        .value_kind:     hidden_group_size_y
      - .offset:         112
        .size:           2
        .value_kind:     hidden_group_size_z
      - .offset:         114
        .size:           2
        .value_kind:     hidden_remainder_x
      - .offset:         116
        .size:           2
        .value_kind:     hidden_remainder_y
      - .offset:         118
        .size:           2
        .value_kind:     hidden_remainder_z
      - .offset:         136
        .size:           8
        .value_kind:     hidden_global_offset_x
      - .offset:         144
        .size:           8
        .value_kind:     hidden_global_offset_y
      - .offset:         152
        .size:           8
        .value_kind:     hidden_global_offset_z
      - .offset:         160
        .size:           2
        .value_kind:     hidden_grid_dims
    .group_segment_fixed_size: 256
    .kernarg_segment_align: 8
    .kernarg_segment_size: 352
    .language:       OpenCL C
    .language_version:
      - 2
      - 0
    .max_flat_workgroup_size: 512
    .name:           _ZL18rocblas_dot_kernelIiLb0ELi512ELi4ELb0EfPKPKffEviT5_lT_lS4_lS5_liPT6_PT4_
    .private_segment_fixed_size: 0
    .sgpr_count:     32
    .sgpr_spill_count: 0
    .symbol:         _ZL18rocblas_dot_kernelIiLb0ELi512ELi4ELb0EfPKPKffEviT5_lT_lS4_lS5_liPT6_PT4_.kd
    .uniform_work_group_size: 1
    .uses_dynamic_stack: false
    .vgpr_count:     11
    .vgpr_spill_count: 0
    .wavefront_size: 64
  - .args:
      - .offset:         0
        .size:           4
        .value_kind:     by_value
      - .actual_access:  read_only
        .address_space:  global
        .offset:         8
        .size:           8
        .value_kind:     global_buffer
      - .offset:         16
        .size:           8
        .value_kind:     by_value
      - .offset:         24
        .size:           4
        .value_kind:     by_value
      - .offset:         32
        .size:           8
        .value_kind:     by_value
      - .offset:         40
        .size:           4
        .value_kind:     by_value
      - .actual_access:  write_only
        .address_space:  global
        .offset:         48
        .size:           8
        .value_kind:     global_buffer
      - .actual_access:  write_only
        .address_space:  global
        .offset:         56
        .size:           8
        .value_kind:     global_buffer
      - .offset:         64
        .size:           4
        .value_kind:     hidden_block_count_x
      - .offset:         68
        .size:           4
        .value_kind:     hidden_block_count_y
      - .offset:         72
        .size:           4
        .value_kind:     hidden_block_count_z
      - .offset:         76
        .size:           2
        .value_kind:     hidden_group_size_x
      - .offset:         78
        .size:           2
        .value_kind:     hidden_group_size_y
      - .offset:         80
        .size:           2
        .value_kind:     hidden_group_size_z
      - .offset:         82
        .size:           2
        .value_kind:     hidden_remainder_x
      - .offset:         84
        .size:           2
        .value_kind:     hidden_remainder_y
      - .offset:         86
        .size:           2
        .value_kind:     hidden_remainder_z
      - .offset:         104
        .size:           8
        .value_kind:     hidden_global_offset_x
      - .offset:         112
        .size:           8
        .value_kind:     hidden_global_offset_y
      - .offset:         120
        .size:           8
        .value_kind:     hidden_global_offset_z
      - .offset:         128
        .size:           2
        .value_kind:     hidden_grid_dims
    .group_segment_fixed_size: 256
    .kernarg_segment_align: 8
    .kernarg_segment_size: 320
    .language:       OpenCL C
    .language_version:
      - 2
      - 0
    .max_flat_workgroup_size: 512
    .name:           _ZL24rocblas_dot_kernel_magsqIiLb0ELi512ELi4ELb0EfPKPKffEviT5_lT_liPT6_PT4_
    .private_segment_fixed_size: 0
    .sgpr_count:     28
    .sgpr_spill_count: 0
    .symbol:         _ZL24rocblas_dot_kernel_magsqIiLb0ELi512ELi4ELb0EfPKPKffEviT5_lT_liPT6_PT4_.kd
    .uniform_work_group_size: 1
    .uses_dynamic_stack: false
    .vgpr_count:     9
    .vgpr_spill_count: 0
    .wavefront_size: 64
  - .args:
      - .offset:         0
        .size:           4
        .value_kind:     by_value
      - .actual_access:  read_only
        .address_space:  global
        .offset:         8
        .size:           8
        .value_kind:     global_buffer
      - .offset:         16
        .size:           8
        .value_kind:     by_value
      - .offset:         24
        .size:           4
        .value_kind:     by_value
      - .offset:         32
        .size:           8
        .value_kind:     by_value
      - .actual_access:  read_only
        .address_space:  global
        .offset:         40
        .size:           8
        .value_kind:     global_buffer
      - .offset:         48
        .size:           8
        .value_kind:     by_value
      - .offset:         56
        .size:           4
        .value_kind:     by_value
      - .offset:         64
        .size:           8
        .value_kind:     by_value
      - .offset:         72
        .size:           4
        .value_kind:     by_value
      - .actual_access:  write_only
        .address_space:  global
        .offset:         80
        .size:           8
        .value_kind:     global_buffer
    .group_segment_fixed_size: 0
    .kernarg_segment_align: 8
    .kernarg_segment_size: 88
    .language:       OpenCL C
    .language_version:
      - 2
      - 0
    .max_flat_workgroup_size: 128
    .name:           _ZL28rocblas_dot_batched_4_kernelIiLi32ELi4ELb0EddPKPKdEviT5_lT_lS4_lS5_liPT4_
    .private_segment_fixed_size: 0
    .sgpr_count:     24
    .sgpr_spill_count: 0
    .symbol:         _ZL28rocblas_dot_batched_4_kernelIiLi32ELi4ELb0EddPKPKdEviT5_lT_lS4_lS5_liPT4_.kd
    .uniform_work_group_size: 1
    .uses_dynamic_stack: false
    .vgpr_count:     16
    .vgpr_spill_count: 0
    .wavefront_size: 64
  - .args:
      - .offset:         0
        .size:           4
        .value_kind:     by_value
      - .actual_access:  read_only
        .address_space:  global
        .offset:         8
        .size:           8
        .value_kind:     global_buffer
      - .offset:         16
        .size:           8
        .value_kind:     by_value
      - .offset:         24
        .size:           4
        .value_kind:     by_value
      - .offset:         32
        .size:           8
        .value_kind:     by_value
      - .actual_access:  read_only
        .address_space:  global
        .offset:         40
        .size:           8
        .value_kind:     global_buffer
      - .offset:         48
        .size:           8
        .value_kind:     by_value
      - .offset:         56
        .size:           4
        .value_kind:     by_value
      - .offset:         64
        .size:           8
        .value_kind:     by_value
      - .offset:         72
        .size:           4
        .value_kind:     by_value
      - .actual_access:  write_only
        .address_space:  global
        .offset:         80
        .size:           8
        .value_kind:     global_buffer
    .group_segment_fixed_size: 0
    .kernarg_segment_align: 8
    .kernarg_segment_size: 88
    .language:       OpenCL C
    .language_version:
      - 2
      - 0
    .max_flat_workgroup_size: 256
    .name:           _ZL28rocblas_dot_batched_4_kernelIiLi64ELi4ELb0EddPKPKdEviT5_lT_lS4_lS5_liPT4_
    .private_segment_fixed_size: 0
    .sgpr_count:     24
    .sgpr_spill_count: 0
    .symbol:         _ZL28rocblas_dot_batched_4_kernelIiLi64ELi4ELb0EddPKPKdEviT5_lT_lS4_lS5_liPT4_.kd
    .uniform_work_group_size: 1
    .uses_dynamic_stack: false
    .vgpr_count:     16
    .vgpr_spill_count: 0
    .wavefront_size: 64
  - .args:
      - .offset:         0
        .size:           4
        .value_kind:     by_value
      - .actual_access:  read_only
        .address_space:  global
        .offset:         8
        .size:           8
        .value_kind:     global_buffer
      - .offset:         16
        .size:           8
        .value_kind:     by_value
      - .offset:         24
        .size:           8
        .value_kind:     by_value
      - .actual_access:  read_only
        .address_space:  global
        .offset:         32
        .size:           8
        .value_kind:     global_buffer
      - .offset:         40
        .size:           8
        .value_kind:     by_value
      - .offset:         48
        .size:           8
        .value_kind:     by_value
      - .offset:         56
        .size:           4
        .value_kind:     by_value
      - .actual_access:  read_only
        .address_space:  global
        .offset:         64
        .size:           8
        .value_kind:     global_buffer
      - .actual_access:  write_only
        .address_space:  global
        .offset:         72
        .size:           8
        .value_kind:     global_buffer
    .group_segment_fixed_size: 512
    .kernarg_segment_align: 8
    .kernarg_segment_size: 80
    .language:       OpenCL C
    .language_version:
      - 2
      - 0
    .max_flat_workgroup_size: 1024
    .name:           _ZL26rocblas_dot_kernel_inc1by2ILb1ELi1024ELi32ELb0EdPKPKddEviT4_llS4_lliPT5_PT3_
    .private_segment_fixed_size: 0
    .sgpr_count:     24
    .sgpr_spill_count: 0
    .symbol:         _ZL26rocblas_dot_kernel_inc1by2ILb1ELi1024ELi32ELb0EdPKPKddEviT4_llS4_lliPT5_PT3_.kd
    .uniform_work_group_size: 1
    .uses_dynamic_stack: false
    .vgpr_count:     12
    .vgpr_spill_count: 0
    .wavefront_size: 64
  - .args:
      - .offset:         0
        .size:           4
        .value_kind:     by_value
      - .actual_access:  read_only
        .address_space:  global
        .offset:         8
        .size:           8
        .value_kind:     global_buffer
      - .offset:         16
        .size:           8
        .value_kind:     by_value
      - .offset:         24
        .size:           4
        .value_kind:     by_value
      - .offset:         32
        .size:           8
        .value_kind:     by_value
      - .actual_access:  read_only
        .address_space:  global
        .offset:         40
        .size:           8
        .value_kind:     global_buffer
      - .offset:         48
        .size:           8
        .value_kind:     by_value
      - .offset:         56
        .size:           4
        .value_kind:     by_value
      - .offset:         64
        .size:           8
        .value_kind:     by_value
      - .offset:         72
        .size:           4
        .value_kind:     by_value
      - .actual_access:  read_only
        .address_space:  global
        .offset:         80
        .size:           8
        .value_kind:     global_buffer
      - .actual_access:  write_only
        .address_space:  global
        .offset:         88
        .size:           8
        .value_kind:     global_buffer
      - .offset:         96
        .size:           4
        .value_kind:     hidden_block_count_x
      - .offset:         100
        .size:           4
        .value_kind:     hidden_block_count_y
      - .offset:         104
        .size:           4
        .value_kind:     hidden_block_count_z
      - .offset:         108
        .size:           2
        .value_kind:     hidden_group_size_x
      - .offset:         110
        .size:           2
        .value_kind:     hidden_group_size_y
      - .offset:         112
        .size:           2
        .value_kind:     hidden_group_size_z
      - .offset:         114
        .size:           2
        .value_kind:     hidden_remainder_x
      - .offset:         116
        .size:           2
        .value_kind:     hidden_remainder_y
      - .offset:         118
        .size:           2
        .value_kind:     hidden_remainder_z
      - .offset:         136
        .size:           8
        .value_kind:     hidden_global_offset_x
      - .offset:         144
        .size:           8
        .value_kind:     hidden_global_offset_y
      - .offset:         152
        .size:           8
        .value_kind:     hidden_global_offset_z
      - .offset:         160
        .size:           2
        .value_kind:     hidden_grid_dims
    .group_segment_fixed_size: 512
    .kernarg_segment_align: 8
    .kernarg_segment_size: 352
    .language:       OpenCL C
    .language_version:
      - 2
      - 0
    .max_flat_workgroup_size: 1024
    .name:           _ZL18rocblas_dot_kernelIiLb1ELi1024ELi32ELb0EdPKPKddEviT5_lT_lS4_lS5_liPT6_PT4_
    .private_segment_fixed_size: 0
    .sgpr_count:     28
    .sgpr_spill_count: 0
    .symbol:         _ZL18rocblas_dot_kernelIiLb1ELi1024ELi32ELb0EdPKPKddEviT5_lT_lS4_lS5_liPT6_PT4_.kd
    .uniform_work_group_size: 1
    .uses_dynamic_stack: false
    .vgpr_count:     14
    .vgpr_spill_count: 0
    .wavefront_size: 64
  - .args:
      - .offset:         0
        .size:           4
        .value_kind:     by_value
      - .actual_access:  read_only
        .address_space:  global
        .offset:         8
        .size:           8
        .value_kind:     global_buffer
      - .offset:         16
        .size:           8
        .value_kind:     by_value
      - .offset:         24
        .size:           4
        .value_kind:     by_value
      - .offset:         32
        .size:           8
        .value_kind:     by_value
      - .offset:         40
        .size:           4
        .value_kind:     by_value
      - .actual_access:  read_only
        .address_space:  global
        .offset:         48
        .size:           8
        .value_kind:     global_buffer
      - .actual_access:  write_only
        .address_space:  global
        .offset:         56
        .size:           8
        .value_kind:     global_buffer
      - .offset:         64
        .size:           4
        .value_kind:     hidden_block_count_x
      - .offset:         68
        .size:           4
        .value_kind:     hidden_block_count_y
      - .offset:         72
        .size:           4
        .value_kind:     hidden_block_count_z
      - .offset:         76
        .size:           2
        .value_kind:     hidden_group_size_x
      - .offset:         78
        .size:           2
        .value_kind:     hidden_group_size_y
      - .offset:         80
        .size:           2
        .value_kind:     hidden_group_size_z
      - .offset:         82
        .size:           2
        .value_kind:     hidden_remainder_x
      - .offset:         84
        .size:           2
        .value_kind:     hidden_remainder_y
      - .offset:         86
        .size:           2
        .value_kind:     hidden_remainder_z
      - .offset:         104
        .size:           8
        .value_kind:     hidden_global_offset_x
      - .offset:         112
        .size:           8
        .value_kind:     hidden_global_offset_y
      - .offset:         120
        .size:           8
        .value_kind:     hidden_global_offset_z
      - .offset:         128
        .size:           2
        .value_kind:     hidden_grid_dims
    .group_segment_fixed_size: 512
    .kernarg_segment_align: 8
    .kernarg_segment_size: 320
    .language:       OpenCL C
    .language_version:
      - 2
      - 0
    .max_flat_workgroup_size: 1024
    .name:           _ZL24rocblas_dot_kernel_magsqIiLb1ELi1024ELi32ELb0EdPKPKddEviT5_lT_liPT6_PT4_
    .private_segment_fixed_size: 0
    .sgpr_count:     24
    .sgpr_spill_count: 0
    .symbol:         _ZL24rocblas_dot_kernel_magsqIiLb1ELi1024ELi32ELb0EdPKPKddEviT5_lT_liPT6_PT4_.kd
    .uniform_work_group_size: 1
    .uses_dynamic_stack: false
    .vgpr_count:     12
    .vgpr_spill_count: 0
    .wavefront_size: 64
  - .args:
      - .offset:         0
        .size:           4
        .value_kind:     by_value
      - .actual_access:  read_only
        .address_space:  global
        .offset:         8
        .size:           8
        .value_kind:     global_buffer
      - .offset:         16
        .size:           8
        .value_kind:     by_value
      - .offset:         24
        .size:           8
        .value_kind:     by_value
      - .actual_access:  read_only
        .address_space:  global
        .offset:         32
        .size:           8
        .value_kind:     global_buffer
      - .offset:         40
        .size:           8
        .value_kind:     by_value
      - .offset:         48
        .size:           8
        .value_kind:     by_value
      - .offset:         56
        .size:           4
        .value_kind:     by_value
      - .actual_access:  write_only
        .address_space:  global
        .offset:         64
        .size:           8
        .value_kind:     global_buffer
      - .actual_access:  write_only
        .address_space:  global
        .offset:         72
        .size:           8
        .value_kind:     global_buffer
      - .offset:         80
        .size:           4
        .value_kind:     hidden_block_count_x
      - .offset:         84
        .size:           4
        .value_kind:     hidden_block_count_y
      - .offset:         88
        .size:           4
        .value_kind:     hidden_block_count_z
      - .offset:         92
        .size:           2
        .value_kind:     hidden_group_size_x
      - .offset:         94
        .size:           2
        .value_kind:     hidden_group_size_y
      - .offset:         96
        .size:           2
        .value_kind:     hidden_group_size_z
      - .offset:         98
        .size:           2
        .value_kind:     hidden_remainder_x
      - .offset:         100
        .size:           2
        .value_kind:     hidden_remainder_y
      - .offset:         102
        .size:           2
        .value_kind:     hidden_remainder_z
      - .offset:         120
        .size:           8
        .value_kind:     hidden_global_offset_x
      - .offset:         128
        .size:           8
        .value_kind:     hidden_global_offset_y
      - .offset:         136
        .size:           8
        .value_kind:     hidden_global_offset_z
      - .offset:         144
        .size:           2
        .value_kind:     hidden_grid_dims
    .group_segment_fixed_size: 512
    .kernarg_segment_align: 8
    .kernarg_segment_size: 336
    .language:       OpenCL C
    .language_version:
      - 2
      - 0
    .max_flat_workgroup_size: 512
    .name:           _ZL23rocblas_dot_kernel_inc1ILb0ELi512ELi2ELb0EdPKPKddEviT4_llS4_lliPT5_PT3_
    .private_segment_fixed_size: 0
    .sgpr_count:     24
    .sgpr_spill_count: 0
    .symbol:         _ZL23rocblas_dot_kernel_inc1ILb0ELi512ELi2ELb0EdPKPKddEviT4_llS4_lliPT5_PT3_.kd
    .uniform_work_group_size: 1
    .uses_dynamic_stack: false
    .vgpr_count:     11
    .vgpr_spill_count: 0
    .wavefront_size: 64
  - .args:
      - .offset:         0
        .size:           4
        .value_kind:     by_value
      - .actual_access:  read_only
        .address_space:  global
        .offset:         8
        .size:           8
        .value_kind:     global_buffer
      - .offset:         16
        .size:           8
        .value_kind:     by_value
      - .offset:         24
        .size:           4
        .value_kind:     by_value
      - .offset:         32
        .size:           8
        .value_kind:     by_value
      - .actual_access:  read_only
        .address_space:  global
        .offset:         40
        .size:           8
        .value_kind:     global_buffer
      - .offset:         48
        .size:           8
        .value_kind:     by_value
      - .offset:         56
        .size:           4
        .value_kind:     by_value
      - .offset:         64
        .size:           8
        .value_kind:     by_value
      - .offset:         72
        .size:           4
        .value_kind:     by_value
      - .actual_access:  write_only
        .address_space:  global
        .offset:         80
        .size:           8
        .value_kind:     global_buffer
      - .actual_access:  write_only
        .address_space:  global
        .offset:         88
        .size:           8
        .value_kind:     global_buffer
      - .offset:         96
        .size:           4
        .value_kind:     hidden_block_count_x
      - .offset:         100
        .size:           4
        .value_kind:     hidden_block_count_y
      - .offset:         104
        .size:           4
        .value_kind:     hidden_block_count_z
      - .offset:         108
        .size:           2
        .value_kind:     hidden_group_size_x
      - .offset:         110
        .size:           2
        .value_kind:     hidden_group_size_y
      - .offset:         112
        .size:           2
        .value_kind:     hidden_group_size_z
      - .offset:         114
        .size:           2
        .value_kind:     hidden_remainder_x
      - .offset:         116
        .size:           2
        .value_kind:     hidden_remainder_y
      - .offset:         118
        .size:           2
        .value_kind:     hidden_remainder_z
      - .offset:         136
        .size:           8
        .value_kind:     hidden_global_offset_x
      - .offset:         144
        .size:           8
        .value_kind:     hidden_global_offset_y
      - .offset:         152
        .size:           8
        .value_kind:     hidden_global_offset_z
      - .offset:         160
        .size:           2
        .value_kind:     hidden_grid_dims
    .group_segment_fixed_size: 512
    .kernarg_segment_align: 8
    .kernarg_segment_size: 352
    .language:       OpenCL C
    .language_version:
      - 2
      - 0
    .max_flat_workgroup_size: 512
    .name:           _ZL18rocblas_dot_kernelIiLb0ELi512ELi2ELb0EdPKPKddEviT5_lT_lS4_lS5_liPT6_PT4_
    .private_segment_fixed_size: 0
    .sgpr_count:     28
    .sgpr_spill_count: 0
    .symbol:         _ZL18rocblas_dot_kernelIiLb0ELi512ELi2ELb0EdPKPKddEviT5_lT_lS4_lS5_liPT6_PT4_.kd
    .uniform_work_group_size: 1
    .uses_dynamic_stack: false
    .vgpr_count:     11
    .vgpr_spill_count: 0
    .wavefront_size: 64
  - .args:
      - .offset:         0
        .size:           4
        .value_kind:     by_value
      - .actual_access:  read_only
        .address_space:  global
        .offset:         8
        .size:           8
        .value_kind:     global_buffer
      - .offset:         16
        .size:           8
        .value_kind:     by_value
      - .offset:         24
        .size:           4
        .value_kind:     by_value
      - .offset:         32
        .size:           8
        .value_kind:     by_value
      - .offset:         40
        .size:           4
        .value_kind:     by_value
      - .actual_access:  write_only
        .address_space:  global
        .offset:         48
        .size:           8
        .value_kind:     global_buffer
      - .actual_access:  write_only
        .address_space:  global
        .offset:         56
        .size:           8
        .value_kind:     global_buffer
      - .offset:         64
        .size:           4
        .value_kind:     hidden_block_count_x
      - .offset:         68
        .size:           4
        .value_kind:     hidden_block_count_y
      - .offset:         72
        .size:           4
        .value_kind:     hidden_block_count_z
      - .offset:         76
        .size:           2
        .value_kind:     hidden_group_size_x
      - .offset:         78
        .size:           2
        .value_kind:     hidden_group_size_y
      - .offset:         80
        .size:           2
        .value_kind:     hidden_group_size_z
      - .offset:         82
        .size:           2
        .value_kind:     hidden_remainder_x
      - .offset:         84
        .size:           2
        .value_kind:     hidden_remainder_y
      - .offset:         86
        .size:           2
        .value_kind:     hidden_remainder_z
      - .offset:         104
        .size:           8
        .value_kind:     hidden_global_offset_x
      - .offset:         112
        .size:           8
        .value_kind:     hidden_global_offset_y
      - .offset:         120
        .size:           8
        .value_kind:     hidden_global_offset_z
      - .offset:         128
        .size:           2
        .value_kind:     hidden_grid_dims
    .group_segment_fixed_size: 512
    .kernarg_segment_align: 8
    .kernarg_segment_size: 320
    .language:       OpenCL C
    .language_version:
      - 2
      - 0
    .max_flat_workgroup_size: 512
    .name:           _ZL24rocblas_dot_kernel_magsqIiLb0ELi512ELi2ELb0EdPKPKddEviT5_lT_liPT6_PT4_
    .private_segment_fixed_size: 0
    .sgpr_count:     22
    .sgpr_spill_count: 0
    .symbol:         _ZL24rocblas_dot_kernel_magsqIiLb0ELi512ELi2ELb0EdPKPKddEviT5_lT_liPT6_PT4_.kd
    .uniform_work_group_size: 1
    .uses_dynamic_stack: false
    .vgpr_count:     11
    .vgpr_spill_count: 0
    .wavefront_size: 64
  - .args:
      - .offset:         0
        .size:           4
        .value_kind:     by_value
      - .actual_access:  read_only
        .address_space:  global
        .offset:         8
        .size:           8
        .value_kind:     global_buffer
      - .offset:         16
        .size:           8
        .value_kind:     by_value
      - .offset:         24
        .size:           4
        .value_kind:     by_value
      - .offset:         32
        .size:           8
        .value_kind:     by_value
      - .actual_access:  read_only
        .address_space:  global
        .offset:         40
        .size:           8
        .value_kind:     global_buffer
      - .offset:         48
        .size:           8
        .value_kind:     by_value
      - .offset:         56
        .size:           4
        .value_kind:     by_value
      - .offset:         64
        .size:           8
        .value_kind:     by_value
      - .offset:         72
        .size:           4
        .value_kind:     by_value
      - .actual_access:  write_only
        .address_space:  global
        .offset:         80
        .size:           8
        .value_kind:     global_buffer
    .group_segment_fixed_size: 0
    .kernarg_segment_align: 8
    .kernarg_segment_size: 88
    .language:       OpenCL C
    .language_version:
      - 2
      - 0
    .max_flat_workgroup_size: 128
    .name:           _ZL28rocblas_dot_batched_4_kernelIiLi32ELi4ELb0E19rocblas_complex_numIfES1_PKPKS1_EviT5_lT_lS6_lS7_liPT4_
    .private_segment_fixed_size: 0
    .sgpr_count:     22
    .sgpr_spill_count: 0
    .symbol:         _ZL28rocblas_dot_batched_4_kernelIiLi32ELi4ELb0E19rocblas_complex_numIfES1_PKPKS1_EviT5_lT_lS6_lS7_liPT4_.kd
    .uniform_work_group_size: 1
    .uses_dynamic_stack: false
    .vgpr_count:     17
    .vgpr_spill_count: 0
    .wavefront_size: 64
  - .args:
      - .offset:         0
        .size:           4
        .value_kind:     by_value
      - .actual_access:  read_only
        .address_space:  global
        .offset:         8
        .size:           8
        .value_kind:     global_buffer
      - .offset:         16
        .size:           8
        .value_kind:     by_value
      - .offset:         24
        .size:           4
        .value_kind:     by_value
      - .offset:         32
        .size:           8
        .value_kind:     by_value
      - .actual_access:  read_only
        .address_space:  global
        .offset:         40
        .size:           8
        .value_kind:     global_buffer
      - .offset:         48
        .size:           8
        .value_kind:     by_value
      - .offset:         56
        .size:           4
        .value_kind:     by_value
      - .offset:         64
        .size:           8
        .value_kind:     by_value
      - .offset:         72
        .size:           4
        .value_kind:     by_value
      - .actual_access:  write_only
        .address_space:  global
        .offset:         80
        .size:           8
        .value_kind:     global_buffer
    .group_segment_fixed_size: 0
    .kernarg_segment_align: 8
    .kernarg_segment_size: 88
    .language:       OpenCL C
    .language_version:
      - 2
      - 0
    .max_flat_workgroup_size: 256
    .name:           _ZL28rocblas_dot_batched_4_kernelIiLi64ELi4ELb0E19rocblas_complex_numIfES1_PKPKS1_EviT5_lT_lS6_lS7_liPT4_
    .private_segment_fixed_size: 0
    .sgpr_count:     24
    .sgpr_spill_count: 0
    .symbol:         _ZL28rocblas_dot_batched_4_kernelIiLi64ELi4ELb0E19rocblas_complex_numIfES1_PKPKS1_EviT5_lT_lS6_lS7_liPT4_.kd
    .uniform_work_group_size: 1
    .uses_dynamic_stack: false
    .vgpr_count:     16
    .vgpr_spill_count: 0
    .wavefront_size: 64
  - .args:
      - .offset:         0
        .size:           4
        .value_kind:     by_value
      - .actual_access:  read_only
        .address_space:  global
        .offset:         8
        .size:           8
        .value_kind:     global_buffer
      - .offset:         16
        .size:           8
        .value_kind:     by_value
      - .offset:         24
        .size:           8
        .value_kind:     by_value
      - .actual_access:  read_only
        .address_space:  global
        .offset:         32
        .size:           8
        .value_kind:     global_buffer
      - .offset:         40
        .size:           8
        .value_kind:     by_value
      - .offset:         48
        .size:           8
        .value_kind:     by_value
      - .offset:         56
        .size:           4
        .value_kind:     by_value
      - .actual_access:  read_only
        .address_space:  global
        .offset:         64
        .size:           8
        .value_kind:     global_buffer
      - .actual_access:  write_only
        .address_space:  global
        .offset:         72
        .size:           8
        .value_kind:     global_buffer
    .group_segment_fixed_size: 512
    .kernarg_segment_align: 8
    .kernarg_segment_size: 80
    .language:       OpenCL C
    .language_version:
      - 2
      - 0
    .max_flat_workgroup_size: 1024
    .name:           _ZL26rocblas_dot_kernel_inc1by2ILb1ELi1024ELi32ELb0E19rocblas_complex_numIfEPKPKS1_S1_EviT4_llS6_lliPT5_PT3_
    .private_segment_fixed_size: 0
    .sgpr_count:     24
    .sgpr_spill_count: 0
    .symbol:         _ZL26rocblas_dot_kernel_inc1by2ILb1ELi1024ELi32ELb0E19rocblas_complex_numIfEPKPKS1_S1_EviT4_llS6_lliPT5_PT3_.kd
    .uniform_work_group_size: 1
    .uses_dynamic_stack: false
    .vgpr_count:     13
    .vgpr_spill_count: 0
    .wavefront_size: 64
  - .args:
      - .offset:         0
        .size:           4
        .value_kind:     by_value
      - .actual_access:  read_only
        .address_space:  global
        .offset:         8
        .size:           8
        .value_kind:     global_buffer
      - .offset:         16
        .size:           8
        .value_kind:     by_value
      - .offset:         24
        .size:           4
        .value_kind:     by_value
      - .offset:         32
        .size:           8
        .value_kind:     by_value
      - .actual_access:  read_only
        .address_space:  global
        .offset:         40
        .size:           8
        .value_kind:     global_buffer
      - .offset:         48
        .size:           8
        .value_kind:     by_value
      - .offset:         56
        .size:           4
        .value_kind:     by_value
      - .offset:         64
        .size:           8
        .value_kind:     by_value
      - .offset:         72
        .size:           4
        .value_kind:     by_value
      - .actual_access:  read_only
        .address_space:  global
        .offset:         80
        .size:           8
        .value_kind:     global_buffer
      - .actual_access:  write_only
        .address_space:  global
        .offset:         88
        .size:           8
        .value_kind:     global_buffer
      - .offset:         96
        .size:           4
        .value_kind:     hidden_block_count_x
      - .offset:         100
        .size:           4
        .value_kind:     hidden_block_count_y
      - .offset:         104
        .size:           4
        .value_kind:     hidden_block_count_z
      - .offset:         108
        .size:           2
        .value_kind:     hidden_group_size_x
      - .offset:         110
        .size:           2
        .value_kind:     hidden_group_size_y
      - .offset:         112
        .size:           2
        .value_kind:     hidden_group_size_z
      - .offset:         114
        .size:           2
        .value_kind:     hidden_remainder_x
      - .offset:         116
        .size:           2
        .value_kind:     hidden_remainder_y
      - .offset:         118
        .size:           2
        .value_kind:     hidden_remainder_z
      - .offset:         136
        .size:           8
        .value_kind:     hidden_global_offset_x
      - .offset:         144
        .size:           8
        .value_kind:     hidden_global_offset_y
      - .offset:         152
        .size:           8
        .value_kind:     hidden_global_offset_z
      - .offset:         160
        .size:           2
        .value_kind:     hidden_grid_dims
    .group_segment_fixed_size: 512
    .kernarg_segment_align: 8
    .kernarg_segment_size: 352
    .language:       OpenCL C
    .language_version:
      - 2
      - 0
    .max_flat_workgroup_size: 1024
    .name:           _ZL18rocblas_dot_kernelIiLb1ELi1024ELi32ELb0E19rocblas_complex_numIfEPKPKS1_S1_EviT5_lT_lS6_lS7_liPT6_PT4_
    .private_segment_fixed_size: 0
    .sgpr_count:     28
    .sgpr_spill_count: 0
    .symbol:         _ZL18rocblas_dot_kernelIiLb1ELi1024ELi32ELb0E19rocblas_complex_numIfEPKPKS1_S1_EviT5_lT_lS6_lS7_liPT6_PT4_.kd
    .uniform_work_group_size: 1
    .uses_dynamic_stack: false
    .vgpr_count:     15
    .vgpr_spill_count: 0
    .wavefront_size: 64
  - .args:
      - .offset:         0
        .size:           4
        .value_kind:     by_value
      - .actual_access:  read_only
        .address_space:  global
        .offset:         8
        .size:           8
        .value_kind:     global_buffer
      - .offset:         16
        .size:           8
        .value_kind:     by_value
      - .offset:         24
        .size:           4
        .value_kind:     by_value
      - .offset:         32
        .size:           8
        .value_kind:     by_value
      - .offset:         40
        .size:           4
        .value_kind:     by_value
      - .actual_access:  read_only
        .address_space:  global
        .offset:         48
        .size:           8
        .value_kind:     global_buffer
      - .actual_access:  write_only
        .address_space:  global
        .offset:         56
        .size:           8
        .value_kind:     global_buffer
      - .offset:         64
        .size:           4
        .value_kind:     hidden_block_count_x
      - .offset:         68
        .size:           4
        .value_kind:     hidden_block_count_y
      - .offset:         72
        .size:           4
        .value_kind:     hidden_block_count_z
      - .offset:         76
        .size:           2
        .value_kind:     hidden_group_size_x
      - .offset:         78
        .size:           2
        .value_kind:     hidden_group_size_y
      - .offset:         80
        .size:           2
        .value_kind:     hidden_group_size_z
      - .offset:         82
        .size:           2
        .value_kind:     hidden_remainder_x
      - .offset:         84
        .size:           2
        .value_kind:     hidden_remainder_y
      - .offset:         86
        .size:           2
        .value_kind:     hidden_remainder_z
      - .offset:         104
        .size:           8
        .value_kind:     hidden_global_offset_x
      - .offset:         112
        .size:           8
        .value_kind:     hidden_global_offset_y
      - .offset:         120
        .size:           8
        .value_kind:     hidden_global_offset_z
      - .offset:         128
        .size:           2
        .value_kind:     hidden_grid_dims
    .group_segment_fixed_size: 512
    .kernarg_segment_align: 8
    .kernarg_segment_size: 320
    .language:       OpenCL C
    .language_version:
      - 2
      - 0
    .max_flat_workgroup_size: 1024
    .name:           _ZL24rocblas_dot_kernel_magsqIiLb1ELi1024ELi32ELb0E19rocblas_complex_numIfEPKPKS1_S1_EviT5_lT_liPT6_PT4_
    .private_segment_fixed_size: 0
    .sgpr_count:     24
    .sgpr_spill_count: 0
    .symbol:         _ZL24rocblas_dot_kernel_magsqIiLb1ELi1024ELi32ELb0E19rocblas_complex_numIfEPKPKS1_S1_EviT5_lT_liPT6_PT4_.kd
    .uniform_work_group_size: 1
    .uses_dynamic_stack: false
    .vgpr_count:     12
    .vgpr_spill_count: 0
    .wavefront_size: 64
  - .args:
      - .offset:         0
        .size:           4
        .value_kind:     by_value
      - .actual_access:  read_only
        .address_space:  global
        .offset:         8
        .size:           8
        .value_kind:     global_buffer
      - .offset:         16
        .size:           8
        .value_kind:     by_value
      - .offset:         24
        .size:           4
        .value_kind:     by_value
      - .offset:         32
        .size:           8
        .value_kind:     by_value
      - .actual_access:  read_only
        .address_space:  global
        .offset:         40
        .size:           8
        .value_kind:     global_buffer
      - .offset:         48
        .size:           8
        .value_kind:     by_value
      - .offset:         56
        .size:           4
        .value_kind:     by_value
      - .offset:         64
        .size:           8
        .value_kind:     by_value
      - .actual_access:  read_only
        .address_space:  global
        .offset:         72
        .size:           8
        .value_kind:     global_buffer
      - .actual_access:  read_only
        .address_space:  global
        .offset:         80
        .size:           8
        .value_kind:     global_buffer
    .group_segment_fixed_size: 0
    .kernarg_segment_align: 8
    .kernarg_segment_size: 88
    .language:       OpenCL C
    .language_version:
      - 2
      - 0
    .max_flat_workgroup_size: 1024
    .name:           _ZL38rocblas_dot_kernel_gfx942_float_doubleIiLi1024E19rocblas_complex_numIfEPKPKS1_S1_EviT2_lT_lS6_lS7_lPT3_PT1_
    .private_segment_fixed_size: 0
    .sgpr_count:     4
    .sgpr_spill_count: 0
    .symbol:         _ZL38rocblas_dot_kernel_gfx942_float_doubleIiLi1024E19rocblas_complex_numIfEPKPKS1_S1_EviT2_lT_lS6_lS7_lPT3_PT1_.kd
    .uniform_work_group_size: 1
    .uses_dynamic_stack: false
    .vgpr_count:     0
    .vgpr_spill_count: 0
    .wavefront_size: 64
  - .args:
      - .offset:         0
        .size:           4
        .value_kind:     by_value
      - .actual_access:  read_only
        .address_space:  global
        .offset:         8
        .size:           8
        .value_kind:     global_buffer
      - .offset:         16
        .size:           8
        .value_kind:     by_value
      - .offset:         24
        .size:           8
        .value_kind:     by_value
      - .actual_access:  read_only
        .address_space:  global
        .offset:         32
        .size:           8
        .value_kind:     global_buffer
      - .offset:         40
        .size:           8
        .value_kind:     by_value
      - .offset:         48
        .size:           8
        .value_kind:     by_value
      - .offset:         56
        .size:           4
        .value_kind:     by_value
      - .actual_access:  write_only
        .address_space:  global
        .offset:         64
        .size:           8
        .value_kind:     global_buffer
      - .actual_access:  write_only
        .address_space:  global
        .offset:         72
        .size:           8
        .value_kind:     global_buffer
      - .offset:         80
        .size:           4
        .value_kind:     hidden_block_count_x
      - .offset:         84
        .size:           4
        .value_kind:     hidden_block_count_y
      - .offset:         88
        .size:           4
        .value_kind:     hidden_block_count_z
      - .offset:         92
        .size:           2
        .value_kind:     hidden_group_size_x
      - .offset:         94
        .size:           2
        .value_kind:     hidden_group_size_y
      - .offset:         96
        .size:           2
        .value_kind:     hidden_group_size_z
      - .offset:         98
        .size:           2
        .value_kind:     hidden_remainder_x
      - .offset:         100
        .size:           2
        .value_kind:     hidden_remainder_y
      - .offset:         102
        .size:           2
        .value_kind:     hidden_remainder_z
      - .offset:         120
        .size:           8
        .value_kind:     hidden_global_offset_x
      - .offset:         128
        .size:           8
        .value_kind:     hidden_global_offset_y
      - .offset:         136
        .size:           8
        .value_kind:     hidden_global_offset_z
      - .offset:         144
        .size:           2
        .value_kind:     hidden_grid_dims
    .group_segment_fixed_size: 512
    .kernarg_segment_align: 8
    .kernarg_segment_size: 336
    .language:       OpenCL C
    .language_version:
      - 2
      - 0
    .max_flat_workgroup_size: 512
    .name:           _ZL23rocblas_dot_kernel_inc1ILb0ELi512ELi2ELb0E19rocblas_complex_numIfEPKPKS1_S1_EviT4_llS6_lliPT5_PT3_
    .private_segment_fixed_size: 0
    .sgpr_count:     24
    .sgpr_spill_count: 0
    .symbol:         _ZL23rocblas_dot_kernel_inc1ILb0ELi512ELi2ELb0E19rocblas_complex_numIfEPKPKS1_S1_EviT4_llS6_lliPT5_PT3_.kd
    .uniform_work_group_size: 1
    .uses_dynamic_stack: false
    .vgpr_count:     11
    .vgpr_spill_count: 0
    .wavefront_size: 64
  - .args:
      - .offset:         0
        .size:           4
        .value_kind:     by_value
      - .actual_access:  read_only
        .address_space:  global
        .offset:         8
        .size:           8
        .value_kind:     global_buffer
      - .offset:         16
        .size:           8
        .value_kind:     by_value
      - .offset:         24
        .size:           4
        .value_kind:     by_value
      - .offset:         32
        .size:           8
        .value_kind:     by_value
      - .actual_access:  read_only
        .address_space:  global
        .offset:         40
        .size:           8
        .value_kind:     global_buffer
      - .offset:         48
        .size:           8
        .value_kind:     by_value
      - .offset:         56
        .size:           4
        .value_kind:     by_value
      - .offset:         64
        .size:           8
        .value_kind:     by_value
      - .offset:         72
        .size:           4
        .value_kind:     by_value
      - .actual_access:  write_only
        .address_space:  global
        .offset:         80
        .size:           8
        .value_kind:     global_buffer
      - .actual_access:  write_only
        .address_space:  global
        .offset:         88
        .size:           8
        .value_kind:     global_buffer
      - .offset:         96
        .size:           4
        .value_kind:     hidden_block_count_x
      - .offset:         100
        .size:           4
        .value_kind:     hidden_block_count_y
      - .offset:         104
        .size:           4
        .value_kind:     hidden_block_count_z
      - .offset:         108
        .size:           2
        .value_kind:     hidden_group_size_x
      - .offset:         110
        .size:           2
        .value_kind:     hidden_group_size_y
      - .offset:         112
        .size:           2
        .value_kind:     hidden_group_size_z
      - .offset:         114
        .size:           2
        .value_kind:     hidden_remainder_x
      - .offset:         116
        .size:           2
        .value_kind:     hidden_remainder_y
      - .offset:         118
        .size:           2
        .value_kind:     hidden_remainder_z
      - .offset:         136
        .size:           8
        .value_kind:     hidden_global_offset_x
      - .offset:         144
        .size:           8
        .value_kind:     hidden_global_offset_y
      - .offset:         152
        .size:           8
        .value_kind:     hidden_global_offset_z
      - .offset:         160
        .size:           2
        .value_kind:     hidden_grid_dims
    .group_segment_fixed_size: 512
    .kernarg_segment_align: 8
    .kernarg_segment_size: 352
    .language:       OpenCL C
    .language_version:
      - 2
      - 0
    .max_flat_workgroup_size: 512
    .name:           _ZL18rocblas_dot_kernelIiLb0ELi512ELi2ELb0E19rocblas_complex_numIfEPKPKS1_S1_EviT5_lT_lS6_lS7_liPT6_PT4_
    .private_segment_fixed_size: 0
    .sgpr_count:     28
    .sgpr_spill_count: 0
    .symbol:         _ZL18rocblas_dot_kernelIiLb0ELi512ELi2ELb0E19rocblas_complex_numIfEPKPKS1_S1_EviT5_lT_lS6_lS7_liPT6_PT4_.kd
    .uniform_work_group_size: 1
    .uses_dynamic_stack: false
    .vgpr_count:     11
    .vgpr_spill_count: 0
    .wavefront_size: 64
  - .args:
      - .offset:         0
        .size:           4
        .value_kind:     by_value
      - .actual_access:  read_only
        .address_space:  global
        .offset:         8
        .size:           8
        .value_kind:     global_buffer
      - .offset:         16
        .size:           8
        .value_kind:     by_value
      - .offset:         24
        .size:           4
        .value_kind:     by_value
      - .offset:         32
        .size:           8
        .value_kind:     by_value
      - .offset:         40
        .size:           4
        .value_kind:     by_value
      - .actual_access:  write_only
        .address_space:  global
        .offset:         48
        .size:           8
        .value_kind:     global_buffer
      - .actual_access:  write_only
        .address_space:  global
        .offset:         56
        .size:           8
        .value_kind:     global_buffer
      - .offset:         64
        .size:           4
        .value_kind:     hidden_block_count_x
      - .offset:         68
        .size:           4
        .value_kind:     hidden_block_count_y
      - .offset:         72
        .size:           4
        .value_kind:     hidden_block_count_z
      - .offset:         76
        .size:           2
        .value_kind:     hidden_group_size_x
      - .offset:         78
        .size:           2
        .value_kind:     hidden_group_size_y
      - .offset:         80
        .size:           2
        .value_kind:     hidden_group_size_z
      - .offset:         82
        .size:           2
        .value_kind:     hidden_remainder_x
      - .offset:         84
        .size:           2
        .value_kind:     hidden_remainder_y
      - .offset:         86
        .size:           2
        .value_kind:     hidden_remainder_z
      - .offset:         104
        .size:           8
        .value_kind:     hidden_global_offset_x
      - .offset:         112
        .size:           8
        .value_kind:     hidden_global_offset_y
      - .offset:         120
        .size:           8
        .value_kind:     hidden_global_offset_z
      - .offset:         128
        .size:           2
        .value_kind:     hidden_grid_dims
    .group_segment_fixed_size: 512
    .kernarg_segment_align: 8
    .kernarg_segment_size: 320
    .language:       OpenCL C
    .language_version:
      - 2
      - 0
    .max_flat_workgroup_size: 512
    .name:           _ZL24rocblas_dot_kernel_magsqIiLb0ELi512ELi2ELb0E19rocblas_complex_numIfEPKPKS1_S1_EviT5_lT_liPT6_PT4_
    .private_segment_fixed_size: 0
    .sgpr_count:     22
    .sgpr_spill_count: 0
    .symbol:         _ZL24rocblas_dot_kernel_magsqIiLb0ELi512ELi2ELb0E19rocblas_complex_numIfEPKPKS1_S1_EviT5_lT_liPT6_PT4_.kd
    .uniform_work_group_size: 1
    .uses_dynamic_stack: false
    .vgpr_count:     11
    .vgpr_spill_count: 0
    .wavefront_size: 64
  - .args:
      - .offset:         0
        .size:           4
        .value_kind:     by_value
      - .actual_access:  read_only
        .address_space:  global
        .offset:         8
        .size:           8
        .value_kind:     global_buffer
      - .offset:         16
        .size:           8
        .value_kind:     by_value
      - .offset:         24
        .size:           4
        .value_kind:     by_value
      - .offset:         32
        .size:           8
        .value_kind:     by_value
      - .actual_access:  read_only
        .address_space:  global
        .offset:         40
        .size:           8
        .value_kind:     global_buffer
      - .offset:         48
        .size:           8
        .value_kind:     by_value
      - .offset:         56
        .size:           4
        .value_kind:     by_value
      - .offset:         64
        .size:           8
        .value_kind:     by_value
      - .offset:         72
        .size:           4
        .value_kind:     by_value
      - .actual_access:  write_only
        .address_space:  global
        .offset:         80
        .size:           8
        .value_kind:     global_buffer
    .group_segment_fixed_size: 0
    .kernarg_segment_align: 8
    .kernarg_segment_size: 88
    .language:       OpenCL C
    .language_version:
      - 2
      - 0
    .max_flat_workgroup_size: 128
    .name:           _ZL28rocblas_dot_batched_4_kernelIiLi32ELi4ELb0E19rocblas_complex_numIdES1_PKPKS1_EviT5_lT_lS6_lS7_liPT4_
    .private_segment_fixed_size: 0
    .sgpr_count:     24
    .sgpr_spill_count: 0
    .symbol:         _ZL28rocblas_dot_batched_4_kernelIiLi32ELi4ELb0E19rocblas_complex_numIdES1_PKPKS1_EviT5_lT_lS6_lS7_liPT4_.kd
    .uniform_work_group_size: 1
    .uses_dynamic_stack: false
    .vgpr_count:     22
    .vgpr_spill_count: 0
    .wavefront_size: 64
  - .args:
      - .offset:         0
        .size:           4
        .value_kind:     by_value
      - .actual_access:  read_only
        .address_space:  global
        .offset:         8
        .size:           8
        .value_kind:     global_buffer
      - .offset:         16
        .size:           8
        .value_kind:     by_value
      - .offset:         24
        .size:           4
        .value_kind:     by_value
      - .offset:         32
        .size:           8
        .value_kind:     by_value
      - .actual_access:  read_only
        .address_space:  global
        .offset:         40
        .size:           8
        .value_kind:     global_buffer
      - .offset:         48
        .size:           8
        .value_kind:     by_value
      - .offset:         56
        .size:           4
        .value_kind:     by_value
      - .offset:         64
        .size:           8
        .value_kind:     by_value
      - .offset:         72
        .size:           4
        .value_kind:     by_value
      - .actual_access:  write_only
        .address_space:  global
        .offset:         80
        .size:           8
        .value_kind:     global_buffer
    .group_segment_fixed_size: 0
    .kernarg_segment_align: 8
    .kernarg_segment_size: 88
    .language:       OpenCL C
    .language_version:
      - 2
      - 0
    .max_flat_workgroup_size: 256
    .name:           _ZL28rocblas_dot_batched_4_kernelIiLi64ELi4ELb0E19rocblas_complex_numIdES1_PKPKS1_EviT5_lT_lS6_lS7_liPT4_
    .private_segment_fixed_size: 0
    .sgpr_count:     24
    .sgpr_spill_count: 0
    .symbol:         _ZL28rocblas_dot_batched_4_kernelIiLi64ELi4ELb0E19rocblas_complex_numIdES1_PKPKS1_EviT5_lT_lS6_lS7_liPT4_.kd
    .uniform_work_group_size: 1
    .uses_dynamic_stack: false
    .vgpr_count:     22
    .vgpr_spill_count: 0
    .wavefront_size: 64
  - .args:
      - .offset:         0
        .size:           4
        .value_kind:     by_value
      - .actual_access:  read_only
        .address_space:  global
        .offset:         8
        .size:           8
        .value_kind:     global_buffer
      - .offset:         16
        .size:           8
        .value_kind:     by_value
      - .offset:         24
        .size:           8
        .value_kind:     by_value
      - .actual_access:  read_only
        .address_space:  global
        .offset:         32
        .size:           8
        .value_kind:     global_buffer
      - .offset:         40
        .size:           8
        .value_kind:     by_value
      - .offset:         48
        .size:           8
        .value_kind:     by_value
      - .offset:         56
        .size:           4
        .value_kind:     by_value
      - .actual_access:  read_only
        .address_space:  global
        .offset:         64
        .size:           8
        .value_kind:     global_buffer
      - .actual_access:  write_only
        .address_space:  global
        .offset:         72
        .size:           8
        .value_kind:     global_buffer
    .group_segment_fixed_size: 1024
    .kernarg_segment_align: 8
    .kernarg_segment_size: 80
    .language:       OpenCL C
    .language_version:
      - 2
      - 0
    .max_flat_workgroup_size: 1024
    .name:           _ZL26rocblas_dot_kernel_inc1by2ILb1ELi1024ELi32ELb0E19rocblas_complex_numIdEPKPKS1_S1_EviT4_llS6_lliPT5_PT3_
    .private_segment_fixed_size: 0
    .sgpr_count:     24
    .sgpr_spill_count: 0
    .symbol:         _ZL26rocblas_dot_kernel_inc1by2ILb1ELi1024ELi32ELb0E19rocblas_complex_numIdEPKPKS1_S1_EviT4_llS6_lliPT5_PT3_.kd
    .uniform_work_group_size: 1
    .uses_dynamic_stack: false
    .vgpr_count:     20
    .vgpr_spill_count: 0
    .wavefront_size: 64
  - .args:
      - .offset:         0
        .size:           4
        .value_kind:     by_value
      - .actual_access:  read_only
        .address_space:  global
        .offset:         8
        .size:           8
        .value_kind:     global_buffer
      - .offset:         16
        .size:           8
        .value_kind:     by_value
      - .offset:         24
        .size:           4
        .value_kind:     by_value
      - .offset:         32
        .size:           8
        .value_kind:     by_value
      - .actual_access:  read_only
        .address_space:  global
        .offset:         40
        .size:           8
        .value_kind:     global_buffer
      - .offset:         48
        .size:           8
        .value_kind:     by_value
      - .offset:         56
        .size:           4
        .value_kind:     by_value
      - .offset:         64
        .size:           8
        .value_kind:     by_value
      - .offset:         72
        .size:           4
        .value_kind:     by_value
      - .actual_access:  read_only
        .address_space:  global
        .offset:         80
        .size:           8
        .value_kind:     global_buffer
      - .actual_access:  write_only
        .address_space:  global
        .offset:         88
        .size:           8
        .value_kind:     global_buffer
      - .offset:         96
        .size:           4
        .value_kind:     hidden_block_count_x
      - .offset:         100
        .size:           4
        .value_kind:     hidden_block_count_y
      - .offset:         104
        .size:           4
        .value_kind:     hidden_block_count_z
      - .offset:         108
        .size:           2
        .value_kind:     hidden_group_size_x
      - .offset:         110
        .size:           2
        .value_kind:     hidden_group_size_y
      - .offset:         112
        .size:           2
        .value_kind:     hidden_group_size_z
      - .offset:         114
        .size:           2
        .value_kind:     hidden_remainder_x
      - .offset:         116
        .size:           2
        .value_kind:     hidden_remainder_y
      - .offset:         118
        .size:           2
        .value_kind:     hidden_remainder_z
      - .offset:         136
        .size:           8
        .value_kind:     hidden_global_offset_x
      - .offset:         144
        .size:           8
        .value_kind:     hidden_global_offset_y
      - .offset:         152
        .size:           8
        .value_kind:     hidden_global_offset_z
      - .offset:         160
        .size:           2
        .value_kind:     hidden_grid_dims
    .group_segment_fixed_size: 1024
    .kernarg_segment_align: 8
    .kernarg_segment_size: 352
    .language:       OpenCL C
    .language_version:
      - 2
      - 0
    .max_flat_workgroup_size: 1024
    .name:           _ZL18rocblas_dot_kernelIiLb1ELi1024ELi32ELb0E19rocblas_complex_numIdEPKPKS1_S1_EviT5_lT_lS6_lS7_liPT6_PT4_
    .private_segment_fixed_size: 0
    .sgpr_count:     28
    .sgpr_spill_count: 0
    .symbol:         _ZL18rocblas_dot_kernelIiLb1ELi1024ELi32ELb0E19rocblas_complex_numIdEPKPKS1_S1_EviT5_lT_lS6_lS7_liPT6_PT4_.kd
    .uniform_work_group_size: 1
    .uses_dynamic_stack: false
    .vgpr_count:     22
    .vgpr_spill_count: 0
    .wavefront_size: 64
  - .args:
      - .offset:         0
        .size:           4
        .value_kind:     by_value
      - .actual_access:  read_only
        .address_space:  global
        .offset:         8
        .size:           8
        .value_kind:     global_buffer
      - .offset:         16
        .size:           8
        .value_kind:     by_value
      - .offset:         24
        .size:           4
        .value_kind:     by_value
      - .offset:         32
        .size:           8
        .value_kind:     by_value
      - .offset:         40
        .size:           4
        .value_kind:     by_value
      - .actual_access:  read_only
        .address_space:  global
        .offset:         48
        .size:           8
        .value_kind:     global_buffer
      - .actual_access:  write_only
        .address_space:  global
        .offset:         56
        .size:           8
        .value_kind:     global_buffer
      - .offset:         64
        .size:           4
        .value_kind:     hidden_block_count_x
      - .offset:         68
        .size:           4
        .value_kind:     hidden_block_count_y
      - .offset:         72
        .size:           4
        .value_kind:     hidden_block_count_z
      - .offset:         76
        .size:           2
        .value_kind:     hidden_group_size_x
      - .offset:         78
        .size:           2
        .value_kind:     hidden_group_size_y
      - .offset:         80
        .size:           2
        .value_kind:     hidden_group_size_z
      - .offset:         82
        .size:           2
        .value_kind:     hidden_remainder_x
      - .offset:         84
        .size:           2
        .value_kind:     hidden_remainder_y
      - .offset:         86
        .size:           2
        .value_kind:     hidden_remainder_z
      - .offset:         104
        .size:           8
        .value_kind:     hidden_global_offset_x
      - .offset:         112
        .size:           8
        .value_kind:     hidden_global_offset_y
      - .offset:         120
        .size:           8
        .value_kind:     hidden_global_offset_z
      - .offset:         128
        .size:           2
        .value_kind:     hidden_grid_dims
    .group_segment_fixed_size: 1024
    .kernarg_segment_align: 8
    .kernarg_segment_size: 320
    .language:       OpenCL C
    .language_version:
      - 2
      - 0
    .max_flat_workgroup_size: 1024
    .name:           _ZL24rocblas_dot_kernel_magsqIiLb1ELi1024ELi32ELb0E19rocblas_complex_numIdEPKPKS1_S1_EviT5_lT_liPT6_PT4_
    .private_segment_fixed_size: 0
    .sgpr_count:     24
    .sgpr_spill_count: 0
    .symbol:         _ZL24rocblas_dot_kernel_magsqIiLb1ELi1024ELi32ELb0E19rocblas_complex_numIdEPKPKS1_S1_EviT5_lT_liPT6_PT4_.kd
    .uniform_work_group_size: 1
    .uses_dynamic_stack: false
    .vgpr_count:     16
    .vgpr_spill_count: 0
    .wavefront_size: 64
  - .args:
      - .offset:         0
        .size:           4
        .value_kind:     by_value
      - .actual_access:  read_only
        .address_space:  global
        .offset:         8
        .size:           8
        .value_kind:     global_buffer
      - .offset:         16
        .size:           8
        .value_kind:     by_value
      - .offset:         24
        .size:           4
        .value_kind:     by_value
      - .offset:         32
        .size:           8
        .value_kind:     by_value
      - .actual_access:  read_only
        .address_space:  global
        .offset:         40
        .size:           8
        .value_kind:     global_buffer
      - .offset:         48
        .size:           8
        .value_kind:     by_value
      - .offset:         56
        .size:           4
        .value_kind:     by_value
      - .offset:         64
        .size:           8
        .value_kind:     by_value
      - .actual_access:  read_only
        .address_space:  global
        .offset:         72
        .size:           8
        .value_kind:     global_buffer
      - .actual_access:  read_only
        .address_space:  global
        .offset:         80
        .size:           8
        .value_kind:     global_buffer
    .group_segment_fixed_size: 0
    .kernarg_segment_align: 8
    .kernarg_segment_size: 88
    .language:       OpenCL C
    .language_version:
      - 2
      - 0
    .max_flat_workgroup_size: 1024
    .name:           _ZL38rocblas_dot_kernel_gfx942_float_doubleIiLi1024E19rocblas_complex_numIdEPKPKS1_S1_EviT2_lT_lS6_lS7_lPT3_PT1_
    .private_segment_fixed_size: 0
    .sgpr_count:     4
    .sgpr_spill_count: 0
    .symbol:         _ZL38rocblas_dot_kernel_gfx942_float_doubleIiLi1024E19rocblas_complex_numIdEPKPKS1_S1_EviT2_lT_lS6_lS7_lPT3_PT1_.kd
    .uniform_work_group_size: 1
    .uses_dynamic_stack: false
    .vgpr_count:     0
    .vgpr_spill_count: 0
    .wavefront_size: 64
  - .args:
      - .offset:         0
        .size:           4
        .value_kind:     by_value
      - .actual_access:  read_only
        .address_space:  global
        .offset:         8
        .size:           8
        .value_kind:     global_buffer
      - .offset:         16
        .size:           8
        .value_kind:     by_value
      - .offset:         24
        .size:           8
        .value_kind:     by_value
      - .actual_access:  read_only
        .address_space:  global
        .offset:         32
        .size:           8
        .value_kind:     global_buffer
      - .offset:         40
        .size:           8
        .value_kind:     by_value
      - .offset:         48
        .size:           8
        .value_kind:     by_value
      - .offset:         56
        .size:           4
        .value_kind:     by_value
      - .actual_access:  write_only
        .address_space:  global
        .offset:         64
        .size:           8
        .value_kind:     global_buffer
      - .actual_access:  write_only
        .address_space:  global
        .offset:         72
        .size:           8
        .value_kind:     global_buffer
      - .offset:         80
        .size:           4
        .value_kind:     hidden_block_count_x
      - .offset:         84
        .size:           4
        .value_kind:     hidden_block_count_y
      - .offset:         88
        .size:           4
        .value_kind:     hidden_block_count_z
      - .offset:         92
        .size:           2
        .value_kind:     hidden_group_size_x
      - .offset:         94
        .size:           2
        .value_kind:     hidden_group_size_y
      - .offset:         96
        .size:           2
        .value_kind:     hidden_group_size_z
      - .offset:         98
        .size:           2
        .value_kind:     hidden_remainder_x
      - .offset:         100
        .size:           2
        .value_kind:     hidden_remainder_y
      - .offset:         102
        .size:           2
        .value_kind:     hidden_remainder_z
      - .offset:         120
        .size:           8
        .value_kind:     hidden_global_offset_x
      - .offset:         128
        .size:           8
        .value_kind:     hidden_global_offset_y
      - .offset:         136
        .size:           8
        .value_kind:     hidden_global_offset_z
      - .offset:         144
        .size:           2
        .value_kind:     hidden_grid_dims
    .group_segment_fixed_size: 1024
    .kernarg_segment_align: 8
    .kernarg_segment_size: 336
    .language:       OpenCL C
    .language_version:
      - 2
      - 0
    .max_flat_workgroup_size: 512
    .name:           _ZL23rocblas_dot_kernel_inc1ILb0ELi512ELi2ELb0E19rocblas_complex_numIdEPKPKS1_S1_EviT4_llS6_lliPT5_PT3_
    .private_segment_fixed_size: 0
    .sgpr_count:     24
    .sgpr_spill_count: 0
    .symbol:         _ZL23rocblas_dot_kernel_inc1ILb0ELi512ELi2ELb0E19rocblas_complex_numIdEPKPKS1_S1_EviT4_llS6_lliPT5_PT3_.kd
    .uniform_work_group_size: 1
    .uses_dynamic_stack: false
    .vgpr_count:     15
    .vgpr_spill_count: 0
    .wavefront_size: 64
  - .args:
      - .offset:         0
        .size:           4
        .value_kind:     by_value
      - .actual_access:  read_only
        .address_space:  global
        .offset:         8
        .size:           8
        .value_kind:     global_buffer
      - .offset:         16
        .size:           8
        .value_kind:     by_value
      - .offset:         24
        .size:           4
        .value_kind:     by_value
      - .offset:         32
        .size:           8
        .value_kind:     by_value
      - .actual_access:  read_only
        .address_space:  global
        .offset:         40
        .size:           8
        .value_kind:     global_buffer
      - .offset:         48
        .size:           8
        .value_kind:     by_value
      - .offset:         56
        .size:           4
        .value_kind:     by_value
      - .offset:         64
        .size:           8
        .value_kind:     by_value
      - .offset:         72
        .size:           4
        .value_kind:     by_value
      - .actual_access:  write_only
        .address_space:  global
        .offset:         80
        .size:           8
        .value_kind:     global_buffer
      - .actual_access:  write_only
        .address_space:  global
        .offset:         88
        .size:           8
        .value_kind:     global_buffer
      - .offset:         96
        .size:           4
        .value_kind:     hidden_block_count_x
      - .offset:         100
        .size:           4
        .value_kind:     hidden_block_count_y
      - .offset:         104
        .size:           4
        .value_kind:     hidden_block_count_z
      - .offset:         108
        .size:           2
        .value_kind:     hidden_group_size_x
      - .offset:         110
        .size:           2
        .value_kind:     hidden_group_size_y
      - .offset:         112
        .size:           2
        .value_kind:     hidden_group_size_z
      - .offset:         114
        .size:           2
        .value_kind:     hidden_remainder_x
      - .offset:         116
        .size:           2
        .value_kind:     hidden_remainder_y
      - .offset:         118
        .size:           2
        .value_kind:     hidden_remainder_z
      - .offset:         136
        .size:           8
        .value_kind:     hidden_global_offset_x
      - .offset:         144
        .size:           8
        .value_kind:     hidden_global_offset_y
      - .offset:         152
        .size:           8
        .value_kind:     hidden_global_offset_z
      - .offset:         160
        .size:           2
        .value_kind:     hidden_grid_dims
    .group_segment_fixed_size: 1024
    .kernarg_segment_align: 8
    .kernarg_segment_size: 352
    .language:       OpenCL C
    .language_version:
      - 2
      - 0
    .max_flat_workgroup_size: 512
    .name:           _ZL18rocblas_dot_kernelIiLb0ELi512ELi2ELb0E19rocblas_complex_numIdEPKPKS1_S1_EviT5_lT_lS6_lS7_liPT6_PT4_
    .private_segment_fixed_size: 0
    .sgpr_count:     30
    .sgpr_spill_count: 0
    .symbol:         _ZL18rocblas_dot_kernelIiLb0ELi512ELi2ELb0E19rocblas_complex_numIdEPKPKS1_S1_EviT5_lT_lS6_lS7_liPT6_PT4_.kd
    .uniform_work_group_size: 1
    .uses_dynamic_stack: false
    .vgpr_count:     15
    .vgpr_spill_count: 0
    .wavefront_size: 64
  - .args:
      - .offset:         0
        .size:           4
        .value_kind:     by_value
      - .actual_access:  read_only
        .address_space:  global
        .offset:         8
        .size:           8
        .value_kind:     global_buffer
      - .offset:         16
        .size:           8
        .value_kind:     by_value
      - .offset:         24
        .size:           4
        .value_kind:     by_value
      - .offset:         32
        .size:           8
        .value_kind:     by_value
      - .offset:         40
        .size:           4
        .value_kind:     by_value
      - .actual_access:  write_only
        .address_space:  global
        .offset:         48
        .size:           8
        .value_kind:     global_buffer
      - .actual_access:  write_only
        .address_space:  global
        .offset:         56
        .size:           8
        .value_kind:     global_buffer
      - .offset:         64
        .size:           4
        .value_kind:     hidden_block_count_x
      - .offset:         68
        .size:           4
        .value_kind:     hidden_block_count_y
      - .offset:         72
        .size:           4
        .value_kind:     hidden_block_count_z
      - .offset:         76
        .size:           2
        .value_kind:     hidden_group_size_x
      - .offset:         78
        .size:           2
        .value_kind:     hidden_group_size_y
      - .offset:         80
        .size:           2
        .value_kind:     hidden_group_size_z
      - .offset:         82
        .size:           2
        .value_kind:     hidden_remainder_x
      - .offset:         84
        .size:           2
        .value_kind:     hidden_remainder_y
      - .offset:         86
        .size:           2
        .value_kind:     hidden_remainder_z
      - .offset:         104
        .size:           8
        .value_kind:     hidden_global_offset_x
      - .offset:         112
        .size:           8
        .value_kind:     hidden_global_offset_y
      - .offset:         120
        .size:           8
        .value_kind:     hidden_global_offset_z
      - .offset:         128
        .size:           2
        .value_kind:     hidden_grid_dims
    .group_segment_fixed_size: 1024
    .kernarg_segment_align: 8
    .kernarg_segment_size: 320
    .language:       OpenCL C
    .language_version:
      - 2
      - 0
    .max_flat_workgroup_size: 512
    .name:           _ZL24rocblas_dot_kernel_magsqIiLb0ELi512ELi2ELb0E19rocblas_complex_numIdEPKPKS1_S1_EviT5_lT_liPT6_PT4_
    .private_segment_fixed_size: 0
    .sgpr_count:     22
    .sgpr_spill_count: 0
    .symbol:         _ZL24rocblas_dot_kernel_magsqIiLb0ELi512ELi2ELb0E19rocblas_complex_numIdEPKPKS1_S1_EviT5_lT_liPT6_PT4_.kd
    .uniform_work_group_size: 1
    .uses_dynamic_stack: false
    .vgpr_count:     15
    .vgpr_spill_count: 0
    .wavefront_size: 64
  - .args:
      - .offset:         0
        .size:           4
        .value_kind:     by_value
      - .actual_access:  read_only
        .address_space:  global
        .offset:         8
        .size:           8
        .value_kind:     global_buffer
      - .offset:         16
        .size:           8
        .value_kind:     by_value
      - .offset:         24
        .size:           4
        .value_kind:     by_value
      - .offset:         32
        .size:           8
        .value_kind:     by_value
      - .actual_access:  read_only
        .address_space:  global
        .offset:         40
        .size:           8
        .value_kind:     global_buffer
      - .offset:         48
        .size:           8
        .value_kind:     by_value
      - .offset:         56
        .size:           4
        .value_kind:     by_value
      - .offset:         64
        .size:           8
        .value_kind:     by_value
      - .offset:         72
        .size:           4
        .value_kind:     by_value
      - .actual_access:  write_only
        .address_space:  global
        .offset:         80
        .size:           8
        .value_kind:     global_buffer
    .group_segment_fixed_size: 0
    .kernarg_segment_align: 8
    .kernarg_segment_size: 88
    .language:       OpenCL C
    .language_version:
      - 2
      - 0
    .max_flat_workgroup_size: 128
    .name:           _ZL28rocblas_dot_batched_4_kernelIiLi32ELi4ELb1E19rocblas_complex_numIfES1_PKPKS1_EviT5_lT_lS6_lS7_liPT4_
    .private_segment_fixed_size: 0
    .sgpr_count:     22
    .sgpr_spill_count: 0
    .symbol:         _ZL28rocblas_dot_batched_4_kernelIiLi32ELi4ELb1E19rocblas_complex_numIfES1_PKPKS1_EviT5_lT_lS6_lS7_liPT4_.kd
    .uniform_work_group_size: 1
    .uses_dynamic_stack: false
    .vgpr_count:     17
    .vgpr_spill_count: 0
    .wavefront_size: 64
  - .args:
      - .offset:         0
        .size:           4
        .value_kind:     by_value
      - .actual_access:  read_only
        .address_space:  global
        .offset:         8
        .size:           8
        .value_kind:     global_buffer
      - .offset:         16
        .size:           8
        .value_kind:     by_value
      - .offset:         24
        .size:           4
        .value_kind:     by_value
      - .offset:         32
        .size:           8
        .value_kind:     by_value
      - .actual_access:  read_only
        .address_space:  global
        .offset:         40
        .size:           8
        .value_kind:     global_buffer
      - .offset:         48
        .size:           8
        .value_kind:     by_value
      - .offset:         56
        .size:           4
        .value_kind:     by_value
      - .offset:         64
        .size:           8
        .value_kind:     by_value
      - .offset:         72
        .size:           4
        .value_kind:     by_value
      - .actual_access:  write_only
        .address_space:  global
        .offset:         80
        .size:           8
        .value_kind:     global_buffer
    .group_segment_fixed_size: 0
    .kernarg_segment_align: 8
    .kernarg_segment_size: 88
    .language:       OpenCL C
    .language_version:
      - 2
      - 0
    .max_flat_workgroup_size: 256
    .name:           _ZL28rocblas_dot_batched_4_kernelIiLi64ELi4ELb1E19rocblas_complex_numIfES1_PKPKS1_EviT5_lT_lS6_lS7_liPT4_
    .private_segment_fixed_size: 0
    .sgpr_count:     24
    .sgpr_spill_count: 0
    .symbol:         _ZL28rocblas_dot_batched_4_kernelIiLi64ELi4ELb1E19rocblas_complex_numIfES1_PKPKS1_EviT5_lT_lS6_lS7_liPT4_.kd
    .uniform_work_group_size: 1
    .uses_dynamic_stack: false
    .vgpr_count:     16
    .vgpr_spill_count: 0
    .wavefront_size: 64
  - .args:
      - .offset:         0
        .size:           4
        .value_kind:     by_value
      - .actual_access:  read_only
        .address_space:  global
        .offset:         8
        .size:           8
        .value_kind:     global_buffer
      - .offset:         16
        .size:           8
        .value_kind:     by_value
      - .offset:         24
        .size:           8
        .value_kind:     by_value
      - .actual_access:  read_only
        .address_space:  global
        .offset:         32
        .size:           8
        .value_kind:     global_buffer
      - .offset:         40
        .size:           8
        .value_kind:     by_value
      - .offset:         48
        .size:           8
        .value_kind:     by_value
      - .offset:         56
        .size:           4
        .value_kind:     by_value
      - .actual_access:  read_only
        .address_space:  global
        .offset:         64
        .size:           8
        .value_kind:     global_buffer
      - .actual_access:  write_only
        .address_space:  global
        .offset:         72
        .size:           8
        .value_kind:     global_buffer
    .group_segment_fixed_size: 512
    .kernarg_segment_align: 8
    .kernarg_segment_size: 80
    .language:       OpenCL C
    .language_version:
      - 2
      - 0
    .max_flat_workgroup_size: 1024
    .name:           _ZL26rocblas_dot_kernel_inc1by2ILb1ELi1024ELi32ELb1E19rocblas_complex_numIfEPKPKS1_S1_EviT4_llS6_lliPT5_PT3_
    .private_segment_fixed_size: 0
    .sgpr_count:     24
    .sgpr_spill_count: 0
    .symbol:         _ZL26rocblas_dot_kernel_inc1by2ILb1ELi1024ELi32ELb1E19rocblas_complex_numIfEPKPKS1_S1_EviT4_llS6_lliPT5_PT3_.kd
    .uniform_work_group_size: 1
    .uses_dynamic_stack: false
    .vgpr_count:     13
    .vgpr_spill_count: 0
    .wavefront_size: 64
  - .args:
      - .offset:         0
        .size:           4
        .value_kind:     by_value
      - .actual_access:  read_only
        .address_space:  global
        .offset:         8
        .size:           8
        .value_kind:     global_buffer
      - .offset:         16
        .size:           8
        .value_kind:     by_value
      - .offset:         24
        .size:           4
        .value_kind:     by_value
      - .offset:         32
        .size:           8
        .value_kind:     by_value
      - .actual_access:  read_only
        .address_space:  global
        .offset:         40
        .size:           8
        .value_kind:     global_buffer
      - .offset:         48
        .size:           8
        .value_kind:     by_value
      - .offset:         56
        .size:           4
        .value_kind:     by_value
      - .offset:         64
        .size:           8
        .value_kind:     by_value
      - .offset:         72
        .size:           4
        .value_kind:     by_value
      - .actual_access:  read_only
        .address_space:  global
        .offset:         80
        .size:           8
        .value_kind:     global_buffer
      - .actual_access:  write_only
        .address_space:  global
        .offset:         88
        .size:           8
        .value_kind:     global_buffer
      - .offset:         96
        .size:           4
        .value_kind:     hidden_block_count_x
      - .offset:         100
        .size:           4
        .value_kind:     hidden_block_count_y
      - .offset:         104
        .size:           4
        .value_kind:     hidden_block_count_z
      - .offset:         108
        .size:           2
        .value_kind:     hidden_group_size_x
      - .offset:         110
        .size:           2
        .value_kind:     hidden_group_size_y
      - .offset:         112
        .size:           2
        .value_kind:     hidden_group_size_z
      - .offset:         114
        .size:           2
        .value_kind:     hidden_remainder_x
      - .offset:         116
        .size:           2
        .value_kind:     hidden_remainder_y
      - .offset:         118
        .size:           2
        .value_kind:     hidden_remainder_z
      - .offset:         136
        .size:           8
        .value_kind:     hidden_global_offset_x
      - .offset:         144
        .size:           8
        .value_kind:     hidden_global_offset_y
      - .offset:         152
        .size:           8
        .value_kind:     hidden_global_offset_z
      - .offset:         160
        .size:           2
        .value_kind:     hidden_grid_dims
    .group_segment_fixed_size: 512
    .kernarg_segment_align: 8
    .kernarg_segment_size: 352
    .language:       OpenCL C
    .language_version:
      - 2
      - 0
    .max_flat_workgroup_size: 1024
    .name:           _ZL18rocblas_dot_kernelIiLb1ELi1024ELi32ELb1E19rocblas_complex_numIfEPKPKS1_S1_EviT5_lT_lS6_lS7_liPT6_PT4_
    .private_segment_fixed_size: 0
    .sgpr_count:     28
    .sgpr_spill_count: 0
    .symbol:         _ZL18rocblas_dot_kernelIiLb1ELi1024ELi32ELb1E19rocblas_complex_numIfEPKPKS1_S1_EviT5_lT_lS6_lS7_liPT6_PT4_.kd
    .uniform_work_group_size: 1
    .uses_dynamic_stack: false
    .vgpr_count:     15
    .vgpr_spill_count: 0
    .wavefront_size: 64
  - .args:
      - .offset:         0
        .size:           4
        .value_kind:     by_value
      - .actual_access:  read_only
        .address_space:  global
        .offset:         8
        .size:           8
        .value_kind:     global_buffer
      - .offset:         16
        .size:           8
        .value_kind:     by_value
      - .offset:         24
        .size:           4
        .value_kind:     by_value
      - .offset:         32
        .size:           8
        .value_kind:     by_value
      - .offset:         40
        .size:           4
        .value_kind:     by_value
      - .actual_access:  read_only
        .address_space:  global
        .offset:         48
        .size:           8
        .value_kind:     global_buffer
      - .actual_access:  write_only
        .address_space:  global
        .offset:         56
        .size:           8
        .value_kind:     global_buffer
      - .offset:         64
        .size:           4
        .value_kind:     hidden_block_count_x
      - .offset:         68
        .size:           4
        .value_kind:     hidden_block_count_y
      - .offset:         72
        .size:           4
        .value_kind:     hidden_block_count_z
      - .offset:         76
        .size:           2
        .value_kind:     hidden_group_size_x
      - .offset:         78
        .size:           2
        .value_kind:     hidden_group_size_y
      - .offset:         80
        .size:           2
        .value_kind:     hidden_group_size_z
      - .offset:         82
        .size:           2
        .value_kind:     hidden_remainder_x
      - .offset:         84
        .size:           2
        .value_kind:     hidden_remainder_y
      - .offset:         86
        .size:           2
        .value_kind:     hidden_remainder_z
      - .offset:         104
        .size:           8
        .value_kind:     hidden_global_offset_x
      - .offset:         112
        .size:           8
        .value_kind:     hidden_global_offset_y
      - .offset:         120
        .size:           8
        .value_kind:     hidden_global_offset_z
      - .offset:         128
        .size:           2
        .value_kind:     hidden_grid_dims
    .group_segment_fixed_size: 512
    .kernarg_segment_align: 8
    .kernarg_segment_size: 320
    .language:       OpenCL C
    .language_version:
      - 2
      - 0
    .max_flat_workgroup_size: 1024
    .name:           _ZL24rocblas_dot_kernel_magsqIiLb1ELi1024ELi32ELb1E19rocblas_complex_numIfEPKPKS1_S1_EviT5_lT_liPT6_PT4_
    .private_segment_fixed_size: 0
    .sgpr_count:     24
    .sgpr_spill_count: 0
    .symbol:         _ZL24rocblas_dot_kernel_magsqIiLb1ELi1024ELi32ELb1E19rocblas_complex_numIfEPKPKS1_S1_EviT5_lT_liPT6_PT4_.kd
    .uniform_work_group_size: 1
    .uses_dynamic_stack: false
    .vgpr_count:     12
    .vgpr_spill_count: 0
    .wavefront_size: 64
  - .args:
      - .offset:         0
        .size:           4
        .value_kind:     by_value
      - .actual_access:  read_only
        .address_space:  global
        .offset:         8
        .size:           8
        .value_kind:     global_buffer
      - .offset:         16
        .size:           8
        .value_kind:     by_value
      - .offset:         24
        .size:           8
        .value_kind:     by_value
      - .actual_access:  read_only
        .address_space:  global
        .offset:         32
        .size:           8
        .value_kind:     global_buffer
      - .offset:         40
        .size:           8
        .value_kind:     by_value
      - .offset:         48
        .size:           8
        .value_kind:     by_value
      - .offset:         56
        .size:           4
        .value_kind:     by_value
      - .actual_access:  write_only
        .address_space:  global
        .offset:         64
        .size:           8
        .value_kind:     global_buffer
      - .actual_access:  write_only
        .address_space:  global
        .offset:         72
        .size:           8
        .value_kind:     global_buffer
      - .offset:         80
        .size:           4
        .value_kind:     hidden_block_count_x
      - .offset:         84
        .size:           4
        .value_kind:     hidden_block_count_y
      - .offset:         88
        .size:           4
        .value_kind:     hidden_block_count_z
      - .offset:         92
        .size:           2
        .value_kind:     hidden_group_size_x
      - .offset:         94
        .size:           2
        .value_kind:     hidden_group_size_y
      - .offset:         96
        .size:           2
        .value_kind:     hidden_group_size_z
      - .offset:         98
        .size:           2
        .value_kind:     hidden_remainder_x
      - .offset:         100
        .size:           2
        .value_kind:     hidden_remainder_y
      - .offset:         102
        .size:           2
        .value_kind:     hidden_remainder_z
      - .offset:         120
        .size:           8
        .value_kind:     hidden_global_offset_x
      - .offset:         128
        .size:           8
        .value_kind:     hidden_global_offset_y
      - .offset:         136
        .size:           8
        .value_kind:     hidden_global_offset_z
      - .offset:         144
        .size:           2
        .value_kind:     hidden_grid_dims
    .group_segment_fixed_size: 512
    .kernarg_segment_align: 8
    .kernarg_segment_size: 336
    .language:       OpenCL C
    .language_version:
      - 2
      - 0
    .max_flat_workgroup_size: 512
    .name:           _ZL23rocblas_dot_kernel_inc1ILb0ELi512ELi2ELb1E19rocblas_complex_numIfEPKPKS1_S1_EviT4_llS6_lliPT5_PT3_
    .private_segment_fixed_size: 0
    .sgpr_count:     24
    .sgpr_spill_count: 0
    .symbol:         _ZL23rocblas_dot_kernel_inc1ILb0ELi512ELi2ELb1E19rocblas_complex_numIfEPKPKS1_S1_EviT4_llS6_lliPT5_PT3_.kd
    .uniform_work_group_size: 1
    .uses_dynamic_stack: false
    .vgpr_count:     11
    .vgpr_spill_count: 0
    .wavefront_size: 64
  - .args:
      - .offset:         0
        .size:           4
        .value_kind:     by_value
      - .actual_access:  read_only
        .address_space:  global
        .offset:         8
        .size:           8
        .value_kind:     global_buffer
      - .offset:         16
        .size:           8
        .value_kind:     by_value
      - .offset:         24
        .size:           4
        .value_kind:     by_value
      - .offset:         32
        .size:           8
        .value_kind:     by_value
      - .actual_access:  read_only
        .address_space:  global
        .offset:         40
        .size:           8
        .value_kind:     global_buffer
      - .offset:         48
        .size:           8
        .value_kind:     by_value
      - .offset:         56
        .size:           4
        .value_kind:     by_value
      - .offset:         64
        .size:           8
        .value_kind:     by_value
      - .offset:         72
        .size:           4
        .value_kind:     by_value
      - .actual_access:  write_only
        .address_space:  global
        .offset:         80
        .size:           8
        .value_kind:     global_buffer
      - .actual_access:  write_only
        .address_space:  global
        .offset:         88
        .size:           8
        .value_kind:     global_buffer
      - .offset:         96
        .size:           4
        .value_kind:     hidden_block_count_x
      - .offset:         100
        .size:           4
        .value_kind:     hidden_block_count_y
      - .offset:         104
        .size:           4
        .value_kind:     hidden_block_count_z
      - .offset:         108
        .size:           2
        .value_kind:     hidden_group_size_x
      - .offset:         110
        .size:           2
        .value_kind:     hidden_group_size_y
      - .offset:         112
        .size:           2
        .value_kind:     hidden_group_size_z
      - .offset:         114
        .size:           2
        .value_kind:     hidden_remainder_x
      - .offset:         116
        .size:           2
        .value_kind:     hidden_remainder_y
      - .offset:         118
        .size:           2
        .value_kind:     hidden_remainder_z
      - .offset:         136
        .size:           8
        .value_kind:     hidden_global_offset_x
      - .offset:         144
        .size:           8
        .value_kind:     hidden_global_offset_y
      - .offset:         152
        .size:           8
        .value_kind:     hidden_global_offset_z
      - .offset:         160
        .size:           2
        .value_kind:     hidden_grid_dims
    .group_segment_fixed_size: 512
    .kernarg_segment_align: 8
    .kernarg_segment_size: 352
    .language:       OpenCL C
    .language_version:
      - 2
      - 0
    .max_flat_workgroup_size: 512
    .name:           _ZL18rocblas_dot_kernelIiLb0ELi512ELi2ELb1E19rocblas_complex_numIfEPKPKS1_S1_EviT5_lT_lS6_lS7_liPT6_PT4_
    .private_segment_fixed_size: 0
    .sgpr_count:     28
    .sgpr_spill_count: 0
    .symbol:         _ZL18rocblas_dot_kernelIiLb0ELi512ELi2ELb1E19rocblas_complex_numIfEPKPKS1_S1_EviT5_lT_lS6_lS7_liPT6_PT4_.kd
    .uniform_work_group_size: 1
    .uses_dynamic_stack: false
    .vgpr_count:     11
    .vgpr_spill_count: 0
    .wavefront_size: 64
  - .args:
      - .offset:         0
        .size:           4
        .value_kind:     by_value
      - .actual_access:  read_only
        .address_space:  global
        .offset:         8
        .size:           8
        .value_kind:     global_buffer
      - .offset:         16
        .size:           8
        .value_kind:     by_value
      - .offset:         24
        .size:           4
        .value_kind:     by_value
      - .offset:         32
        .size:           8
        .value_kind:     by_value
      - .offset:         40
        .size:           4
        .value_kind:     by_value
      - .actual_access:  write_only
        .address_space:  global
        .offset:         48
        .size:           8
        .value_kind:     global_buffer
      - .actual_access:  write_only
        .address_space:  global
        .offset:         56
        .size:           8
        .value_kind:     global_buffer
      - .offset:         64
        .size:           4
        .value_kind:     hidden_block_count_x
      - .offset:         68
        .size:           4
        .value_kind:     hidden_block_count_y
      - .offset:         72
        .size:           4
        .value_kind:     hidden_block_count_z
      - .offset:         76
        .size:           2
        .value_kind:     hidden_group_size_x
      - .offset:         78
        .size:           2
        .value_kind:     hidden_group_size_y
      - .offset:         80
        .size:           2
        .value_kind:     hidden_group_size_z
      - .offset:         82
        .size:           2
        .value_kind:     hidden_remainder_x
      - .offset:         84
        .size:           2
        .value_kind:     hidden_remainder_y
      - .offset:         86
        .size:           2
        .value_kind:     hidden_remainder_z
      - .offset:         104
        .size:           8
        .value_kind:     hidden_global_offset_x
      - .offset:         112
        .size:           8
        .value_kind:     hidden_global_offset_y
      - .offset:         120
        .size:           8
        .value_kind:     hidden_global_offset_z
      - .offset:         128
        .size:           2
        .value_kind:     hidden_grid_dims
    .group_segment_fixed_size: 512
    .kernarg_segment_align: 8
    .kernarg_segment_size: 320
    .language:       OpenCL C
    .language_version:
      - 2
      - 0
    .max_flat_workgroup_size: 512
    .name:           _ZL24rocblas_dot_kernel_magsqIiLb0ELi512ELi2ELb1E19rocblas_complex_numIfEPKPKS1_S1_EviT5_lT_liPT6_PT4_
    .private_segment_fixed_size: 0
    .sgpr_count:     22
    .sgpr_spill_count: 0
    .symbol:         _ZL24rocblas_dot_kernel_magsqIiLb0ELi512ELi2ELb1E19rocblas_complex_numIfEPKPKS1_S1_EviT5_lT_liPT6_PT4_.kd
    .uniform_work_group_size: 1
    .uses_dynamic_stack: false
    .vgpr_count:     11
    .vgpr_spill_count: 0
    .wavefront_size: 64
  - .args:
      - .offset:         0
        .size:           4
        .value_kind:     by_value
      - .actual_access:  read_only
        .address_space:  global
        .offset:         8
        .size:           8
        .value_kind:     global_buffer
      - .offset:         16
        .size:           8
        .value_kind:     by_value
      - .offset:         24
        .size:           4
        .value_kind:     by_value
      - .offset:         32
        .size:           8
        .value_kind:     by_value
      - .actual_access:  read_only
        .address_space:  global
        .offset:         40
        .size:           8
        .value_kind:     global_buffer
      - .offset:         48
        .size:           8
        .value_kind:     by_value
      - .offset:         56
        .size:           4
        .value_kind:     by_value
      - .offset:         64
        .size:           8
        .value_kind:     by_value
      - .offset:         72
        .size:           4
        .value_kind:     by_value
      - .actual_access:  write_only
        .address_space:  global
        .offset:         80
        .size:           8
        .value_kind:     global_buffer
    .group_segment_fixed_size: 0
    .kernarg_segment_align: 8
    .kernarg_segment_size: 88
    .language:       OpenCL C
    .language_version:
      - 2
      - 0
    .max_flat_workgroup_size: 128
    .name:           _ZL28rocblas_dot_batched_4_kernelIiLi32ELi4ELb1E19rocblas_complex_numIdES1_PKPKS1_EviT5_lT_lS6_lS7_liPT4_
    .private_segment_fixed_size: 0
    .sgpr_count:     24
    .sgpr_spill_count: 0
    .symbol:         _ZL28rocblas_dot_batched_4_kernelIiLi32ELi4ELb1E19rocblas_complex_numIdES1_PKPKS1_EviT5_lT_lS6_lS7_liPT4_.kd
    .uniform_work_group_size: 1
    .uses_dynamic_stack: false
    .vgpr_count:     22
    .vgpr_spill_count: 0
    .wavefront_size: 64
  - .args:
      - .offset:         0
        .size:           4
        .value_kind:     by_value
      - .actual_access:  read_only
        .address_space:  global
        .offset:         8
        .size:           8
        .value_kind:     global_buffer
      - .offset:         16
        .size:           8
        .value_kind:     by_value
      - .offset:         24
        .size:           4
        .value_kind:     by_value
      - .offset:         32
        .size:           8
        .value_kind:     by_value
      - .actual_access:  read_only
        .address_space:  global
        .offset:         40
        .size:           8
        .value_kind:     global_buffer
      - .offset:         48
        .size:           8
        .value_kind:     by_value
      - .offset:         56
        .size:           4
        .value_kind:     by_value
      - .offset:         64
        .size:           8
        .value_kind:     by_value
      - .offset:         72
        .size:           4
        .value_kind:     by_value
      - .actual_access:  write_only
        .address_space:  global
        .offset:         80
        .size:           8
        .value_kind:     global_buffer
    .group_segment_fixed_size: 0
    .kernarg_segment_align: 8
    .kernarg_segment_size: 88
    .language:       OpenCL C
    .language_version:
      - 2
      - 0
    .max_flat_workgroup_size: 256
    .name:           _ZL28rocblas_dot_batched_4_kernelIiLi64ELi4ELb1E19rocblas_complex_numIdES1_PKPKS1_EviT5_lT_lS6_lS7_liPT4_
    .private_segment_fixed_size: 0
    .sgpr_count:     24
    .sgpr_spill_count: 0
    .symbol:         _ZL28rocblas_dot_batched_4_kernelIiLi64ELi4ELb1E19rocblas_complex_numIdES1_PKPKS1_EviT5_lT_lS6_lS7_liPT4_.kd
    .uniform_work_group_size: 1
    .uses_dynamic_stack: false
    .vgpr_count:     22
    .vgpr_spill_count: 0
    .wavefront_size: 64
  - .args:
      - .offset:         0
        .size:           4
        .value_kind:     by_value
      - .actual_access:  read_only
        .address_space:  global
        .offset:         8
        .size:           8
        .value_kind:     global_buffer
      - .offset:         16
        .size:           8
        .value_kind:     by_value
      - .offset:         24
        .size:           8
        .value_kind:     by_value
      - .actual_access:  read_only
        .address_space:  global
        .offset:         32
        .size:           8
        .value_kind:     global_buffer
      - .offset:         40
        .size:           8
        .value_kind:     by_value
      - .offset:         48
        .size:           8
        .value_kind:     by_value
      - .offset:         56
        .size:           4
        .value_kind:     by_value
      - .actual_access:  read_only
        .address_space:  global
        .offset:         64
        .size:           8
        .value_kind:     global_buffer
      - .actual_access:  write_only
        .address_space:  global
        .offset:         72
        .size:           8
        .value_kind:     global_buffer
    .group_segment_fixed_size: 1024
    .kernarg_segment_align: 8
    .kernarg_segment_size: 80
    .language:       OpenCL C
    .language_version:
      - 2
      - 0
    .max_flat_workgroup_size: 1024
    .name:           _ZL26rocblas_dot_kernel_inc1by2ILb1ELi1024ELi32ELb1E19rocblas_complex_numIdEPKPKS1_S1_EviT4_llS6_lliPT5_PT3_
    .private_segment_fixed_size: 0
    .sgpr_count:     24
    .sgpr_spill_count: 0
    .symbol:         _ZL26rocblas_dot_kernel_inc1by2ILb1ELi1024ELi32ELb1E19rocblas_complex_numIdEPKPKS1_S1_EviT4_llS6_lliPT5_PT3_.kd
    .uniform_work_group_size: 1
    .uses_dynamic_stack: false
    .vgpr_count:     20
    .vgpr_spill_count: 0
    .wavefront_size: 64
  - .args:
      - .offset:         0
        .size:           4
        .value_kind:     by_value
      - .actual_access:  read_only
        .address_space:  global
        .offset:         8
        .size:           8
        .value_kind:     global_buffer
      - .offset:         16
        .size:           8
        .value_kind:     by_value
      - .offset:         24
        .size:           4
        .value_kind:     by_value
      - .offset:         32
        .size:           8
        .value_kind:     by_value
      - .actual_access:  read_only
        .address_space:  global
        .offset:         40
        .size:           8
        .value_kind:     global_buffer
      - .offset:         48
        .size:           8
        .value_kind:     by_value
      - .offset:         56
        .size:           4
        .value_kind:     by_value
      - .offset:         64
        .size:           8
        .value_kind:     by_value
      - .offset:         72
        .size:           4
        .value_kind:     by_value
      - .actual_access:  read_only
        .address_space:  global
        .offset:         80
        .size:           8
        .value_kind:     global_buffer
      - .actual_access:  write_only
        .address_space:  global
        .offset:         88
        .size:           8
        .value_kind:     global_buffer
      - .offset:         96
        .size:           4
        .value_kind:     hidden_block_count_x
      - .offset:         100
        .size:           4
        .value_kind:     hidden_block_count_y
      - .offset:         104
        .size:           4
        .value_kind:     hidden_block_count_z
      - .offset:         108
        .size:           2
        .value_kind:     hidden_group_size_x
      - .offset:         110
        .size:           2
        .value_kind:     hidden_group_size_y
      - .offset:         112
        .size:           2
        .value_kind:     hidden_group_size_z
      - .offset:         114
        .size:           2
        .value_kind:     hidden_remainder_x
      - .offset:         116
        .size:           2
        .value_kind:     hidden_remainder_y
      - .offset:         118
        .size:           2
        .value_kind:     hidden_remainder_z
      - .offset:         136
        .size:           8
        .value_kind:     hidden_global_offset_x
      - .offset:         144
        .size:           8
        .value_kind:     hidden_global_offset_y
      - .offset:         152
        .size:           8
        .value_kind:     hidden_global_offset_z
      - .offset:         160
        .size:           2
        .value_kind:     hidden_grid_dims
    .group_segment_fixed_size: 1024
    .kernarg_segment_align: 8
    .kernarg_segment_size: 352
    .language:       OpenCL C
    .language_version:
      - 2
      - 0
    .max_flat_workgroup_size: 1024
    .name:           _ZL18rocblas_dot_kernelIiLb1ELi1024ELi32ELb1E19rocblas_complex_numIdEPKPKS1_S1_EviT5_lT_lS6_lS7_liPT6_PT4_
    .private_segment_fixed_size: 0
    .sgpr_count:     28
    .sgpr_spill_count: 0
    .symbol:         _ZL18rocblas_dot_kernelIiLb1ELi1024ELi32ELb1E19rocblas_complex_numIdEPKPKS1_S1_EviT5_lT_lS6_lS7_liPT6_PT4_.kd
    .uniform_work_group_size: 1
    .uses_dynamic_stack: false
    .vgpr_count:     22
    .vgpr_spill_count: 0
    .wavefront_size: 64
  - .args:
      - .offset:         0
        .size:           4
        .value_kind:     by_value
      - .actual_access:  read_only
        .address_space:  global
        .offset:         8
        .size:           8
        .value_kind:     global_buffer
      - .offset:         16
        .size:           8
        .value_kind:     by_value
      - .offset:         24
        .size:           4
        .value_kind:     by_value
      - .offset:         32
        .size:           8
        .value_kind:     by_value
      - .offset:         40
        .size:           4
        .value_kind:     by_value
      - .actual_access:  read_only
        .address_space:  global
        .offset:         48
        .size:           8
        .value_kind:     global_buffer
      - .actual_access:  write_only
        .address_space:  global
        .offset:         56
        .size:           8
        .value_kind:     global_buffer
      - .offset:         64
        .size:           4
        .value_kind:     hidden_block_count_x
      - .offset:         68
        .size:           4
        .value_kind:     hidden_block_count_y
      - .offset:         72
        .size:           4
        .value_kind:     hidden_block_count_z
      - .offset:         76
        .size:           2
        .value_kind:     hidden_group_size_x
      - .offset:         78
        .size:           2
        .value_kind:     hidden_group_size_y
      - .offset:         80
        .size:           2
        .value_kind:     hidden_group_size_z
      - .offset:         82
        .size:           2
        .value_kind:     hidden_remainder_x
      - .offset:         84
        .size:           2
        .value_kind:     hidden_remainder_y
      - .offset:         86
        .size:           2
        .value_kind:     hidden_remainder_z
      - .offset:         104
        .size:           8
        .value_kind:     hidden_global_offset_x
      - .offset:         112
        .size:           8
        .value_kind:     hidden_global_offset_y
      - .offset:         120
        .size:           8
        .value_kind:     hidden_global_offset_z
      - .offset:         128
        .size:           2
        .value_kind:     hidden_grid_dims
    .group_segment_fixed_size: 1024
    .kernarg_segment_align: 8
    .kernarg_segment_size: 320
    .language:       OpenCL C
    .language_version:
      - 2
      - 0
    .max_flat_workgroup_size: 1024
    .name:           _ZL24rocblas_dot_kernel_magsqIiLb1ELi1024ELi32ELb1E19rocblas_complex_numIdEPKPKS1_S1_EviT5_lT_liPT6_PT4_
    .private_segment_fixed_size: 0
    .sgpr_count:     24
    .sgpr_spill_count: 0
    .symbol:         _ZL24rocblas_dot_kernel_magsqIiLb1ELi1024ELi32ELb1E19rocblas_complex_numIdEPKPKS1_S1_EviT5_lT_liPT6_PT4_.kd
    .uniform_work_group_size: 1
    .uses_dynamic_stack: false
    .vgpr_count:     17
    .vgpr_spill_count: 0
    .wavefront_size: 64
  - .args:
      - .offset:         0
        .size:           4
        .value_kind:     by_value
      - .actual_access:  read_only
        .address_space:  global
        .offset:         8
        .size:           8
        .value_kind:     global_buffer
      - .offset:         16
        .size:           8
        .value_kind:     by_value
      - .offset:         24
        .size:           8
        .value_kind:     by_value
      - .actual_access:  read_only
        .address_space:  global
        .offset:         32
        .size:           8
        .value_kind:     global_buffer
      - .offset:         40
        .size:           8
        .value_kind:     by_value
      - .offset:         48
        .size:           8
        .value_kind:     by_value
      - .offset:         56
        .size:           4
        .value_kind:     by_value
      - .actual_access:  write_only
        .address_space:  global
        .offset:         64
        .size:           8
        .value_kind:     global_buffer
      - .actual_access:  write_only
        .address_space:  global
        .offset:         72
        .size:           8
        .value_kind:     global_buffer
      - .offset:         80
        .size:           4
        .value_kind:     hidden_block_count_x
      - .offset:         84
        .size:           4
        .value_kind:     hidden_block_count_y
      - .offset:         88
        .size:           4
        .value_kind:     hidden_block_count_z
      - .offset:         92
        .size:           2
        .value_kind:     hidden_group_size_x
      - .offset:         94
        .size:           2
        .value_kind:     hidden_group_size_y
      - .offset:         96
        .size:           2
        .value_kind:     hidden_group_size_z
      - .offset:         98
        .size:           2
        .value_kind:     hidden_remainder_x
      - .offset:         100
        .size:           2
        .value_kind:     hidden_remainder_y
      - .offset:         102
        .size:           2
        .value_kind:     hidden_remainder_z
      - .offset:         120
        .size:           8
        .value_kind:     hidden_global_offset_x
      - .offset:         128
        .size:           8
        .value_kind:     hidden_global_offset_y
      - .offset:         136
        .size:           8
        .value_kind:     hidden_global_offset_z
      - .offset:         144
        .size:           2
        .value_kind:     hidden_grid_dims
    .group_segment_fixed_size: 1024
    .kernarg_segment_align: 8
    .kernarg_segment_size: 336
    .language:       OpenCL C
    .language_version:
      - 2
      - 0
    .max_flat_workgroup_size: 512
    .name:           _ZL23rocblas_dot_kernel_inc1ILb0ELi512ELi2ELb1E19rocblas_complex_numIdEPKPKS1_S1_EviT4_llS6_lliPT5_PT3_
    .private_segment_fixed_size: 0
    .sgpr_count:     24
    .sgpr_spill_count: 0
    .symbol:         _ZL23rocblas_dot_kernel_inc1ILb0ELi512ELi2ELb1E19rocblas_complex_numIdEPKPKS1_S1_EviT4_llS6_lliPT5_PT3_.kd
    .uniform_work_group_size: 1
    .uses_dynamic_stack: false
    .vgpr_count:     15
    .vgpr_spill_count: 0
    .wavefront_size: 64
  - .args:
      - .offset:         0
        .size:           4
        .value_kind:     by_value
      - .actual_access:  read_only
        .address_space:  global
        .offset:         8
        .size:           8
        .value_kind:     global_buffer
      - .offset:         16
        .size:           8
        .value_kind:     by_value
      - .offset:         24
        .size:           4
        .value_kind:     by_value
      - .offset:         32
        .size:           8
        .value_kind:     by_value
      - .actual_access:  read_only
        .address_space:  global
        .offset:         40
        .size:           8
        .value_kind:     global_buffer
      - .offset:         48
        .size:           8
        .value_kind:     by_value
      - .offset:         56
        .size:           4
        .value_kind:     by_value
      - .offset:         64
        .size:           8
        .value_kind:     by_value
      - .offset:         72
        .size:           4
        .value_kind:     by_value
      - .actual_access:  write_only
        .address_space:  global
        .offset:         80
        .size:           8
        .value_kind:     global_buffer
      - .actual_access:  write_only
        .address_space:  global
        .offset:         88
        .size:           8
        .value_kind:     global_buffer
      - .offset:         96
        .size:           4
        .value_kind:     hidden_block_count_x
      - .offset:         100
        .size:           4
        .value_kind:     hidden_block_count_y
      - .offset:         104
        .size:           4
        .value_kind:     hidden_block_count_z
      - .offset:         108
        .size:           2
        .value_kind:     hidden_group_size_x
      - .offset:         110
        .size:           2
        .value_kind:     hidden_group_size_y
      - .offset:         112
        .size:           2
        .value_kind:     hidden_group_size_z
      - .offset:         114
        .size:           2
        .value_kind:     hidden_remainder_x
      - .offset:         116
        .size:           2
        .value_kind:     hidden_remainder_y
      - .offset:         118
        .size:           2
        .value_kind:     hidden_remainder_z
      - .offset:         136
        .size:           8
        .value_kind:     hidden_global_offset_x
      - .offset:         144
        .size:           8
        .value_kind:     hidden_global_offset_y
      - .offset:         152
        .size:           8
        .value_kind:     hidden_global_offset_z
      - .offset:         160
        .size:           2
        .value_kind:     hidden_grid_dims
    .group_segment_fixed_size: 1024
    .kernarg_segment_align: 8
    .kernarg_segment_size: 352
    .language:       OpenCL C
    .language_version:
      - 2
      - 0
    .max_flat_workgroup_size: 512
    .name:           _ZL18rocblas_dot_kernelIiLb0ELi512ELi2ELb1E19rocblas_complex_numIdEPKPKS1_S1_EviT5_lT_lS6_lS7_liPT6_PT4_
    .private_segment_fixed_size: 0
    .sgpr_count:     30
    .sgpr_spill_count: 0
    .symbol:         _ZL18rocblas_dot_kernelIiLb0ELi512ELi2ELb1E19rocblas_complex_numIdEPKPKS1_S1_EviT5_lT_lS6_lS7_liPT6_PT4_.kd
    .uniform_work_group_size: 1
    .uses_dynamic_stack: false
    .vgpr_count:     15
    .vgpr_spill_count: 0
    .wavefront_size: 64
  - .args:
      - .offset:         0
        .size:           4
        .value_kind:     by_value
      - .actual_access:  read_only
        .address_space:  global
        .offset:         8
        .size:           8
        .value_kind:     global_buffer
      - .offset:         16
        .size:           8
        .value_kind:     by_value
      - .offset:         24
        .size:           4
        .value_kind:     by_value
      - .offset:         32
        .size:           8
        .value_kind:     by_value
      - .offset:         40
        .size:           4
        .value_kind:     by_value
      - .actual_access:  write_only
        .address_space:  global
        .offset:         48
        .size:           8
        .value_kind:     global_buffer
      - .actual_access:  write_only
        .address_space:  global
        .offset:         56
        .size:           8
        .value_kind:     global_buffer
      - .offset:         64
        .size:           4
        .value_kind:     hidden_block_count_x
      - .offset:         68
        .size:           4
        .value_kind:     hidden_block_count_y
      - .offset:         72
        .size:           4
        .value_kind:     hidden_block_count_z
      - .offset:         76
        .size:           2
        .value_kind:     hidden_group_size_x
      - .offset:         78
        .size:           2
        .value_kind:     hidden_group_size_y
      - .offset:         80
        .size:           2
        .value_kind:     hidden_group_size_z
      - .offset:         82
        .size:           2
        .value_kind:     hidden_remainder_x
      - .offset:         84
        .size:           2
        .value_kind:     hidden_remainder_y
      - .offset:         86
        .size:           2
        .value_kind:     hidden_remainder_z
      - .offset:         104
        .size:           8
        .value_kind:     hidden_global_offset_x
      - .offset:         112
        .size:           8
        .value_kind:     hidden_global_offset_y
      - .offset:         120
        .size:           8
        .value_kind:     hidden_global_offset_z
      - .offset:         128
        .size:           2
        .value_kind:     hidden_grid_dims
    .group_segment_fixed_size: 1024
    .kernarg_segment_align: 8
    .kernarg_segment_size: 320
    .language:       OpenCL C
    .language_version:
      - 2
      - 0
    .max_flat_workgroup_size: 512
    .name:           _ZL24rocblas_dot_kernel_magsqIiLb0ELi512ELi2ELb1E19rocblas_complex_numIdEPKPKS1_S1_EviT5_lT_liPT6_PT4_
    .private_segment_fixed_size: 0
    .sgpr_count:     22
    .sgpr_spill_count: 0
    .symbol:         _ZL24rocblas_dot_kernel_magsqIiLb0ELi512ELi2ELb1E19rocblas_complex_numIdEPKPKS1_S1_EviT5_lT_liPT6_PT4_.kd
    .uniform_work_group_size: 1
    .uses_dynamic_stack: false
    .vgpr_count:     15
    .vgpr_spill_count: 0
    .wavefront_size: 64
  - .args:
      - .offset:         0
        .size:           4
        .value_kind:     by_value
      - .actual_access:  read_only
        .address_space:  global
        .offset:         8
        .size:           8
        .value_kind:     global_buffer
      - .offset:         16
        .size:           8
        .value_kind:     by_value
      - .offset:         24
        .size:           4
        .value_kind:     by_value
      - .offset:         32
        .size:           8
        .value_kind:     by_value
      - .actual_access:  read_only
        .address_space:  global
        .offset:         40
        .size:           8
        .value_kind:     global_buffer
      - .offset:         48
        .size:           8
        .value_kind:     by_value
      - .offset:         56
        .size:           4
        .value_kind:     by_value
      - .offset:         64
        .size:           8
        .value_kind:     by_value
      - .offset:         72
        .size:           4
        .value_kind:     by_value
      - .actual_access:  write_only
        .address_space:  global
        .offset:         80
        .size:           8
        .value_kind:     global_buffer
    .group_segment_fixed_size: 0
    .kernarg_segment_align: 8
    .kernarg_segment_size: 88
    .language:       OpenCL C
    .language_version:
      - 2
      - 0
    .max_flat_workgroup_size: 128
    .name:           _ZL28rocblas_dot_batched_4_kernelIiLi32ELi4ELb0EfDF16_PKDF16_EviT5_lT_lS2_lS3_liPT4_
    .private_segment_fixed_size: 0
    .sgpr_count:     26
    .sgpr_spill_count: 0
    .symbol:         _ZL28rocblas_dot_batched_4_kernelIiLi32ELi4ELb0EfDF16_PKDF16_EviT5_lT_lS2_lS3_liPT4_.kd
    .uniform_work_group_size: 1
    .uses_dynamic_stack: false
    .vgpr_count:     13
    .vgpr_spill_count: 0
    .wavefront_size: 64
  - .args:
      - .offset:         0
        .size:           4
        .value_kind:     by_value
      - .actual_access:  read_only
        .address_space:  global
        .offset:         8
        .size:           8
        .value_kind:     global_buffer
      - .offset:         16
        .size:           8
        .value_kind:     by_value
      - .offset:         24
        .size:           4
        .value_kind:     by_value
      - .offset:         32
        .size:           8
        .value_kind:     by_value
      - .actual_access:  read_only
        .address_space:  global
        .offset:         40
        .size:           8
        .value_kind:     global_buffer
      - .offset:         48
        .size:           8
        .value_kind:     by_value
      - .offset:         56
        .size:           4
        .value_kind:     by_value
      - .offset:         64
        .size:           8
        .value_kind:     by_value
      - .offset:         72
        .size:           4
        .value_kind:     by_value
      - .actual_access:  write_only
        .address_space:  global
        .offset:         80
        .size:           8
        .value_kind:     global_buffer
    .group_segment_fixed_size: 0
    .kernarg_segment_align: 8
    .kernarg_segment_size: 88
    .language:       OpenCL C
    .language_version:
      - 2
      - 0
    .max_flat_workgroup_size: 256
    .name:           _ZL28rocblas_dot_batched_4_kernelIiLi64ELi4ELb0EfDF16_PKDF16_EviT5_lT_lS2_lS3_liPT4_
    .private_segment_fixed_size: 0
    .sgpr_count:     26
    .sgpr_spill_count: 0
    .symbol:         _ZL28rocblas_dot_batched_4_kernelIiLi64ELi4ELb0EfDF16_PKDF16_EviT5_lT_lS2_lS3_liPT4_.kd
    .uniform_work_group_size: 1
    .uses_dynamic_stack: false
    .vgpr_count:     13
    .vgpr_spill_count: 0
    .wavefront_size: 64
  - .args:
      - .offset:         0
        .size:           4
        .value_kind:     by_value
      - .actual_access:  read_only
        .address_space:  global
        .offset:         8
        .size:           8
        .value_kind:     global_buffer
      - .offset:         16
        .size:           8
        .value_kind:     by_value
      - .offset:         24
        .size:           8
        .value_kind:     by_value
      - .actual_access:  read_only
        .address_space:  global
        .offset:         32
        .size:           8
        .value_kind:     global_buffer
      - .offset:         40
        .size:           8
        .value_kind:     by_value
      - .offset:         48
        .size:           8
        .value_kind:     by_value
      - .offset:         56
        .size:           4
        .value_kind:     by_value
      - .actual_access:  read_only
        .address_space:  global
        .offset:         64
        .size:           8
        .value_kind:     global_buffer
      - .actual_access:  write_only
        .address_space:  global
        .offset:         72
        .size:           8
        .value_kind:     global_buffer
    .group_segment_fixed_size: 256
    .kernarg_segment_align: 8
    .kernarg_segment_size: 80
    .language:       OpenCL C
    .language_version:
      - 2
      - 0
    .max_flat_workgroup_size: 1024
    .name:           _ZL26rocblas_dot_kernel_inc1by2ILb1ELi1024ELi32ELb0EDF16_PKDF16_fEviT4_llS2_lliPT5_PT3_
    .private_segment_fixed_size: 0
    .sgpr_count:     32
    .sgpr_spill_count: 0
    .symbol:         _ZL26rocblas_dot_kernel_inc1by2ILb1ELi1024ELi32ELb0EDF16_PKDF16_fEviT4_llS2_lliPT5_PT3_.kd
    .uniform_work_group_size: 1
    .uses_dynamic_stack: false
    .vgpr_count:     10
    .vgpr_spill_count: 0
    .wavefront_size: 64
  - .args:
      - .offset:         0
        .size:           4
        .value_kind:     by_value
      - .actual_access:  read_only
        .address_space:  global
        .offset:         8
        .size:           8
        .value_kind:     global_buffer
      - .offset:         16
        .size:           8
        .value_kind:     by_value
      - .offset:         24
        .size:           4
        .value_kind:     by_value
      - .offset:         32
        .size:           8
        .value_kind:     by_value
      - .actual_access:  read_only
        .address_space:  global
        .offset:         40
        .size:           8
        .value_kind:     global_buffer
      - .offset:         48
        .size:           8
        .value_kind:     by_value
      - .offset:         56
        .size:           4
        .value_kind:     by_value
      - .offset:         64
        .size:           8
        .value_kind:     by_value
      - .offset:         72
        .size:           4
        .value_kind:     by_value
      - .actual_access:  read_only
        .address_space:  global
        .offset:         80
        .size:           8
        .value_kind:     global_buffer
      - .actual_access:  write_only
        .address_space:  global
        .offset:         88
        .size:           8
        .value_kind:     global_buffer
      - .offset:         96
        .size:           4
        .value_kind:     hidden_block_count_x
      - .offset:         100
        .size:           4
        .value_kind:     hidden_block_count_y
      - .offset:         104
        .size:           4
        .value_kind:     hidden_block_count_z
      - .offset:         108
        .size:           2
        .value_kind:     hidden_group_size_x
      - .offset:         110
        .size:           2
        .value_kind:     hidden_group_size_y
      - .offset:         112
        .size:           2
        .value_kind:     hidden_group_size_z
      - .offset:         114
        .size:           2
        .value_kind:     hidden_remainder_x
      - .offset:         116
        .size:           2
        .value_kind:     hidden_remainder_y
      - .offset:         118
        .size:           2
        .value_kind:     hidden_remainder_z
      - .offset:         136
        .size:           8
        .value_kind:     hidden_global_offset_x
      - .offset:         144
        .size:           8
        .value_kind:     hidden_global_offset_y
      - .offset:         152
        .size:           8
        .value_kind:     hidden_global_offset_z
      - .offset:         160
        .size:           2
        .value_kind:     hidden_grid_dims
    .group_segment_fixed_size: 256
    .kernarg_segment_align: 8
    .kernarg_segment_size: 352
    .language:       OpenCL C
    .language_version:
      - 2
      - 0
    .max_flat_workgroup_size: 1024
    .name:           _ZL18rocblas_dot_kernelIiLb1ELi1024ELi32ELb0EDF16_PKDF16_fEviT5_lT_lS2_lS3_liPT6_PT4_
    .private_segment_fixed_size: 0
    .sgpr_count:     29
    .sgpr_spill_count: 0
    .symbol:         _ZL18rocblas_dot_kernelIiLb1ELi1024ELi32ELb0EDF16_PKDF16_fEviT5_lT_lS2_lS3_liPT6_PT4_.kd
    .uniform_work_group_size: 1
    .uses_dynamic_stack: false
    .vgpr_count:     11
    .vgpr_spill_count: 0
    .wavefront_size: 64
  - .args:
      - .offset:         0
        .size:           4
        .value_kind:     by_value
      - .actual_access:  read_only
        .address_space:  global
        .offset:         8
        .size:           8
        .value_kind:     global_buffer
      - .offset:         16
        .size:           8
        .value_kind:     by_value
      - .offset:         24
        .size:           4
        .value_kind:     by_value
      - .offset:         32
        .size:           8
        .value_kind:     by_value
      - .offset:         40
        .size:           4
        .value_kind:     by_value
      - .actual_access:  read_only
        .address_space:  global
        .offset:         48
        .size:           8
        .value_kind:     global_buffer
      - .actual_access:  write_only
        .address_space:  global
        .offset:         56
        .size:           8
        .value_kind:     global_buffer
      - .offset:         64
        .size:           4
        .value_kind:     hidden_block_count_x
      - .offset:         68
        .size:           4
        .value_kind:     hidden_block_count_y
      - .offset:         72
        .size:           4
        .value_kind:     hidden_block_count_z
      - .offset:         76
        .size:           2
        .value_kind:     hidden_group_size_x
      - .offset:         78
        .size:           2
        .value_kind:     hidden_group_size_y
      - .offset:         80
        .size:           2
        .value_kind:     hidden_group_size_z
      - .offset:         82
        .size:           2
        .value_kind:     hidden_remainder_x
      - .offset:         84
        .size:           2
        .value_kind:     hidden_remainder_y
      - .offset:         86
        .size:           2
        .value_kind:     hidden_remainder_z
      - .offset:         104
        .size:           8
        .value_kind:     hidden_global_offset_x
      - .offset:         112
        .size:           8
        .value_kind:     hidden_global_offset_y
      - .offset:         120
        .size:           8
        .value_kind:     hidden_global_offset_z
      - .offset:         128
        .size:           2
        .value_kind:     hidden_grid_dims
    .group_segment_fixed_size: 256
    .kernarg_segment_align: 8
    .kernarg_segment_size: 320
    .language:       OpenCL C
    .language_version:
      - 2
      - 0
    .max_flat_workgroup_size: 1024
    .name:           _ZL24rocblas_dot_kernel_magsqIiLb1ELi1024ELi32ELb0EDF16_PKDF16_fEviT5_lT_liPT6_PT4_
    .private_segment_fixed_size: 0
    .sgpr_count:     24
    .sgpr_spill_count: 0
    .symbol:         _ZL24rocblas_dot_kernel_magsqIiLb1ELi1024ELi32ELb0EDF16_PKDF16_fEviT5_lT_liPT6_PT4_.kd
    .uniform_work_group_size: 1
    .uses_dynamic_stack: false
    .vgpr_count:     10
    .vgpr_spill_count: 0
    .wavefront_size: 64
  - .args:
      - .offset:         0
        .size:           4
        .value_kind:     by_value
      - .actual_access:  read_only
        .address_space:  global
        .offset:         8
        .size:           8
        .value_kind:     global_buffer
      - .offset:         16
        .size:           8
        .value_kind:     by_value
      - .offset:         24
        .size:           4
        .value_kind:     by_value
      - .offset:         32
        .size:           8
        .value_kind:     by_value
      - .actual_access:  read_only
        .address_space:  global
        .offset:         40
        .size:           8
        .value_kind:     global_buffer
      - .offset:         48
        .size:           8
        .value_kind:     by_value
      - .offset:         56
        .size:           4
        .value_kind:     by_value
      - .offset:         64
        .size:           8
        .value_kind:     by_value
      - .actual_access:  read_only
        .address_space:  global
        .offset:         72
        .size:           8
        .value_kind:     global_buffer
      - .actual_access:  read_only
        .address_space:  global
        .offset:         80
        .size:           8
        .value_kind:     global_buffer
    .group_segment_fixed_size: 0
    .kernarg_segment_align: 8
    .kernarg_segment_size: 88
    .language:       OpenCL C
    .language_version:
      - 2
      - 0
    .max_flat_workgroup_size: 1024
    .name:           _ZL38rocblas_dot_kernel_gfx942_float_doubleIiLi1024EDF16_PKDF16_fEviT2_lT_lS2_lS3_lPT3_PT1_
    .private_segment_fixed_size: 0
    .sgpr_count:     4
    .sgpr_spill_count: 0
    .symbol:         _ZL38rocblas_dot_kernel_gfx942_float_doubleIiLi1024EDF16_PKDF16_fEviT2_lT_lS2_lS3_lPT3_PT1_.kd
    .uniform_work_group_size: 1
    .uses_dynamic_stack: false
    .vgpr_count:     0
    .vgpr_spill_count: 0
    .wavefront_size: 64
  - .args:
      - .offset:         0
        .size:           4
        .value_kind:     by_value
      - .actual_access:  read_only
        .address_space:  global
        .offset:         8
        .size:           8
        .value_kind:     global_buffer
      - .actual_access:  write_only
        .address_space:  global
        .offset:         16
        .size:           8
        .value_kind:     global_buffer
    .group_segment_fixed_size: 256
    .kernarg_segment_align: 8
    .kernarg_segment_size: 24
    .language:       OpenCL C
    .language_version:
      - 2
      - 0
    .max_flat_workgroup_size: 1024
    .name:           _ZL30rocblas_reduction_kernel_part2ILi1024ELi4E25rocblas_finalize_identityfDF16_EviPT2_PT3_
    .private_segment_fixed_size: 0
    .sgpr_count:     18
    .sgpr_spill_count: 0
    .symbol:         _ZL30rocblas_reduction_kernel_part2ILi1024ELi4E25rocblas_finalize_identityfDF16_EviPT2_PT3_.kd
    .uniform_work_group_size: 1
    .uses_dynamic_stack: false
    .vgpr_count:     10
    .vgpr_spill_count: 0
    .wavefront_size: 64
  - .args:
      - .offset:         0
        .size:           4
        .value_kind:     by_value
      - .actual_access:  read_only
        .address_space:  global
        .offset:         8
        .size:           8
        .value_kind:     global_buffer
      - .offset:         16
        .size:           8
        .value_kind:     by_value
      - .offset:         24
        .size:           8
        .value_kind:     by_value
      - .actual_access:  read_only
        .address_space:  global
        .offset:         32
        .size:           8
        .value_kind:     global_buffer
      - .offset:         40
        .size:           8
        .value_kind:     by_value
      - .offset:         48
        .size:           8
        .value_kind:     by_value
      - .offset:         56
        .size:           4
        .value_kind:     by_value
      - .actual_access:  write_only
        .address_space:  global
        .offset:         64
        .size:           8
        .value_kind:     global_buffer
      - .actual_access:  write_only
        .address_space:  global
        .offset:         72
        .size:           8
        .value_kind:     global_buffer
      - .offset:         80
        .size:           4
        .value_kind:     hidden_block_count_x
      - .offset:         84
        .size:           4
        .value_kind:     hidden_block_count_y
      - .offset:         88
        .size:           4
        .value_kind:     hidden_block_count_z
      - .offset:         92
        .size:           2
        .value_kind:     hidden_group_size_x
      - .offset:         94
        .size:           2
        .value_kind:     hidden_group_size_y
      - .offset:         96
        .size:           2
        .value_kind:     hidden_group_size_z
      - .offset:         98
        .size:           2
        .value_kind:     hidden_remainder_x
      - .offset:         100
        .size:           2
        .value_kind:     hidden_remainder_y
      - .offset:         102
        .size:           2
        .value_kind:     hidden_remainder_z
      - .offset:         120
        .size:           8
        .value_kind:     hidden_global_offset_x
      - .offset:         128
        .size:           8
        .value_kind:     hidden_global_offset_y
      - .offset:         136
        .size:           8
        .value_kind:     hidden_global_offset_z
      - .offset:         144
        .size:           2
        .value_kind:     hidden_grid_dims
    .group_segment_fixed_size: 256
    .kernarg_segment_align: 8
    .kernarg_segment_size: 336
    .language:       OpenCL C
    .language_version:
      - 2
      - 0
    .max_flat_workgroup_size: 512
    .name:           _ZL23rocblas_dot_kernel_inc1ILb0ELi512ELi8ELb0EDF16_PKDF16_fEviT4_llS2_lliPT5_PT3_
    .private_segment_fixed_size: 0
    .sgpr_count:     32
    .sgpr_spill_count: 0
    .symbol:         _ZL23rocblas_dot_kernel_inc1ILb0ELi512ELi8ELb0EDF16_PKDF16_fEviT4_llS2_lliPT5_PT3_.kd
    .uniform_work_group_size: 1
    .uses_dynamic_stack: false
    .vgpr_count:     14
    .vgpr_spill_count: 0
    .wavefront_size: 64
  - .args:
      - .offset:         0
        .size:           4
        .value_kind:     by_value
      - .actual_access:  read_only
        .address_space:  global
        .offset:         8
        .size:           8
        .value_kind:     global_buffer
      - .offset:         16
        .size:           8
        .value_kind:     by_value
      - .offset:         24
        .size:           4
        .value_kind:     by_value
      - .offset:         32
        .size:           8
        .value_kind:     by_value
      - .actual_access:  read_only
        .address_space:  global
        .offset:         40
        .size:           8
        .value_kind:     global_buffer
      - .offset:         48
        .size:           8
        .value_kind:     by_value
      - .offset:         56
        .size:           4
        .value_kind:     by_value
      - .offset:         64
        .size:           8
        .value_kind:     by_value
      - .offset:         72
        .size:           4
        .value_kind:     by_value
      - .actual_access:  write_only
        .address_space:  global
        .offset:         80
        .size:           8
        .value_kind:     global_buffer
      - .actual_access:  write_only
        .address_space:  global
        .offset:         88
        .size:           8
        .value_kind:     global_buffer
      - .offset:         96
        .size:           4
        .value_kind:     hidden_block_count_x
      - .offset:         100
        .size:           4
        .value_kind:     hidden_block_count_y
      - .offset:         104
        .size:           4
        .value_kind:     hidden_block_count_z
      - .offset:         108
        .size:           2
        .value_kind:     hidden_group_size_x
      - .offset:         110
        .size:           2
        .value_kind:     hidden_group_size_y
      - .offset:         112
        .size:           2
        .value_kind:     hidden_group_size_z
      - .offset:         114
        .size:           2
        .value_kind:     hidden_remainder_x
      - .offset:         116
        .size:           2
        .value_kind:     hidden_remainder_y
      - .offset:         118
        .size:           2
        .value_kind:     hidden_remainder_z
      - .offset:         136
        .size:           8
        .value_kind:     hidden_global_offset_x
      - .offset:         144
        .size:           8
        .value_kind:     hidden_global_offset_y
      - .offset:         152
        .size:           8
        .value_kind:     hidden_global_offset_z
      - .offset:         160
        .size:           2
        .value_kind:     hidden_grid_dims
    .group_segment_fixed_size: 256
    .kernarg_segment_align: 8
    .kernarg_segment_size: 352
    .language:       OpenCL C
    .language_version:
      - 2
      - 0
    .max_flat_workgroup_size: 512
    .name:           _ZL18rocblas_dot_kernelIiLb0ELi512ELi8ELb0EDF16_PKDF16_fEviT5_lT_lS2_lS3_liPT6_PT4_
    .private_segment_fixed_size: 0
    .sgpr_count:     32
    .sgpr_spill_count: 0
    .symbol:         _ZL18rocblas_dot_kernelIiLb0ELi512ELi8ELb0EDF16_PKDF16_fEviT5_lT_lS2_lS3_liPT6_PT4_.kd
    .uniform_work_group_size: 1
    .uses_dynamic_stack: false
    .vgpr_count:     11
    .vgpr_spill_count: 0
    .wavefront_size: 64
  - .args:
      - .offset:         0
        .size:           4
        .value_kind:     by_value
      - .actual_access:  read_only
        .address_space:  global
        .offset:         8
        .size:           8
        .value_kind:     global_buffer
      - .offset:         16
        .size:           8
        .value_kind:     by_value
      - .offset:         24
        .size:           4
        .value_kind:     by_value
      - .offset:         32
        .size:           8
        .value_kind:     by_value
      - .offset:         40
        .size:           4
        .value_kind:     by_value
      - .actual_access:  write_only
        .address_space:  global
        .offset:         48
        .size:           8
        .value_kind:     global_buffer
      - .actual_access:  write_only
        .address_space:  global
        .offset:         56
        .size:           8
        .value_kind:     global_buffer
      - .offset:         64
        .size:           4
        .value_kind:     hidden_block_count_x
      - .offset:         68
        .size:           4
        .value_kind:     hidden_block_count_y
      - .offset:         72
        .size:           4
        .value_kind:     hidden_block_count_z
      - .offset:         76
        .size:           2
        .value_kind:     hidden_group_size_x
      - .offset:         78
        .size:           2
        .value_kind:     hidden_group_size_y
      - .offset:         80
        .size:           2
        .value_kind:     hidden_group_size_z
      - .offset:         82
        .size:           2
        .value_kind:     hidden_remainder_x
      - .offset:         84
        .size:           2
        .value_kind:     hidden_remainder_y
      - .offset:         86
        .size:           2
        .value_kind:     hidden_remainder_z
      - .offset:         104
        .size:           8
        .value_kind:     hidden_global_offset_x
      - .offset:         112
        .size:           8
        .value_kind:     hidden_global_offset_y
      - .offset:         120
        .size:           8
        .value_kind:     hidden_global_offset_z
      - .offset:         128
        .size:           2
        .value_kind:     hidden_grid_dims
    .group_segment_fixed_size: 256
    .kernarg_segment_align: 8
    .kernarg_segment_size: 320
    .language:       OpenCL C
    .language_version:
      - 2
      - 0
    .max_flat_workgroup_size: 512
    .name:           _ZL24rocblas_dot_kernel_magsqIiLb0ELi512ELi8ELb0EDF16_PKDF16_fEviT5_lT_liPT6_PT4_
    .private_segment_fixed_size: 0
    .sgpr_count:     28
    .sgpr_spill_count: 0
    .symbol:         _ZL24rocblas_dot_kernel_magsqIiLb0ELi512ELi8ELb0EDF16_PKDF16_fEviT5_lT_liPT6_PT4_.kd
    .uniform_work_group_size: 1
    .uses_dynamic_stack: false
    .vgpr_count:     9
    .vgpr_spill_count: 0
    .wavefront_size: 64
  - .args:
      - .offset:         0
        .size:           4
        .value_kind:     by_value
      - .actual_access:  read_only
        .address_space:  global
        .offset:         8
        .size:           8
        .value_kind:     global_buffer
      - .actual_access:  write_only
        .address_space:  global
        .offset:         16
        .size:           8
        .value_kind:     global_buffer
    .group_segment_fixed_size: 256
    .kernarg_segment_align: 8
    .kernarg_segment_size: 24
    .language:       OpenCL C
    .language_version:
      - 2
      - 0
    .max_flat_workgroup_size: 512
    .name:           _ZL30rocblas_reduction_kernel_part2ILi512ELi8E25rocblas_finalize_identityfDF16_EviPT2_PT3_
    .private_segment_fixed_size: 0
    .sgpr_count:     18
    .sgpr_spill_count: 0
    .symbol:         _ZL30rocblas_reduction_kernel_part2ILi512ELi8E25rocblas_finalize_identityfDF16_EviPT2_PT3_.kd
    .uniform_work_group_size: 1
    .uses_dynamic_stack: false
    .vgpr_count:     13
    .vgpr_spill_count: 0
    .wavefront_size: 64
  - .args:
      - .offset:         0
        .size:           4
        .value_kind:     by_value
      - .actual_access:  read_only
        .address_space:  global
        .offset:         8
        .size:           8
        .value_kind:     global_buffer
      - .offset:         16
        .size:           8
        .value_kind:     by_value
      - .offset:         24
        .size:           4
        .value_kind:     by_value
      - .offset:         32
        .size:           8
        .value_kind:     by_value
      - .actual_access:  read_only
        .address_space:  global
        .offset:         40
        .size:           8
        .value_kind:     global_buffer
      - .offset:         48
        .size:           8
        .value_kind:     by_value
      - .offset:         56
        .size:           4
        .value_kind:     by_value
      - .offset:         64
        .size:           8
        .value_kind:     by_value
      - .offset:         72
        .size:           4
        .value_kind:     by_value
      - .actual_access:  write_only
        .address_space:  global
        .offset:         80
        .size:           8
        .value_kind:     global_buffer
    .group_segment_fixed_size: 0
    .kernarg_segment_align: 8
    .kernarg_segment_size: 88
    .language:       OpenCL C
    .language_version:
      - 2
      - 0
    .max_flat_workgroup_size: 128
    .name:           _ZL28rocblas_dot_batched_4_kernelIiLi32ELi4ELb0EfDF16_PKPKDF16_EviT5_lT_lS4_lS5_liPT4_
    .private_segment_fixed_size: 0
    .sgpr_count:     22
    .sgpr_spill_count: 0
    .symbol:         _ZL28rocblas_dot_batched_4_kernelIiLi32ELi4ELb0EfDF16_PKPKDF16_EviT5_lT_lS4_lS5_liPT4_.kd
    .uniform_work_group_size: 1
    .uses_dynamic_stack: false
    .vgpr_count:     16
    .vgpr_spill_count: 0
    .wavefront_size: 64
  - .args:
      - .offset:         0
        .size:           4
        .value_kind:     by_value
      - .actual_access:  read_only
        .address_space:  global
        .offset:         8
        .size:           8
        .value_kind:     global_buffer
      - .offset:         16
        .size:           8
        .value_kind:     by_value
      - .offset:         24
        .size:           4
        .value_kind:     by_value
      - .offset:         32
        .size:           8
        .value_kind:     by_value
      - .actual_access:  read_only
        .address_space:  global
        .offset:         40
        .size:           8
        .value_kind:     global_buffer
      - .offset:         48
        .size:           8
        .value_kind:     by_value
      - .offset:         56
        .size:           4
        .value_kind:     by_value
      - .offset:         64
        .size:           8
        .value_kind:     by_value
      - .offset:         72
        .size:           4
        .value_kind:     by_value
      - .actual_access:  write_only
        .address_space:  global
        .offset:         80
        .size:           8
        .value_kind:     global_buffer
    .group_segment_fixed_size: 0
    .kernarg_segment_align: 8
    .kernarg_segment_size: 88
    .language:       OpenCL C
    .language_version:
      - 2
      - 0
    .max_flat_workgroup_size: 256
    .name:           _ZL28rocblas_dot_batched_4_kernelIiLi64ELi4ELb0EfDF16_PKPKDF16_EviT5_lT_lS4_lS5_liPT4_
    .private_segment_fixed_size: 0
    .sgpr_count:     24
    .sgpr_spill_count: 0
    .symbol:         _ZL28rocblas_dot_batched_4_kernelIiLi64ELi4ELb0EfDF16_PKPKDF16_EviT5_lT_lS4_lS5_liPT4_.kd
    .uniform_work_group_size: 1
    .uses_dynamic_stack: false
    .vgpr_count:     14
    .vgpr_spill_count: 0
    .wavefront_size: 64
  - .args:
      - .offset:         0
        .size:           4
        .value_kind:     by_value
      - .actual_access:  read_only
        .address_space:  global
        .offset:         8
        .size:           8
        .value_kind:     global_buffer
      - .offset:         16
        .size:           8
        .value_kind:     by_value
      - .offset:         24
        .size:           8
        .value_kind:     by_value
      - .actual_access:  read_only
        .address_space:  global
        .offset:         32
        .size:           8
        .value_kind:     global_buffer
      - .offset:         40
        .size:           8
        .value_kind:     by_value
      - .offset:         48
        .size:           8
        .value_kind:     by_value
      - .offset:         56
        .size:           4
        .value_kind:     by_value
      - .actual_access:  read_only
        .address_space:  global
        .offset:         64
        .size:           8
        .value_kind:     global_buffer
      - .actual_access:  write_only
        .address_space:  global
        .offset:         72
        .size:           8
        .value_kind:     global_buffer
    .group_segment_fixed_size: 256
    .kernarg_segment_align: 8
    .kernarg_segment_size: 80
    .language:       OpenCL C
    .language_version:
      - 2
      - 0
    .max_flat_workgroup_size: 1024
    .name:           _ZL26rocblas_dot_kernel_inc1by2ILb1ELi1024ELi32ELb0EDF16_PKPKDF16_fEviT4_llS4_lliPT5_PT3_
    .private_segment_fixed_size: 0
    .sgpr_count:     28
    .sgpr_spill_count: 0
    .symbol:         _ZL26rocblas_dot_kernel_inc1by2ILb1ELi1024ELi32ELb0EDF16_PKPKDF16_fEviT4_llS4_lliPT5_PT3_.kd
    .uniform_work_group_size: 1
    .uses_dynamic_stack: false
    .vgpr_count:     10
    .vgpr_spill_count: 0
    .wavefront_size: 64
  - .args:
      - .offset:         0
        .size:           4
        .value_kind:     by_value
      - .actual_access:  read_only
        .address_space:  global
        .offset:         8
        .size:           8
        .value_kind:     global_buffer
      - .offset:         16
        .size:           8
        .value_kind:     by_value
      - .offset:         24
        .size:           4
        .value_kind:     by_value
      - .offset:         32
        .size:           8
        .value_kind:     by_value
      - .actual_access:  read_only
        .address_space:  global
        .offset:         40
        .size:           8
        .value_kind:     global_buffer
      - .offset:         48
        .size:           8
        .value_kind:     by_value
      - .offset:         56
        .size:           4
        .value_kind:     by_value
      - .offset:         64
        .size:           8
        .value_kind:     by_value
      - .offset:         72
        .size:           4
        .value_kind:     by_value
      - .actual_access:  read_only
        .address_space:  global
        .offset:         80
        .size:           8
        .value_kind:     global_buffer
      - .actual_access:  write_only
        .address_space:  global
        .offset:         88
        .size:           8
        .value_kind:     global_buffer
      - .offset:         96
        .size:           4
        .value_kind:     hidden_block_count_x
      - .offset:         100
        .size:           4
        .value_kind:     hidden_block_count_y
      - .offset:         104
        .size:           4
        .value_kind:     hidden_block_count_z
      - .offset:         108
        .size:           2
        .value_kind:     hidden_group_size_x
      - .offset:         110
        .size:           2
        .value_kind:     hidden_group_size_y
      - .offset:         112
        .size:           2
        .value_kind:     hidden_group_size_z
      - .offset:         114
        .size:           2
        .value_kind:     hidden_remainder_x
      - .offset:         116
        .size:           2
        .value_kind:     hidden_remainder_y
      - .offset:         118
        .size:           2
        .value_kind:     hidden_remainder_z
      - .offset:         136
        .size:           8
        .value_kind:     hidden_global_offset_x
      - .offset:         144
        .size:           8
        .value_kind:     hidden_global_offset_y
      - .offset:         152
        .size:           8
        .value_kind:     hidden_global_offset_z
      - .offset:         160
        .size:           2
        .value_kind:     hidden_grid_dims
    .group_segment_fixed_size: 256
    .kernarg_segment_align: 8
    .kernarg_segment_size: 352
    .language:       OpenCL C
    .language_version:
      - 2
      - 0
    .max_flat_workgroup_size: 1024
    .name:           _ZL18rocblas_dot_kernelIiLb1ELi1024ELi32ELb0EDF16_PKPKDF16_fEviT5_lT_lS4_lS5_liPT6_PT4_
    .private_segment_fixed_size: 0
    .sgpr_count:     28
    .sgpr_spill_count: 0
    .symbol:         _ZL18rocblas_dot_kernelIiLb1ELi1024ELi32ELb0EDF16_PKPKDF16_fEviT5_lT_lS4_lS5_liPT6_PT4_.kd
    .uniform_work_group_size: 1
    .uses_dynamic_stack: false
    .vgpr_count:     11
    .vgpr_spill_count: 0
    .wavefront_size: 64
  - .args:
      - .offset:         0
        .size:           4
        .value_kind:     by_value
      - .actual_access:  read_only
        .address_space:  global
        .offset:         8
        .size:           8
        .value_kind:     global_buffer
      - .offset:         16
        .size:           8
        .value_kind:     by_value
      - .offset:         24
        .size:           4
        .value_kind:     by_value
      - .offset:         32
        .size:           8
        .value_kind:     by_value
      - .offset:         40
        .size:           4
        .value_kind:     by_value
      - .actual_access:  read_only
        .address_space:  global
        .offset:         48
        .size:           8
        .value_kind:     global_buffer
      - .actual_access:  write_only
        .address_space:  global
        .offset:         56
        .size:           8
        .value_kind:     global_buffer
      - .offset:         64
        .size:           4
        .value_kind:     hidden_block_count_x
      - .offset:         68
        .size:           4
        .value_kind:     hidden_block_count_y
      - .offset:         72
        .size:           4
        .value_kind:     hidden_block_count_z
      - .offset:         76
        .size:           2
        .value_kind:     hidden_group_size_x
      - .offset:         78
        .size:           2
        .value_kind:     hidden_group_size_y
      - .offset:         80
        .size:           2
        .value_kind:     hidden_group_size_z
      - .offset:         82
        .size:           2
        .value_kind:     hidden_remainder_x
      - .offset:         84
        .size:           2
        .value_kind:     hidden_remainder_y
      - .offset:         86
        .size:           2
        .value_kind:     hidden_remainder_z
      - .offset:         104
        .size:           8
        .value_kind:     hidden_global_offset_x
      - .offset:         112
        .size:           8
        .value_kind:     hidden_global_offset_y
      - .offset:         120
        .size:           8
        .value_kind:     hidden_global_offset_z
      - .offset:         128
        .size:           2
        .value_kind:     hidden_grid_dims
    .group_segment_fixed_size: 256
    .kernarg_segment_align: 8
    .kernarg_segment_size: 320
    .language:       OpenCL C
    .language_version:
      - 2
      - 0
    .max_flat_workgroup_size: 1024
    .name:           _ZL24rocblas_dot_kernel_magsqIiLb1ELi1024ELi32ELb0EDF16_PKPKDF16_fEviT5_lT_liPT6_PT4_
    .private_segment_fixed_size: 0
    .sgpr_count:     24
    .sgpr_spill_count: 0
    .symbol:         _ZL24rocblas_dot_kernel_magsqIiLb1ELi1024ELi32ELb0EDF16_PKPKDF16_fEviT5_lT_liPT6_PT4_.kd
    .uniform_work_group_size: 1
    .uses_dynamic_stack: false
    .vgpr_count:     10
    .vgpr_spill_count: 0
    .wavefront_size: 64
  - .args:
      - .offset:         0
        .size:           4
        .value_kind:     by_value
      - .actual_access:  read_only
        .address_space:  global
        .offset:         8
        .size:           8
        .value_kind:     global_buffer
      - .offset:         16
        .size:           8
        .value_kind:     by_value
      - .offset:         24
        .size:           4
        .value_kind:     by_value
      - .offset:         32
        .size:           8
        .value_kind:     by_value
      - .actual_access:  read_only
        .address_space:  global
        .offset:         40
        .size:           8
        .value_kind:     global_buffer
      - .offset:         48
        .size:           8
        .value_kind:     by_value
      - .offset:         56
        .size:           4
        .value_kind:     by_value
      - .offset:         64
        .size:           8
        .value_kind:     by_value
      - .actual_access:  read_only
        .address_space:  global
        .offset:         72
        .size:           8
        .value_kind:     global_buffer
      - .actual_access:  read_only
        .address_space:  global
        .offset:         80
        .size:           8
        .value_kind:     global_buffer
    .group_segment_fixed_size: 0
    .kernarg_segment_align: 8
    .kernarg_segment_size: 88
    .language:       OpenCL C
    .language_version:
      - 2
      - 0
    .max_flat_workgroup_size: 1024
    .name:           _ZL38rocblas_dot_kernel_gfx942_float_doubleIiLi1024EDF16_PKPKDF16_fEviT2_lT_lS4_lS5_lPT3_PT1_
    .private_segment_fixed_size: 0
    .sgpr_count:     4
    .sgpr_spill_count: 0
    .symbol:         _ZL38rocblas_dot_kernel_gfx942_float_doubleIiLi1024EDF16_PKPKDF16_fEviT2_lT_lS4_lS5_lPT3_PT1_.kd
    .uniform_work_group_size: 1
    .uses_dynamic_stack: false
    .vgpr_count:     0
    .vgpr_spill_count: 0
    .wavefront_size: 64
  - .args:
      - .offset:         0
        .size:           4
        .value_kind:     by_value
      - .actual_access:  read_only
        .address_space:  global
        .offset:         8
        .size:           8
        .value_kind:     global_buffer
      - .offset:         16
        .size:           8
        .value_kind:     by_value
      - .offset:         24
        .size:           8
        .value_kind:     by_value
      - .actual_access:  read_only
        .address_space:  global
        .offset:         32
        .size:           8
        .value_kind:     global_buffer
      - .offset:         40
        .size:           8
        .value_kind:     by_value
      - .offset:         48
        .size:           8
        .value_kind:     by_value
      - .offset:         56
        .size:           4
        .value_kind:     by_value
      - .actual_access:  write_only
        .address_space:  global
        .offset:         64
        .size:           8
        .value_kind:     global_buffer
      - .actual_access:  write_only
        .address_space:  global
        .offset:         72
        .size:           8
        .value_kind:     global_buffer
      - .offset:         80
        .size:           4
        .value_kind:     hidden_block_count_x
      - .offset:         84
        .size:           4
        .value_kind:     hidden_block_count_y
      - .offset:         88
        .size:           4
        .value_kind:     hidden_block_count_z
      - .offset:         92
        .size:           2
        .value_kind:     hidden_group_size_x
      - .offset:         94
        .size:           2
        .value_kind:     hidden_group_size_y
      - .offset:         96
        .size:           2
        .value_kind:     hidden_group_size_z
      - .offset:         98
        .size:           2
        .value_kind:     hidden_remainder_x
      - .offset:         100
        .size:           2
        .value_kind:     hidden_remainder_y
      - .offset:         102
        .size:           2
        .value_kind:     hidden_remainder_z
      - .offset:         120
        .size:           8
        .value_kind:     hidden_global_offset_x
      - .offset:         128
        .size:           8
        .value_kind:     hidden_global_offset_y
      - .offset:         136
        .size:           8
        .value_kind:     hidden_global_offset_z
      - .offset:         144
        .size:           2
        .value_kind:     hidden_grid_dims
    .group_segment_fixed_size: 256
    .kernarg_segment_align: 8
    .kernarg_segment_size: 336
    .language:       OpenCL C
    .language_version:
      - 2
      - 0
    .max_flat_workgroup_size: 512
    .name:           _ZL23rocblas_dot_kernel_inc1ILb0ELi512ELi8ELb0EDF16_PKPKDF16_fEviT4_llS4_lliPT5_PT3_
    .private_segment_fixed_size: 0
    .sgpr_count:     32
    .sgpr_spill_count: 0
    .symbol:         _ZL23rocblas_dot_kernel_inc1ILb0ELi512ELi8ELb0EDF16_PKPKDF16_fEviT4_llS4_lliPT5_PT3_.kd
    .uniform_work_group_size: 1
    .uses_dynamic_stack: false
    .vgpr_count:     14
    .vgpr_spill_count: 0
    .wavefront_size: 64
  - .args:
      - .offset:         0
        .size:           4
        .value_kind:     by_value
      - .actual_access:  read_only
        .address_space:  global
        .offset:         8
        .size:           8
        .value_kind:     global_buffer
      - .offset:         16
        .size:           8
        .value_kind:     by_value
      - .offset:         24
        .size:           4
        .value_kind:     by_value
      - .offset:         32
        .size:           8
        .value_kind:     by_value
      - .actual_access:  read_only
        .address_space:  global
        .offset:         40
        .size:           8
        .value_kind:     global_buffer
      - .offset:         48
        .size:           8
        .value_kind:     by_value
      - .offset:         56
        .size:           4
        .value_kind:     by_value
      - .offset:         64
        .size:           8
        .value_kind:     by_value
      - .offset:         72
        .size:           4
        .value_kind:     by_value
      - .actual_access:  write_only
        .address_space:  global
        .offset:         80
        .size:           8
        .value_kind:     global_buffer
      - .actual_access:  write_only
        .address_space:  global
        .offset:         88
        .size:           8
        .value_kind:     global_buffer
      - .offset:         96
        .size:           4
        .value_kind:     hidden_block_count_x
      - .offset:         100
        .size:           4
        .value_kind:     hidden_block_count_y
      - .offset:         104
        .size:           4
        .value_kind:     hidden_block_count_z
      - .offset:         108
        .size:           2
        .value_kind:     hidden_group_size_x
      - .offset:         110
        .size:           2
        .value_kind:     hidden_group_size_y
      - .offset:         112
        .size:           2
        .value_kind:     hidden_group_size_z
      - .offset:         114
        .size:           2
        .value_kind:     hidden_remainder_x
      - .offset:         116
        .size:           2
        .value_kind:     hidden_remainder_y
      - .offset:         118
        .size:           2
        .value_kind:     hidden_remainder_z
      - .offset:         136
        .size:           8
        .value_kind:     hidden_global_offset_x
      - .offset:         144
        .size:           8
        .value_kind:     hidden_global_offset_y
      - .offset:         152
        .size:           8
        .value_kind:     hidden_global_offset_z
      - .offset:         160
        .size:           2
        .value_kind:     hidden_grid_dims
    .group_segment_fixed_size: 256
    .kernarg_segment_align: 8
    .kernarg_segment_size: 352
    .language:       OpenCL C
    .language_version:
      - 2
      - 0
    .max_flat_workgroup_size: 512
    .name:           _ZL18rocblas_dot_kernelIiLb0ELi512ELi8ELb0EDF16_PKPKDF16_fEviT5_lT_lS4_lS5_liPT6_PT4_
    .private_segment_fixed_size: 0
    .sgpr_count:     32
    .sgpr_spill_count: 0
    .symbol:         _ZL18rocblas_dot_kernelIiLb0ELi512ELi8ELb0EDF16_PKPKDF16_fEviT5_lT_lS4_lS5_liPT6_PT4_.kd
    .uniform_work_group_size: 1
    .uses_dynamic_stack: false
    .vgpr_count:     11
    .vgpr_spill_count: 0
    .wavefront_size: 64
  - .args:
      - .offset:         0
        .size:           4
        .value_kind:     by_value
      - .actual_access:  read_only
        .address_space:  global
        .offset:         8
        .size:           8
        .value_kind:     global_buffer
      - .offset:         16
        .size:           8
        .value_kind:     by_value
      - .offset:         24
        .size:           4
        .value_kind:     by_value
      - .offset:         32
        .size:           8
        .value_kind:     by_value
      - .offset:         40
        .size:           4
        .value_kind:     by_value
      - .actual_access:  write_only
        .address_space:  global
        .offset:         48
        .size:           8
        .value_kind:     global_buffer
      - .actual_access:  write_only
        .address_space:  global
        .offset:         56
        .size:           8
        .value_kind:     global_buffer
      - .offset:         64
        .size:           4
        .value_kind:     hidden_block_count_x
      - .offset:         68
        .size:           4
        .value_kind:     hidden_block_count_y
      - .offset:         72
        .size:           4
        .value_kind:     hidden_block_count_z
      - .offset:         76
        .size:           2
        .value_kind:     hidden_group_size_x
      - .offset:         78
        .size:           2
        .value_kind:     hidden_group_size_y
      - .offset:         80
        .size:           2
        .value_kind:     hidden_group_size_z
      - .offset:         82
        .size:           2
        .value_kind:     hidden_remainder_x
      - .offset:         84
        .size:           2
        .value_kind:     hidden_remainder_y
      - .offset:         86
        .size:           2
        .value_kind:     hidden_remainder_z
      - .offset:         104
        .size:           8
        .value_kind:     hidden_global_offset_x
      - .offset:         112
        .size:           8
        .value_kind:     hidden_global_offset_y
      - .offset:         120
        .size:           8
        .value_kind:     hidden_global_offset_z
      - .offset:         128
        .size:           2
        .value_kind:     hidden_grid_dims
    .group_segment_fixed_size: 256
    .kernarg_segment_align: 8
    .kernarg_segment_size: 320
    .language:       OpenCL C
    .language_version:
      - 2
      - 0
    .max_flat_workgroup_size: 512
    .name:           _ZL24rocblas_dot_kernel_magsqIiLb0ELi512ELi8ELb0EDF16_PKPKDF16_fEviT5_lT_liPT6_PT4_
    .private_segment_fixed_size: 0
    .sgpr_count:     28
    .sgpr_spill_count: 0
    .symbol:         _ZL24rocblas_dot_kernel_magsqIiLb0ELi512ELi8ELb0EDF16_PKPKDF16_fEviT5_lT_liPT6_PT4_.kd
    .uniform_work_group_size: 1
    .uses_dynamic_stack: false
    .vgpr_count:     9
    .vgpr_spill_count: 0
    .wavefront_size: 64
  - .args:
      - .offset:         0
        .size:           4
        .value_kind:     by_value
      - .actual_access:  read_only
        .address_space:  global
        .offset:         8
        .size:           8
        .value_kind:     global_buffer
      - .offset:         16
        .size:           8
        .value_kind:     by_value
      - .offset:         24
        .size:           4
        .value_kind:     by_value
      - .offset:         32
        .size:           8
        .value_kind:     by_value
      - .actual_access:  read_only
        .address_space:  global
        .offset:         40
        .size:           8
        .value_kind:     global_buffer
      - .offset:         48
        .size:           8
        .value_kind:     by_value
      - .offset:         56
        .size:           4
        .value_kind:     by_value
      - .offset:         64
        .size:           8
        .value_kind:     by_value
      - .offset:         72
        .size:           4
        .value_kind:     by_value
      - .actual_access:  write_only
        .address_space:  global
        .offset:         80
        .size:           8
        .value_kind:     global_buffer
    .group_segment_fixed_size: 0
    .kernarg_segment_align: 8
    .kernarg_segment_size: 88
    .language:       OpenCL C
    .language_version:
      - 2
      - 0
    .max_flat_workgroup_size: 128
    .name:           _ZL28rocblas_dot_batched_4_kernelIiLi32ELi4ELb1EfDF16_PKDF16_EviT5_lT_lS2_lS3_liPT4_
    .private_segment_fixed_size: 0
    .sgpr_count:     26
    .sgpr_spill_count: 0
    .symbol:         _ZL28rocblas_dot_batched_4_kernelIiLi32ELi4ELb1EfDF16_PKDF16_EviT5_lT_lS2_lS3_liPT4_.kd
    .uniform_work_group_size: 1
    .uses_dynamic_stack: false
    .vgpr_count:     13
    .vgpr_spill_count: 0
    .wavefront_size: 64
  - .args:
      - .offset:         0
        .size:           4
        .value_kind:     by_value
      - .actual_access:  read_only
        .address_space:  global
        .offset:         8
        .size:           8
        .value_kind:     global_buffer
      - .offset:         16
        .size:           8
        .value_kind:     by_value
      - .offset:         24
        .size:           4
        .value_kind:     by_value
      - .offset:         32
        .size:           8
        .value_kind:     by_value
      - .actual_access:  read_only
        .address_space:  global
        .offset:         40
        .size:           8
        .value_kind:     global_buffer
      - .offset:         48
        .size:           8
        .value_kind:     by_value
      - .offset:         56
        .size:           4
        .value_kind:     by_value
      - .offset:         64
        .size:           8
        .value_kind:     by_value
      - .offset:         72
        .size:           4
        .value_kind:     by_value
      - .actual_access:  write_only
        .address_space:  global
        .offset:         80
        .size:           8
        .value_kind:     global_buffer
    .group_segment_fixed_size: 0
    .kernarg_segment_align: 8
    .kernarg_segment_size: 88
    .language:       OpenCL C
    .language_version:
      - 2
      - 0
    .max_flat_workgroup_size: 256
    .name:           _ZL28rocblas_dot_batched_4_kernelIiLi64ELi4ELb1EfDF16_PKDF16_EviT5_lT_lS2_lS3_liPT4_
    .private_segment_fixed_size: 0
    .sgpr_count:     26
    .sgpr_spill_count: 0
    .symbol:         _ZL28rocblas_dot_batched_4_kernelIiLi64ELi4ELb1EfDF16_PKDF16_EviT5_lT_lS2_lS3_liPT4_.kd
    .uniform_work_group_size: 1
    .uses_dynamic_stack: false
    .vgpr_count:     13
    .vgpr_spill_count: 0
    .wavefront_size: 64
  - .args:
      - .offset:         0
        .size:           4
        .value_kind:     by_value
      - .actual_access:  read_only
        .address_space:  global
        .offset:         8
        .size:           8
        .value_kind:     global_buffer
      - .offset:         16
        .size:           8
        .value_kind:     by_value
      - .offset:         24
        .size:           8
        .value_kind:     by_value
      - .actual_access:  read_only
        .address_space:  global
        .offset:         32
        .size:           8
        .value_kind:     global_buffer
      - .offset:         40
        .size:           8
        .value_kind:     by_value
      - .offset:         48
        .size:           8
        .value_kind:     by_value
      - .offset:         56
        .size:           4
        .value_kind:     by_value
      - .actual_access:  read_only
        .address_space:  global
        .offset:         64
        .size:           8
        .value_kind:     global_buffer
      - .actual_access:  write_only
        .address_space:  global
        .offset:         72
        .size:           8
        .value_kind:     global_buffer
    .group_segment_fixed_size: 256
    .kernarg_segment_align: 8
    .kernarg_segment_size: 80
    .language:       OpenCL C
    .language_version:
      - 2
      - 0
    .max_flat_workgroup_size: 1024
    .name:           _ZL26rocblas_dot_kernel_inc1by2ILb1ELi1024ELi32ELb1EDF16_PKDF16_fEviT4_llS2_lliPT5_PT3_
    .private_segment_fixed_size: 0
    .sgpr_count:     32
    .sgpr_spill_count: 0
    .symbol:         _ZL26rocblas_dot_kernel_inc1by2ILb1ELi1024ELi32ELb1EDF16_PKDF16_fEviT4_llS2_lliPT5_PT3_.kd
    .uniform_work_group_size: 1
    .uses_dynamic_stack: false
    .vgpr_count:     10
    .vgpr_spill_count: 0
    .wavefront_size: 64
  - .args:
      - .offset:         0
        .size:           4
        .value_kind:     by_value
      - .actual_access:  read_only
        .address_space:  global
        .offset:         8
        .size:           8
        .value_kind:     global_buffer
      - .offset:         16
        .size:           8
        .value_kind:     by_value
      - .offset:         24
        .size:           4
        .value_kind:     by_value
      - .offset:         32
        .size:           8
        .value_kind:     by_value
      - .actual_access:  read_only
        .address_space:  global
        .offset:         40
        .size:           8
        .value_kind:     global_buffer
      - .offset:         48
        .size:           8
        .value_kind:     by_value
      - .offset:         56
        .size:           4
        .value_kind:     by_value
      - .offset:         64
        .size:           8
        .value_kind:     by_value
      - .offset:         72
        .size:           4
        .value_kind:     by_value
      - .actual_access:  read_only
        .address_space:  global
        .offset:         80
        .size:           8
        .value_kind:     global_buffer
      - .actual_access:  write_only
        .address_space:  global
        .offset:         88
        .size:           8
        .value_kind:     global_buffer
      - .offset:         96
        .size:           4
        .value_kind:     hidden_block_count_x
      - .offset:         100
        .size:           4
        .value_kind:     hidden_block_count_y
      - .offset:         104
        .size:           4
        .value_kind:     hidden_block_count_z
      - .offset:         108
        .size:           2
        .value_kind:     hidden_group_size_x
      - .offset:         110
        .size:           2
        .value_kind:     hidden_group_size_y
      - .offset:         112
        .size:           2
        .value_kind:     hidden_group_size_z
      - .offset:         114
        .size:           2
        .value_kind:     hidden_remainder_x
      - .offset:         116
        .size:           2
        .value_kind:     hidden_remainder_y
      - .offset:         118
        .size:           2
        .value_kind:     hidden_remainder_z
      - .offset:         136
        .size:           8
        .value_kind:     hidden_global_offset_x
      - .offset:         144
        .size:           8
        .value_kind:     hidden_global_offset_y
      - .offset:         152
        .size:           8
        .value_kind:     hidden_global_offset_z
      - .offset:         160
        .size:           2
        .value_kind:     hidden_grid_dims
    .group_segment_fixed_size: 256
    .kernarg_segment_align: 8
    .kernarg_segment_size: 352
    .language:       OpenCL C
    .language_version:
      - 2
      - 0
    .max_flat_workgroup_size: 1024
    .name:           _ZL18rocblas_dot_kernelIiLb1ELi1024ELi32ELb1EDF16_PKDF16_fEviT5_lT_lS2_lS3_liPT6_PT4_
    .private_segment_fixed_size: 0
    .sgpr_count:     29
    .sgpr_spill_count: 0
    .symbol:         _ZL18rocblas_dot_kernelIiLb1ELi1024ELi32ELb1EDF16_PKDF16_fEviT5_lT_lS2_lS3_liPT6_PT4_.kd
    .uniform_work_group_size: 1
    .uses_dynamic_stack: false
    .vgpr_count:     11
    .vgpr_spill_count: 0
    .wavefront_size: 64
  - .args:
      - .offset:         0
        .size:           4
        .value_kind:     by_value
      - .actual_access:  read_only
        .address_space:  global
        .offset:         8
        .size:           8
        .value_kind:     global_buffer
      - .offset:         16
        .size:           8
        .value_kind:     by_value
      - .offset:         24
        .size:           4
        .value_kind:     by_value
      - .offset:         32
        .size:           8
        .value_kind:     by_value
      - .offset:         40
        .size:           4
        .value_kind:     by_value
      - .actual_access:  read_only
        .address_space:  global
        .offset:         48
        .size:           8
        .value_kind:     global_buffer
      - .actual_access:  write_only
        .address_space:  global
        .offset:         56
        .size:           8
        .value_kind:     global_buffer
      - .offset:         64
        .size:           4
        .value_kind:     hidden_block_count_x
      - .offset:         68
        .size:           4
        .value_kind:     hidden_block_count_y
      - .offset:         72
        .size:           4
        .value_kind:     hidden_block_count_z
      - .offset:         76
        .size:           2
        .value_kind:     hidden_group_size_x
      - .offset:         78
        .size:           2
        .value_kind:     hidden_group_size_y
      - .offset:         80
        .size:           2
        .value_kind:     hidden_group_size_z
      - .offset:         82
        .size:           2
        .value_kind:     hidden_remainder_x
      - .offset:         84
        .size:           2
        .value_kind:     hidden_remainder_y
      - .offset:         86
        .size:           2
        .value_kind:     hidden_remainder_z
      - .offset:         104
        .size:           8
        .value_kind:     hidden_global_offset_x
      - .offset:         112
        .size:           8
        .value_kind:     hidden_global_offset_y
      - .offset:         120
        .size:           8
        .value_kind:     hidden_global_offset_z
      - .offset:         128
        .size:           2
        .value_kind:     hidden_grid_dims
    .group_segment_fixed_size: 256
    .kernarg_segment_align: 8
    .kernarg_segment_size: 320
    .language:       OpenCL C
    .language_version:
      - 2
      - 0
    .max_flat_workgroup_size: 1024
    .name:           _ZL24rocblas_dot_kernel_magsqIiLb1ELi1024ELi32ELb1EDF16_PKDF16_fEviT5_lT_liPT6_PT4_
    .private_segment_fixed_size: 0
    .sgpr_count:     24
    .sgpr_spill_count: 0
    .symbol:         _ZL24rocblas_dot_kernel_magsqIiLb1ELi1024ELi32ELb1EDF16_PKDF16_fEviT5_lT_liPT6_PT4_.kd
    .uniform_work_group_size: 1
    .uses_dynamic_stack: false
    .vgpr_count:     10
    .vgpr_spill_count: 0
    .wavefront_size: 64
  - .args:
      - .offset:         0
        .size:           4
        .value_kind:     by_value
      - .actual_access:  read_only
        .address_space:  global
        .offset:         8
        .size:           8
        .value_kind:     global_buffer
      - .offset:         16
        .size:           8
        .value_kind:     by_value
      - .offset:         24
        .size:           8
        .value_kind:     by_value
      - .actual_access:  read_only
        .address_space:  global
        .offset:         32
        .size:           8
        .value_kind:     global_buffer
      - .offset:         40
        .size:           8
        .value_kind:     by_value
      - .offset:         48
        .size:           8
        .value_kind:     by_value
      - .offset:         56
        .size:           4
        .value_kind:     by_value
      - .actual_access:  write_only
        .address_space:  global
        .offset:         64
        .size:           8
        .value_kind:     global_buffer
      - .actual_access:  write_only
        .address_space:  global
        .offset:         72
        .size:           8
        .value_kind:     global_buffer
      - .offset:         80
        .size:           4
        .value_kind:     hidden_block_count_x
      - .offset:         84
        .size:           4
        .value_kind:     hidden_block_count_y
      - .offset:         88
        .size:           4
        .value_kind:     hidden_block_count_z
      - .offset:         92
        .size:           2
        .value_kind:     hidden_group_size_x
      - .offset:         94
        .size:           2
        .value_kind:     hidden_group_size_y
      - .offset:         96
        .size:           2
        .value_kind:     hidden_group_size_z
      - .offset:         98
        .size:           2
        .value_kind:     hidden_remainder_x
      - .offset:         100
        .size:           2
        .value_kind:     hidden_remainder_y
      - .offset:         102
        .size:           2
        .value_kind:     hidden_remainder_z
      - .offset:         120
        .size:           8
        .value_kind:     hidden_global_offset_x
      - .offset:         128
        .size:           8
        .value_kind:     hidden_global_offset_y
      - .offset:         136
        .size:           8
        .value_kind:     hidden_global_offset_z
      - .offset:         144
        .size:           2
        .value_kind:     hidden_grid_dims
    .group_segment_fixed_size: 256
    .kernarg_segment_align: 8
    .kernarg_segment_size: 336
    .language:       OpenCL C
    .language_version:
      - 2
      - 0
    .max_flat_workgroup_size: 512
    .name:           _ZL23rocblas_dot_kernel_inc1ILb0ELi512ELi8ELb1EDF16_PKDF16_fEviT4_llS2_lliPT5_PT3_
    .private_segment_fixed_size: 0
    .sgpr_count:     32
    .sgpr_spill_count: 0
    .symbol:         _ZL23rocblas_dot_kernel_inc1ILb0ELi512ELi8ELb1EDF16_PKDF16_fEviT4_llS2_lliPT5_PT3_.kd
    .uniform_work_group_size: 1
    .uses_dynamic_stack: false
    .vgpr_count:     14
    .vgpr_spill_count: 0
    .wavefront_size: 64
  - .args:
      - .offset:         0
        .size:           4
        .value_kind:     by_value
      - .actual_access:  read_only
        .address_space:  global
        .offset:         8
        .size:           8
        .value_kind:     global_buffer
      - .offset:         16
        .size:           8
        .value_kind:     by_value
      - .offset:         24
        .size:           4
        .value_kind:     by_value
      - .offset:         32
        .size:           8
        .value_kind:     by_value
      - .actual_access:  read_only
        .address_space:  global
        .offset:         40
        .size:           8
        .value_kind:     global_buffer
      - .offset:         48
        .size:           8
        .value_kind:     by_value
      - .offset:         56
        .size:           4
        .value_kind:     by_value
      - .offset:         64
        .size:           8
        .value_kind:     by_value
      - .offset:         72
        .size:           4
        .value_kind:     by_value
      - .actual_access:  write_only
        .address_space:  global
        .offset:         80
        .size:           8
        .value_kind:     global_buffer
      - .actual_access:  write_only
        .address_space:  global
        .offset:         88
        .size:           8
        .value_kind:     global_buffer
      - .offset:         96
        .size:           4
        .value_kind:     hidden_block_count_x
      - .offset:         100
        .size:           4
        .value_kind:     hidden_block_count_y
      - .offset:         104
        .size:           4
        .value_kind:     hidden_block_count_z
      - .offset:         108
        .size:           2
        .value_kind:     hidden_group_size_x
      - .offset:         110
        .size:           2
        .value_kind:     hidden_group_size_y
      - .offset:         112
        .size:           2
        .value_kind:     hidden_group_size_z
      - .offset:         114
        .size:           2
        .value_kind:     hidden_remainder_x
      - .offset:         116
        .size:           2
        .value_kind:     hidden_remainder_y
      - .offset:         118
        .size:           2
        .value_kind:     hidden_remainder_z
      - .offset:         136
        .size:           8
        .value_kind:     hidden_global_offset_x
      - .offset:         144
        .size:           8
        .value_kind:     hidden_global_offset_y
      - .offset:         152
        .size:           8
        .value_kind:     hidden_global_offset_z
      - .offset:         160
        .size:           2
        .value_kind:     hidden_grid_dims
    .group_segment_fixed_size: 256
    .kernarg_segment_align: 8
    .kernarg_segment_size: 352
    .language:       OpenCL C
    .language_version:
      - 2
      - 0
    .max_flat_workgroup_size: 512
    .name:           _ZL18rocblas_dot_kernelIiLb0ELi512ELi8ELb1EDF16_PKDF16_fEviT5_lT_lS2_lS3_liPT6_PT4_
    .private_segment_fixed_size: 0
    .sgpr_count:     32
    .sgpr_spill_count: 0
    .symbol:         _ZL18rocblas_dot_kernelIiLb0ELi512ELi8ELb1EDF16_PKDF16_fEviT5_lT_lS2_lS3_liPT6_PT4_.kd
    .uniform_work_group_size: 1
    .uses_dynamic_stack: false
    .vgpr_count:     11
    .vgpr_spill_count: 0
    .wavefront_size: 64
  - .args:
      - .offset:         0
        .size:           4
        .value_kind:     by_value
      - .actual_access:  read_only
        .address_space:  global
        .offset:         8
        .size:           8
        .value_kind:     global_buffer
      - .offset:         16
        .size:           8
        .value_kind:     by_value
      - .offset:         24
        .size:           4
        .value_kind:     by_value
      - .offset:         32
        .size:           8
        .value_kind:     by_value
      - .offset:         40
        .size:           4
        .value_kind:     by_value
      - .actual_access:  write_only
        .address_space:  global
        .offset:         48
        .size:           8
        .value_kind:     global_buffer
      - .actual_access:  write_only
        .address_space:  global
        .offset:         56
        .size:           8
        .value_kind:     global_buffer
      - .offset:         64
        .size:           4
        .value_kind:     hidden_block_count_x
      - .offset:         68
        .size:           4
        .value_kind:     hidden_block_count_y
      - .offset:         72
        .size:           4
        .value_kind:     hidden_block_count_z
      - .offset:         76
        .size:           2
        .value_kind:     hidden_group_size_x
      - .offset:         78
        .size:           2
        .value_kind:     hidden_group_size_y
      - .offset:         80
        .size:           2
        .value_kind:     hidden_group_size_z
      - .offset:         82
        .size:           2
        .value_kind:     hidden_remainder_x
      - .offset:         84
        .size:           2
        .value_kind:     hidden_remainder_y
      - .offset:         86
        .size:           2
        .value_kind:     hidden_remainder_z
      - .offset:         104
        .size:           8
        .value_kind:     hidden_global_offset_x
      - .offset:         112
        .size:           8
        .value_kind:     hidden_global_offset_y
      - .offset:         120
        .size:           8
        .value_kind:     hidden_global_offset_z
      - .offset:         128
        .size:           2
        .value_kind:     hidden_grid_dims
    .group_segment_fixed_size: 256
    .kernarg_segment_align: 8
    .kernarg_segment_size: 320
    .language:       OpenCL C
    .language_version:
      - 2
      - 0
    .max_flat_workgroup_size: 512
    .name:           _ZL24rocblas_dot_kernel_magsqIiLb0ELi512ELi8ELb1EDF16_PKDF16_fEviT5_lT_liPT6_PT4_
    .private_segment_fixed_size: 0
    .sgpr_count:     28
    .sgpr_spill_count: 0
    .symbol:         _ZL24rocblas_dot_kernel_magsqIiLb0ELi512ELi8ELb1EDF16_PKDF16_fEviT5_lT_liPT6_PT4_.kd
    .uniform_work_group_size: 1
    .uses_dynamic_stack: false
    .vgpr_count:     9
    .vgpr_spill_count: 0
    .wavefront_size: 64
  - .args:
      - .offset:         0
        .size:           4
        .value_kind:     by_value
      - .actual_access:  read_only
        .address_space:  global
        .offset:         8
        .size:           8
        .value_kind:     global_buffer
      - .offset:         16
        .size:           8
        .value_kind:     by_value
      - .offset:         24
        .size:           4
        .value_kind:     by_value
      - .offset:         32
        .size:           8
        .value_kind:     by_value
      - .actual_access:  read_only
        .address_space:  global
        .offset:         40
        .size:           8
        .value_kind:     global_buffer
      - .offset:         48
        .size:           8
        .value_kind:     by_value
      - .offset:         56
        .size:           4
        .value_kind:     by_value
      - .offset:         64
        .size:           8
        .value_kind:     by_value
      - .offset:         72
        .size:           4
        .value_kind:     by_value
      - .actual_access:  write_only
        .address_space:  global
        .offset:         80
        .size:           8
        .value_kind:     global_buffer
    .group_segment_fixed_size: 0
    .kernarg_segment_align: 8
    .kernarg_segment_size: 88
    .language:       OpenCL C
    .language_version:
      - 2
      - 0
    .max_flat_workgroup_size: 128
    .name:           _ZL28rocblas_dot_batched_4_kernelIiLi32ELi4ELb1EfDF16_PKPKDF16_EviT5_lT_lS4_lS5_liPT4_
    .private_segment_fixed_size: 0
    .sgpr_count:     22
    .sgpr_spill_count: 0
    .symbol:         _ZL28rocblas_dot_batched_4_kernelIiLi32ELi4ELb1EfDF16_PKPKDF16_EviT5_lT_lS4_lS5_liPT4_.kd
    .uniform_work_group_size: 1
    .uses_dynamic_stack: false
    .vgpr_count:     16
    .vgpr_spill_count: 0
    .wavefront_size: 64
  - .args:
      - .offset:         0
        .size:           4
        .value_kind:     by_value
      - .actual_access:  read_only
        .address_space:  global
        .offset:         8
        .size:           8
        .value_kind:     global_buffer
      - .offset:         16
        .size:           8
        .value_kind:     by_value
      - .offset:         24
        .size:           4
        .value_kind:     by_value
      - .offset:         32
        .size:           8
        .value_kind:     by_value
      - .actual_access:  read_only
        .address_space:  global
        .offset:         40
        .size:           8
        .value_kind:     global_buffer
      - .offset:         48
        .size:           8
        .value_kind:     by_value
      - .offset:         56
        .size:           4
        .value_kind:     by_value
      - .offset:         64
        .size:           8
        .value_kind:     by_value
      - .offset:         72
        .size:           4
        .value_kind:     by_value
      - .actual_access:  write_only
        .address_space:  global
        .offset:         80
        .size:           8
        .value_kind:     global_buffer
    .group_segment_fixed_size: 0
    .kernarg_segment_align: 8
    .kernarg_segment_size: 88
    .language:       OpenCL C
    .language_version:
      - 2
      - 0
    .max_flat_workgroup_size: 256
    .name:           _ZL28rocblas_dot_batched_4_kernelIiLi64ELi4ELb1EfDF16_PKPKDF16_EviT5_lT_lS4_lS5_liPT4_
    .private_segment_fixed_size: 0
    .sgpr_count:     24
    .sgpr_spill_count: 0
    .symbol:         _ZL28rocblas_dot_batched_4_kernelIiLi64ELi4ELb1EfDF16_PKPKDF16_EviT5_lT_lS4_lS5_liPT4_.kd
    .uniform_work_group_size: 1
    .uses_dynamic_stack: false
    .vgpr_count:     14
    .vgpr_spill_count: 0
    .wavefront_size: 64
  - .args:
      - .offset:         0
        .size:           4
        .value_kind:     by_value
      - .actual_access:  read_only
        .address_space:  global
        .offset:         8
        .size:           8
        .value_kind:     global_buffer
      - .offset:         16
        .size:           8
        .value_kind:     by_value
      - .offset:         24
        .size:           8
        .value_kind:     by_value
      - .actual_access:  read_only
        .address_space:  global
        .offset:         32
        .size:           8
        .value_kind:     global_buffer
      - .offset:         40
        .size:           8
        .value_kind:     by_value
      - .offset:         48
        .size:           8
        .value_kind:     by_value
      - .offset:         56
        .size:           4
        .value_kind:     by_value
      - .actual_access:  read_only
        .address_space:  global
        .offset:         64
        .size:           8
        .value_kind:     global_buffer
      - .actual_access:  write_only
        .address_space:  global
        .offset:         72
        .size:           8
        .value_kind:     global_buffer
    .group_segment_fixed_size: 256
    .kernarg_segment_align: 8
    .kernarg_segment_size: 80
    .language:       OpenCL C
    .language_version:
      - 2
      - 0
    .max_flat_workgroup_size: 1024
    .name:           _ZL26rocblas_dot_kernel_inc1by2ILb1ELi1024ELi32ELb1EDF16_PKPKDF16_fEviT4_llS4_lliPT5_PT3_
    .private_segment_fixed_size: 0
    .sgpr_count:     28
    .sgpr_spill_count: 0
    .symbol:         _ZL26rocblas_dot_kernel_inc1by2ILb1ELi1024ELi32ELb1EDF16_PKPKDF16_fEviT4_llS4_lliPT5_PT3_.kd
    .uniform_work_group_size: 1
    .uses_dynamic_stack: false
    .vgpr_count:     10
    .vgpr_spill_count: 0
    .wavefront_size: 64
  - .args:
      - .offset:         0
        .size:           4
        .value_kind:     by_value
      - .actual_access:  read_only
        .address_space:  global
        .offset:         8
        .size:           8
        .value_kind:     global_buffer
      - .offset:         16
        .size:           8
        .value_kind:     by_value
      - .offset:         24
        .size:           4
        .value_kind:     by_value
      - .offset:         32
        .size:           8
        .value_kind:     by_value
      - .actual_access:  read_only
        .address_space:  global
        .offset:         40
        .size:           8
        .value_kind:     global_buffer
      - .offset:         48
        .size:           8
        .value_kind:     by_value
      - .offset:         56
        .size:           4
        .value_kind:     by_value
      - .offset:         64
        .size:           8
        .value_kind:     by_value
      - .offset:         72
        .size:           4
        .value_kind:     by_value
      - .actual_access:  read_only
        .address_space:  global
        .offset:         80
        .size:           8
        .value_kind:     global_buffer
      - .actual_access:  write_only
        .address_space:  global
        .offset:         88
        .size:           8
        .value_kind:     global_buffer
      - .offset:         96
        .size:           4
        .value_kind:     hidden_block_count_x
      - .offset:         100
        .size:           4
        .value_kind:     hidden_block_count_y
      - .offset:         104
        .size:           4
        .value_kind:     hidden_block_count_z
      - .offset:         108
        .size:           2
        .value_kind:     hidden_group_size_x
      - .offset:         110
        .size:           2
        .value_kind:     hidden_group_size_y
      - .offset:         112
        .size:           2
        .value_kind:     hidden_group_size_z
      - .offset:         114
        .size:           2
        .value_kind:     hidden_remainder_x
      - .offset:         116
        .size:           2
        .value_kind:     hidden_remainder_y
      - .offset:         118
        .size:           2
        .value_kind:     hidden_remainder_z
      - .offset:         136
        .size:           8
        .value_kind:     hidden_global_offset_x
      - .offset:         144
        .size:           8
        .value_kind:     hidden_global_offset_y
      - .offset:         152
        .size:           8
        .value_kind:     hidden_global_offset_z
      - .offset:         160
        .size:           2
        .value_kind:     hidden_grid_dims
    .group_segment_fixed_size: 256
    .kernarg_segment_align: 8
    .kernarg_segment_size: 352
    .language:       OpenCL C
    .language_version:
      - 2
      - 0
    .max_flat_workgroup_size: 1024
    .name:           _ZL18rocblas_dot_kernelIiLb1ELi1024ELi32ELb1EDF16_PKPKDF16_fEviT5_lT_lS4_lS5_liPT6_PT4_
    .private_segment_fixed_size: 0
    .sgpr_count:     28
    .sgpr_spill_count: 0
    .symbol:         _ZL18rocblas_dot_kernelIiLb1ELi1024ELi32ELb1EDF16_PKPKDF16_fEviT5_lT_lS4_lS5_liPT6_PT4_.kd
    .uniform_work_group_size: 1
    .uses_dynamic_stack: false
    .vgpr_count:     11
    .vgpr_spill_count: 0
    .wavefront_size: 64
  - .args:
      - .offset:         0
        .size:           4
        .value_kind:     by_value
      - .actual_access:  read_only
        .address_space:  global
        .offset:         8
        .size:           8
        .value_kind:     global_buffer
      - .offset:         16
        .size:           8
        .value_kind:     by_value
      - .offset:         24
        .size:           4
        .value_kind:     by_value
      - .offset:         32
        .size:           8
        .value_kind:     by_value
      - .offset:         40
        .size:           4
        .value_kind:     by_value
      - .actual_access:  read_only
        .address_space:  global
        .offset:         48
        .size:           8
        .value_kind:     global_buffer
      - .actual_access:  write_only
        .address_space:  global
        .offset:         56
        .size:           8
        .value_kind:     global_buffer
      - .offset:         64
        .size:           4
        .value_kind:     hidden_block_count_x
      - .offset:         68
        .size:           4
        .value_kind:     hidden_block_count_y
      - .offset:         72
        .size:           4
        .value_kind:     hidden_block_count_z
      - .offset:         76
        .size:           2
        .value_kind:     hidden_group_size_x
      - .offset:         78
        .size:           2
        .value_kind:     hidden_group_size_y
      - .offset:         80
        .size:           2
        .value_kind:     hidden_group_size_z
      - .offset:         82
        .size:           2
        .value_kind:     hidden_remainder_x
      - .offset:         84
        .size:           2
        .value_kind:     hidden_remainder_y
      - .offset:         86
        .size:           2
        .value_kind:     hidden_remainder_z
      - .offset:         104
        .size:           8
        .value_kind:     hidden_global_offset_x
      - .offset:         112
        .size:           8
        .value_kind:     hidden_global_offset_y
      - .offset:         120
        .size:           8
        .value_kind:     hidden_global_offset_z
      - .offset:         128
        .size:           2
        .value_kind:     hidden_grid_dims
    .group_segment_fixed_size: 256
    .kernarg_segment_align: 8
    .kernarg_segment_size: 320
    .language:       OpenCL C
    .language_version:
      - 2
      - 0
    .max_flat_workgroup_size: 1024
    .name:           _ZL24rocblas_dot_kernel_magsqIiLb1ELi1024ELi32ELb1EDF16_PKPKDF16_fEviT5_lT_liPT6_PT4_
    .private_segment_fixed_size: 0
    .sgpr_count:     24
    .sgpr_spill_count: 0
    .symbol:         _ZL24rocblas_dot_kernel_magsqIiLb1ELi1024ELi32ELb1EDF16_PKPKDF16_fEviT5_lT_liPT6_PT4_.kd
    .uniform_work_group_size: 1
    .uses_dynamic_stack: false
    .vgpr_count:     10
    .vgpr_spill_count: 0
    .wavefront_size: 64
  - .args:
      - .offset:         0
        .size:           4
        .value_kind:     by_value
      - .actual_access:  read_only
        .address_space:  global
        .offset:         8
        .size:           8
        .value_kind:     global_buffer
      - .offset:         16
        .size:           8
        .value_kind:     by_value
      - .offset:         24
        .size:           8
        .value_kind:     by_value
      - .actual_access:  read_only
        .address_space:  global
        .offset:         32
        .size:           8
        .value_kind:     global_buffer
      - .offset:         40
        .size:           8
        .value_kind:     by_value
      - .offset:         48
        .size:           8
        .value_kind:     by_value
      - .offset:         56
        .size:           4
        .value_kind:     by_value
      - .actual_access:  write_only
        .address_space:  global
        .offset:         64
        .size:           8
        .value_kind:     global_buffer
      - .actual_access:  write_only
        .address_space:  global
        .offset:         72
        .size:           8
        .value_kind:     global_buffer
      - .offset:         80
        .size:           4
        .value_kind:     hidden_block_count_x
      - .offset:         84
        .size:           4
        .value_kind:     hidden_block_count_y
      - .offset:         88
        .size:           4
        .value_kind:     hidden_block_count_z
      - .offset:         92
        .size:           2
        .value_kind:     hidden_group_size_x
      - .offset:         94
        .size:           2
        .value_kind:     hidden_group_size_y
      - .offset:         96
        .size:           2
        .value_kind:     hidden_group_size_z
      - .offset:         98
        .size:           2
        .value_kind:     hidden_remainder_x
      - .offset:         100
        .size:           2
        .value_kind:     hidden_remainder_y
      - .offset:         102
        .size:           2
        .value_kind:     hidden_remainder_z
      - .offset:         120
        .size:           8
        .value_kind:     hidden_global_offset_x
      - .offset:         128
        .size:           8
        .value_kind:     hidden_global_offset_y
      - .offset:         136
        .size:           8
        .value_kind:     hidden_global_offset_z
      - .offset:         144
        .size:           2
        .value_kind:     hidden_grid_dims
    .group_segment_fixed_size: 256
    .kernarg_segment_align: 8
    .kernarg_segment_size: 336
    .language:       OpenCL C
    .language_version:
      - 2
      - 0
    .max_flat_workgroup_size: 512
    .name:           _ZL23rocblas_dot_kernel_inc1ILb0ELi512ELi8ELb1EDF16_PKPKDF16_fEviT4_llS4_lliPT5_PT3_
    .private_segment_fixed_size: 0
    .sgpr_count:     32
    .sgpr_spill_count: 0
    .symbol:         _ZL23rocblas_dot_kernel_inc1ILb0ELi512ELi8ELb1EDF16_PKPKDF16_fEviT4_llS4_lliPT5_PT3_.kd
    .uniform_work_group_size: 1
    .uses_dynamic_stack: false
    .vgpr_count:     14
    .vgpr_spill_count: 0
    .wavefront_size: 64
  - .args:
      - .offset:         0
        .size:           4
        .value_kind:     by_value
      - .actual_access:  read_only
        .address_space:  global
        .offset:         8
        .size:           8
        .value_kind:     global_buffer
      - .offset:         16
        .size:           8
        .value_kind:     by_value
      - .offset:         24
        .size:           4
        .value_kind:     by_value
      - .offset:         32
        .size:           8
        .value_kind:     by_value
      - .actual_access:  read_only
        .address_space:  global
        .offset:         40
        .size:           8
        .value_kind:     global_buffer
      - .offset:         48
        .size:           8
        .value_kind:     by_value
      - .offset:         56
        .size:           4
        .value_kind:     by_value
      - .offset:         64
        .size:           8
        .value_kind:     by_value
      - .offset:         72
        .size:           4
        .value_kind:     by_value
      - .actual_access:  write_only
        .address_space:  global
        .offset:         80
        .size:           8
        .value_kind:     global_buffer
      - .actual_access:  write_only
        .address_space:  global
        .offset:         88
        .size:           8
        .value_kind:     global_buffer
      - .offset:         96
        .size:           4
        .value_kind:     hidden_block_count_x
      - .offset:         100
        .size:           4
        .value_kind:     hidden_block_count_y
      - .offset:         104
        .size:           4
        .value_kind:     hidden_block_count_z
      - .offset:         108
        .size:           2
        .value_kind:     hidden_group_size_x
      - .offset:         110
        .size:           2
        .value_kind:     hidden_group_size_y
      - .offset:         112
        .size:           2
        .value_kind:     hidden_group_size_z
      - .offset:         114
        .size:           2
        .value_kind:     hidden_remainder_x
      - .offset:         116
        .size:           2
        .value_kind:     hidden_remainder_y
      - .offset:         118
        .size:           2
        .value_kind:     hidden_remainder_z
      - .offset:         136
        .size:           8
        .value_kind:     hidden_global_offset_x
      - .offset:         144
        .size:           8
        .value_kind:     hidden_global_offset_y
      - .offset:         152
        .size:           8
        .value_kind:     hidden_global_offset_z
      - .offset:         160
        .size:           2
        .value_kind:     hidden_grid_dims
    .group_segment_fixed_size: 256
    .kernarg_segment_align: 8
    .kernarg_segment_size: 352
    .language:       OpenCL C
    .language_version:
      - 2
      - 0
    .max_flat_workgroup_size: 512
    .name:           _ZL18rocblas_dot_kernelIiLb0ELi512ELi8ELb1EDF16_PKPKDF16_fEviT5_lT_lS4_lS5_liPT6_PT4_
    .private_segment_fixed_size: 0
    .sgpr_count:     32
    .sgpr_spill_count: 0
    .symbol:         _ZL18rocblas_dot_kernelIiLb0ELi512ELi8ELb1EDF16_PKPKDF16_fEviT5_lT_lS4_lS5_liPT6_PT4_.kd
    .uniform_work_group_size: 1
    .uses_dynamic_stack: false
    .vgpr_count:     11
    .vgpr_spill_count: 0
    .wavefront_size: 64
  - .args:
      - .offset:         0
        .size:           4
        .value_kind:     by_value
      - .actual_access:  read_only
        .address_space:  global
        .offset:         8
        .size:           8
        .value_kind:     global_buffer
      - .offset:         16
        .size:           8
        .value_kind:     by_value
      - .offset:         24
        .size:           4
        .value_kind:     by_value
      - .offset:         32
        .size:           8
        .value_kind:     by_value
      - .offset:         40
        .size:           4
        .value_kind:     by_value
      - .actual_access:  write_only
        .address_space:  global
        .offset:         48
        .size:           8
        .value_kind:     global_buffer
      - .actual_access:  write_only
        .address_space:  global
        .offset:         56
        .size:           8
        .value_kind:     global_buffer
      - .offset:         64
        .size:           4
        .value_kind:     hidden_block_count_x
      - .offset:         68
        .size:           4
        .value_kind:     hidden_block_count_y
      - .offset:         72
        .size:           4
        .value_kind:     hidden_block_count_z
      - .offset:         76
        .size:           2
        .value_kind:     hidden_group_size_x
      - .offset:         78
        .size:           2
        .value_kind:     hidden_group_size_y
      - .offset:         80
        .size:           2
        .value_kind:     hidden_group_size_z
      - .offset:         82
        .size:           2
        .value_kind:     hidden_remainder_x
      - .offset:         84
        .size:           2
        .value_kind:     hidden_remainder_y
      - .offset:         86
        .size:           2
        .value_kind:     hidden_remainder_z
      - .offset:         104
        .size:           8
        .value_kind:     hidden_global_offset_x
      - .offset:         112
        .size:           8
        .value_kind:     hidden_global_offset_y
      - .offset:         120
        .size:           8
        .value_kind:     hidden_global_offset_z
      - .offset:         128
        .size:           2
        .value_kind:     hidden_grid_dims
    .group_segment_fixed_size: 256
    .kernarg_segment_align: 8
    .kernarg_segment_size: 320
    .language:       OpenCL C
    .language_version:
      - 2
      - 0
    .max_flat_workgroup_size: 512
    .name:           _ZL24rocblas_dot_kernel_magsqIiLb0ELi512ELi8ELb1EDF16_PKPKDF16_fEviT5_lT_liPT6_PT4_
    .private_segment_fixed_size: 0
    .sgpr_count:     28
    .sgpr_spill_count: 0
    .symbol:         _ZL24rocblas_dot_kernel_magsqIiLb0ELi512ELi8ELb1EDF16_PKPKDF16_fEviT5_lT_liPT6_PT4_.kd
    .uniform_work_group_size: 1
    .uses_dynamic_stack: false
    .vgpr_count:     9
    .vgpr_spill_count: 0
    .wavefront_size: 64
  - .args:
      - .offset:         0
        .size:           4
        .value_kind:     by_value
      - .actual_access:  read_only
        .address_space:  global
        .offset:         8
        .size:           8
        .value_kind:     global_buffer
      - .offset:         16
        .size:           8
        .value_kind:     by_value
      - .offset:         24
        .size:           4
        .value_kind:     by_value
      - .offset:         32
        .size:           8
        .value_kind:     by_value
      - .actual_access:  read_only
        .address_space:  global
        .offset:         40
        .size:           8
        .value_kind:     global_buffer
      - .offset:         48
        .size:           8
        .value_kind:     by_value
      - .offset:         56
        .size:           4
        .value_kind:     by_value
      - .offset:         64
        .size:           8
        .value_kind:     by_value
      - .offset:         72
        .size:           4
        .value_kind:     by_value
      - .actual_access:  write_only
        .address_space:  global
        .offset:         80
        .size:           8
        .value_kind:     global_buffer
    .group_segment_fixed_size: 0
    .kernarg_segment_align: 8
    .kernarg_segment_size: 88
    .language:       OpenCL C
    .language_version:
      - 2
      - 0
    .max_flat_workgroup_size: 128
    .name:           _ZL28rocblas_dot_batched_4_kernelIiLi32ELi4ELb1EDF16_DF16_PKDF16_EviT5_lT_lS2_lS3_liPT4_
    .private_segment_fixed_size: 0
    .sgpr_count:     26
    .sgpr_spill_count: 0
    .symbol:         _ZL28rocblas_dot_batched_4_kernelIiLi32ELi4ELb1EDF16_DF16_PKDF16_EviT5_lT_lS2_lS3_liPT4_.kd
    .uniform_work_group_size: 1
    .uses_dynamic_stack: false
    .vgpr_count:     13
    .vgpr_spill_count: 0
    .wavefront_size: 64
  - .args:
      - .offset:         0
        .size:           4
        .value_kind:     by_value
      - .actual_access:  read_only
        .address_space:  global
        .offset:         8
        .size:           8
        .value_kind:     global_buffer
      - .offset:         16
        .size:           8
        .value_kind:     by_value
      - .offset:         24
        .size:           4
        .value_kind:     by_value
      - .offset:         32
        .size:           8
        .value_kind:     by_value
      - .actual_access:  read_only
        .address_space:  global
        .offset:         40
        .size:           8
        .value_kind:     global_buffer
      - .offset:         48
        .size:           8
        .value_kind:     by_value
      - .offset:         56
        .size:           4
        .value_kind:     by_value
      - .offset:         64
        .size:           8
        .value_kind:     by_value
      - .offset:         72
        .size:           4
        .value_kind:     by_value
      - .actual_access:  write_only
        .address_space:  global
        .offset:         80
        .size:           8
        .value_kind:     global_buffer
    .group_segment_fixed_size: 0
    .kernarg_segment_align: 8
    .kernarg_segment_size: 88
    .language:       OpenCL C
    .language_version:
      - 2
      - 0
    .max_flat_workgroup_size: 256
    .name:           _ZL28rocblas_dot_batched_4_kernelIiLi64ELi4ELb1EDF16_DF16_PKDF16_EviT5_lT_lS2_lS3_liPT4_
    .private_segment_fixed_size: 0
    .sgpr_count:     26
    .sgpr_spill_count: 0
    .symbol:         _ZL28rocblas_dot_batched_4_kernelIiLi64ELi4ELb1EDF16_DF16_PKDF16_EviT5_lT_lS2_lS3_liPT4_.kd
    .uniform_work_group_size: 1
    .uses_dynamic_stack: false
    .vgpr_count:     13
    .vgpr_spill_count: 0
    .wavefront_size: 64
  - .args:
      - .offset:         0
        .size:           4
        .value_kind:     by_value
      - .actual_access:  read_only
        .address_space:  global
        .offset:         8
        .size:           8
        .value_kind:     global_buffer
      - .offset:         16
        .size:           8
        .value_kind:     by_value
      - .offset:         24
        .size:           8
        .value_kind:     by_value
      - .actual_access:  read_only
        .address_space:  global
        .offset:         32
        .size:           8
        .value_kind:     global_buffer
      - .offset:         40
        .size:           8
        .value_kind:     by_value
      - .offset:         48
        .size:           8
        .value_kind:     by_value
      - .offset:         56
        .size:           4
        .value_kind:     by_value
      - .actual_access:  read_only
        .address_space:  global
        .offset:         64
        .size:           8
        .value_kind:     global_buffer
      - .actual_access:  write_only
        .address_space:  global
        .offset:         72
        .size:           8
        .value_kind:     global_buffer
    .group_segment_fixed_size: 128
    .kernarg_segment_align: 8
    .kernarg_segment_size: 80
    .language:       OpenCL C
    .language_version:
      - 2
      - 0
    .max_flat_workgroup_size: 1024
    .name:           _ZL26rocblas_dot_kernel_inc1by2ILb1ELi1024ELi32ELb1EDF16_PKDF16_DF16_EviT4_llS2_lliPT5_PT3_
    .private_segment_fixed_size: 0
    .sgpr_count:     32
    .sgpr_spill_count: 0
    .symbol:         _ZL26rocblas_dot_kernel_inc1by2ILb1ELi1024ELi32ELb1EDF16_PKDF16_DF16_EviT4_llS2_lliPT5_PT3_.kd
    .uniform_work_group_size: 1
    .uses_dynamic_stack: false
    .vgpr_count:     10
    .vgpr_spill_count: 0
    .wavefront_size: 64
  - .args:
      - .offset:         0
        .size:           4
        .value_kind:     by_value
      - .actual_access:  read_only
        .address_space:  global
        .offset:         8
        .size:           8
        .value_kind:     global_buffer
      - .offset:         16
        .size:           8
        .value_kind:     by_value
      - .offset:         24
        .size:           4
        .value_kind:     by_value
      - .offset:         32
        .size:           8
        .value_kind:     by_value
      - .actual_access:  read_only
        .address_space:  global
        .offset:         40
        .size:           8
        .value_kind:     global_buffer
      - .offset:         48
        .size:           8
        .value_kind:     by_value
      - .offset:         56
        .size:           4
        .value_kind:     by_value
      - .offset:         64
        .size:           8
        .value_kind:     by_value
      - .offset:         72
        .size:           4
        .value_kind:     by_value
      - .actual_access:  read_only
        .address_space:  global
        .offset:         80
        .size:           8
        .value_kind:     global_buffer
      - .actual_access:  write_only
        .address_space:  global
        .offset:         88
        .size:           8
        .value_kind:     global_buffer
      - .offset:         96
        .size:           4
        .value_kind:     hidden_block_count_x
      - .offset:         100
        .size:           4
        .value_kind:     hidden_block_count_y
      - .offset:         104
        .size:           4
        .value_kind:     hidden_block_count_z
      - .offset:         108
        .size:           2
        .value_kind:     hidden_group_size_x
      - .offset:         110
        .size:           2
        .value_kind:     hidden_group_size_y
      - .offset:         112
        .size:           2
        .value_kind:     hidden_group_size_z
      - .offset:         114
        .size:           2
        .value_kind:     hidden_remainder_x
      - .offset:         116
        .size:           2
        .value_kind:     hidden_remainder_y
      - .offset:         118
        .size:           2
        .value_kind:     hidden_remainder_z
      - .offset:         136
        .size:           8
        .value_kind:     hidden_global_offset_x
      - .offset:         144
        .size:           8
        .value_kind:     hidden_global_offset_y
      - .offset:         152
        .size:           8
        .value_kind:     hidden_global_offset_z
      - .offset:         160
        .size:           2
        .value_kind:     hidden_grid_dims
    .group_segment_fixed_size: 128
    .kernarg_segment_align: 8
    .kernarg_segment_size: 352
    .language:       OpenCL C
    .language_version:
      - 2
      - 0
    .max_flat_workgroup_size: 1024
    .name:           _ZL18rocblas_dot_kernelIiLb1ELi1024ELi32ELb1EDF16_PKDF16_DF16_EviT5_lT_lS2_lS3_liPT6_PT4_
    .private_segment_fixed_size: 0
    .sgpr_count:     29
    .sgpr_spill_count: 0
    .symbol:         _ZL18rocblas_dot_kernelIiLb1ELi1024ELi32ELb1EDF16_PKDF16_DF16_EviT5_lT_lS2_lS3_liPT6_PT4_.kd
    .uniform_work_group_size: 1
    .uses_dynamic_stack: false
    .vgpr_count:     11
    .vgpr_spill_count: 0
    .wavefront_size: 64
  - .args:
      - .offset:         0
        .size:           4
        .value_kind:     by_value
      - .actual_access:  read_only
        .address_space:  global
        .offset:         8
        .size:           8
        .value_kind:     global_buffer
      - .offset:         16
        .size:           8
        .value_kind:     by_value
      - .offset:         24
        .size:           4
        .value_kind:     by_value
      - .offset:         32
        .size:           8
        .value_kind:     by_value
      - .offset:         40
        .size:           4
        .value_kind:     by_value
      - .actual_access:  read_only
        .address_space:  global
        .offset:         48
        .size:           8
        .value_kind:     global_buffer
      - .actual_access:  write_only
        .address_space:  global
        .offset:         56
        .size:           8
        .value_kind:     global_buffer
      - .offset:         64
        .size:           4
        .value_kind:     hidden_block_count_x
      - .offset:         68
        .size:           4
        .value_kind:     hidden_block_count_y
      - .offset:         72
        .size:           4
        .value_kind:     hidden_block_count_z
      - .offset:         76
        .size:           2
        .value_kind:     hidden_group_size_x
      - .offset:         78
        .size:           2
        .value_kind:     hidden_group_size_y
      - .offset:         80
        .size:           2
        .value_kind:     hidden_group_size_z
      - .offset:         82
        .size:           2
        .value_kind:     hidden_remainder_x
      - .offset:         84
        .size:           2
        .value_kind:     hidden_remainder_y
      - .offset:         86
        .size:           2
        .value_kind:     hidden_remainder_z
      - .offset:         104
        .size:           8
        .value_kind:     hidden_global_offset_x
      - .offset:         112
        .size:           8
        .value_kind:     hidden_global_offset_y
      - .offset:         120
        .size:           8
        .value_kind:     hidden_global_offset_z
      - .offset:         128
        .size:           2
        .value_kind:     hidden_grid_dims
    .group_segment_fixed_size: 128
    .kernarg_segment_align: 8
    .kernarg_segment_size: 320
    .language:       OpenCL C
    .language_version:
      - 2
      - 0
    .max_flat_workgroup_size: 1024
    .name:           _ZL24rocblas_dot_kernel_magsqIiLb1ELi1024ELi32ELb1EDF16_PKDF16_DF16_EviT5_lT_liPT6_PT4_
    .private_segment_fixed_size: 0
    .sgpr_count:     24
    .sgpr_spill_count: 0
    .symbol:         _ZL24rocblas_dot_kernel_magsqIiLb1ELi1024ELi32ELb1EDF16_PKDF16_DF16_EviT5_lT_liPT6_PT4_.kd
    .uniform_work_group_size: 1
    .uses_dynamic_stack: false
    .vgpr_count:     10
    .vgpr_spill_count: 0
    .wavefront_size: 64
  - .args:
      - .offset:         0
        .size:           4
        .value_kind:     by_value
      - .actual_access:  read_only
        .address_space:  global
        .offset:         8
        .size:           8
        .value_kind:     global_buffer
      - .offset:         16
        .size:           8
        .value_kind:     by_value
      - .offset:         24
        .size:           4
        .value_kind:     by_value
      - .offset:         32
        .size:           8
        .value_kind:     by_value
      - .actual_access:  read_only
        .address_space:  global
        .offset:         40
        .size:           8
        .value_kind:     global_buffer
      - .offset:         48
        .size:           8
        .value_kind:     by_value
      - .offset:         56
        .size:           4
        .value_kind:     by_value
      - .offset:         64
        .size:           8
        .value_kind:     by_value
      - .actual_access:  read_only
        .address_space:  global
        .offset:         72
        .size:           8
        .value_kind:     global_buffer
      - .actual_access:  read_only
        .address_space:  global
        .offset:         80
        .size:           8
        .value_kind:     global_buffer
    .group_segment_fixed_size: 0
    .kernarg_segment_align: 8
    .kernarg_segment_size: 88
    .language:       OpenCL C
    .language_version:
      - 2
      - 0
    .max_flat_workgroup_size: 1024
    .name:           _ZL38rocblas_dot_kernel_gfx942_float_doubleIiLi1024EDF16_PKDF16_DF16_EviT2_lT_lS2_lS3_lPT3_PT1_
    .private_segment_fixed_size: 0
    .sgpr_count:     4
    .sgpr_spill_count: 0
    .symbol:         _ZL38rocblas_dot_kernel_gfx942_float_doubleIiLi1024EDF16_PKDF16_DF16_EviT2_lT_lS2_lS3_lPT3_PT1_.kd
    .uniform_work_group_size: 1
    .uses_dynamic_stack: false
    .vgpr_count:     0
    .vgpr_spill_count: 0
    .wavefront_size: 64
  - .args:
      - .offset:         0
        .size:           4
        .value_kind:     by_value
      - .actual_access:  read_only
        .address_space:  global
        .offset:         8
        .size:           8
        .value_kind:     global_buffer
      - .actual_access:  write_only
        .address_space:  global
        .offset:         16
        .size:           8
        .value_kind:     global_buffer
    .group_segment_fixed_size: 128
    .kernarg_segment_align: 8
    .kernarg_segment_size: 24
    .language:       OpenCL C
    .language_version:
      - 2
      - 0
    .max_flat_workgroup_size: 1024
    .name:           _ZL30rocblas_reduction_kernel_part2ILi1024ELi4E25rocblas_finalize_identityDF16_DF16_EviPT2_PT3_
    .private_segment_fixed_size: 0
    .sgpr_count:     18
    .sgpr_spill_count: 0
    .symbol:         _ZL30rocblas_reduction_kernel_part2ILi1024ELi4E25rocblas_finalize_identityDF16_DF16_EviPT2_PT3_.kd
    .uniform_work_group_size: 1
    .uses_dynamic_stack: false
    .vgpr_count:     10
    .vgpr_spill_count: 0
    .wavefront_size: 64
  - .args:
      - .offset:         0
        .size:           4
        .value_kind:     by_value
      - .actual_access:  read_only
        .address_space:  global
        .offset:         8
        .size:           8
        .value_kind:     global_buffer
      - .offset:         16
        .size:           8
        .value_kind:     by_value
      - .offset:         24
        .size:           8
        .value_kind:     by_value
      - .actual_access:  read_only
        .address_space:  global
        .offset:         32
        .size:           8
        .value_kind:     global_buffer
      - .offset:         40
        .size:           8
        .value_kind:     by_value
      - .offset:         48
        .size:           8
        .value_kind:     by_value
      - .offset:         56
        .size:           4
        .value_kind:     by_value
      - .actual_access:  write_only
        .address_space:  global
        .offset:         64
        .size:           8
        .value_kind:     global_buffer
      - .actual_access:  write_only
        .address_space:  global
        .offset:         72
        .size:           8
        .value_kind:     global_buffer
      - .offset:         80
        .size:           4
        .value_kind:     hidden_block_count_x
      - .offset:         84
        .size:           4
        .value_kind:     hidden_block_count_y
      - .offset:         88
        .size:           4
        .value_kind:     hidden_block_count_z
      - .offset:         92
        .size:           2
        .value_kind:     hidden_group_size_x
      - .offset:         94
        .size:           2
        .value_kind:     hidden_group_size_y
      - .offset:         96
        .size:           2
        .value_kind:     hidden_group_size_z
      - .offset:         98
        .size:           2
        .value_kind:     hidden_remainder_x
      - .offset:         100
        .size:           2
        .value_kind:     hidden_remainder_y
      - .offset:         102
        .size:           2
        .value_kind:     hidden_remainder_z
      - .offset:         120
        .size:           8
        .value_kind:     hidden_global_offset_x
      - .offset:         128
        .size:           8
        .value_kind:     hidden_global_offset_y
      - .offset:         136
        .size:           8
        .value_kind:     hidden_global_offset_z
      - .offset:         144
        .size:           2
        .value_kind:     hidden_grid_dims
    .group_segment_fixed_size: 128
    .kernarg_segment_align: 8
    .kernarg_segment_size: 336
    .language:       OpenCL C
    .language_version:
      - 2
      - 0
    .max_flat_workgroup_size: 512
    .name:           _ZL23rocblas_dot_kernel_inc1ILb0ELi512ELi8ELb1EDF16_PKDF16_DF16_EviT4_llS2_lliPT5_PT3_
    .private_segment_fixed_size: 0
    .sgpr_count:     32
    .sgpr_spill_count: 0
    .symbol:         _ZL23rocblas_dot_kernel_inc1ILb0ELi512ELi8ELb1EDF16_PKDF16_DF16_EviT4_llS2_lliPT5_PT3_.kd
    .uniform_work_group_size: 1
    .uses_dynamic_stack: false
    .vgpr_count:     14
    .vgpr_spill_count: 0
    .wavefront_size: 64
  - .args:
      - .offset:         0
        .size:           4
        .value_kind:     by_value
      - .actual_access:  read_only
        .address_space:  global
        .offset:         8
        .size:           8
        .value_kind:     global_buffer
      - .offset:         16
        .size:           8
        .value_kind:     by_value
      - .offset:         24
        .size:           4
        .value_kind:     by_value
      - .offset:         32
        .size:           8
        .value_kind:     by_value
      - .actual_access:  read_only
        .address_space:  global
        .offset:         40
        .size:           8
        .value_kind:     global_buffer
      - .offset:         48
        .size:           8
        .value_kind:     by_value
      - .offset:         56
        .size:           4
        .value_kind:     by_value
      - .offset:         64
        .size:           8
        .value_kind:     by_value
      - .offset:         72
        .size:           4
        .value_kind:     by_value
      - .actual_access:  write_only
        .address_space:  global
        .offset:         80
        .size:           8
        .value_kind:     global_buffer
      - .actual_access:  write_only
        .address_space:  global
        .offset:         88
        .size:           8
        .value_kind:     global_buffer
      - .offset:         96
        .size:           4
        .value_kind:     hidden_block_count_x
      - .offset:         100
        .size:           4
        .value_kind:     hidden_block_count_y
      - .offset:         104
        .size:           4
        .value_kind:     hidden_block_count_z
      - .offset:         108
        .size:           2
        .value_kind:     hidden_group_size_x
      - .offset:         110
        .size:           2
        .value_kind:     hidden_group_size_y
      - .offset:         112
        .size:           2
        .value_kind:     hidden_group_size_z
      - .offset:         114
        .size:           2
        .value_kind:     hidden_remainder_x
      - .offset:         116
        .size:           2
        .value_kind:     hidden_remainder_y
      - .offset:         118
        .size:           2
        .value_kind:     hidden_remainder_z
      - .offset:         136
        .size:           8
        .value_kind:     hidden_global_offset_x
      - .offset:         144
        .size:           8
        .value_kind:     hidden_global_offset_y
      - .offset:         152
        .size:           8
        .value_kind:     hidden_global_offset_z
      - .offset:         160
        .size:           2
        .value_kind:     hidden_grid_dims
    .group_segment_fixed_size: 128
    .kernarg_segment_align: 8
    .kernarg_segment_size: 352
    .language:       OpenCL C
    .language_version:
      - 2
      - 0
    .max_flat_workgroup_size: 512
    .name:           _ZL18rocblas_dot_kernelIiLb0ELi512ELi8ELb1EDF16_PKDF16_DF16_EviT5_lT_lS2_lS3_liPT6_PT4_
    .private_segment_fixed_size: 0
    .sgpr_count:     32
    .sgpr_spill_count: 0
    .symbol:         _ZL18rocblas_dot_kernelIiLb0ELi512ELi8ELb1EDF16_PKDF16_DF16_EviT5_lT_lS2_lS3_liPT6_PT4_.kd
    .uniform_work_group_size: 1
    .uses_dynamic_stack: false
    .vgpr_count:     11
    .vgpr_spill_count: 0
    .wavefront_size: 64
  - .args:
      - .offset:         0
        .size:           4
        .value_kind:     by_value
      - .actual_access:  read_only
        .address_space:  global
        .offset:         8
        .size:           8
        .value_kind:     global_buffer
      - .offset:         16
        .size:           8
        .value_kind:     by_value
      - .offset:         24
        .size:           4
        .value_kind:     by_value
      - .offset:         32
        .size:           8
        .value_kind:     by_value
      - .offset:         40
        .size:           4
        .value_kind:     by_value
      - .actual_access:  write_only
        .address_space:  global
        .offset:         48
        .size:           8
        .value_kind:     global_buffer
      - .actual_access:  write_only
        .address_space:  global
        .offset:         56
        .size:           8
        .value_kind:     global_buffer
      - .offset:         64
        .size:           4
        .value_kind:     hidden_block_count_x
      - .offset:         68
        .size:           4
        .value_kind:     hidden_block_count_y
      - .offset:         72
        .size:           4
        .value_kind:     hidden_block_count_z
      - .offset:         76
        .size:           2
        .value_kind:     hidden_group_size_x
      - .offset:         78
        .size:           2
        .value_kind:     hidden_group_size_y
      - .offset:         80
        .size:           2
        .value_kind:     hidden_group_size_z
      - .offset:         82
        .size:           2
        .value_kind:     hidden_remainder_x
      - .offset:         84
        .size:           2
        .value_kind:     hidden_remainder_y
      - .offset:         86
        .size:           2
        .value_kind:     hidden_remainder_z
      - .offset:         104
        .size:           8
        .value_kind:     hidden_global_offset_x
      - .offset:         112
        .size:           8
        .value_kind:     hidden_global_offset_y
      - .offset:         120
        .size:           8
        .value_kind:     hidden_global_offset_z
      - .offset:         128
        .size:           2
        .value_kind:     hidden_grid_dims
    .group_segment_fixed_size: 128
    .kernarg_segment_align: 8
    .kernarg_segment_size: 320
    .language:       OpenCL C
    .language_version:
      - 2
      - 0
    .max_flat_workgroup_size: 512
    .name:           _ZL24rocblas_dot_kernel_magsqIiLb0ELi512ELi8ELb1EDF16_PKDF16_DF16_EviT5_lT_liPT6_PT4_
    .private_segment_fixed_size: 0
    .sgpr_count:     28
    .sgpr_spill_count: 0
    .symbol:         _ZL24rocblas_dot_kernel_magsqIiLb0ELi512ELi8ELb1EDF16_PKDF16_DF16_EviT5_lT_liPT6_PT4_.kd
    .uniform_work_group_size: 1
    .uses_dynamic_stack: false
    .vgpr_count:     9
    .vgpr_spill_count: 0
    .wavefront_size: 64
  - .args:
      - .offset:         0
        .size:           4
        .value_kind:     by_value
      - .actual_access:  read_only
        .address_space:  global
        .offset:         8
        .size:           8
        .value_kind:     global_buffer
      - .actual_access:  write_only
        .address_space:  global
        .offset:         16
        .size:           8
        .value_kind:     global_buffer
    .group_segment_fixed_size: 128
    .kernarg_segment_align: 8
    .kernarg_segment_size: 24
    .language:       OpenCL C
    .language_version:
      - 2
      - 0
    .max_flat_workgroup_size: 512
    .name:           _ZL30rocblas_reduction_kernel_part2ILi512ELi8E25rocblas_finalize_identityDF16_DF16_EviPT2_PT3_
    .private_segment_fixed_size: 0
    .sgpr_count:     18
    .sgpr_spill_count: 0
    .symbol:         _ZL30rocblas_reduction_kernel_part2ILi512ELi8E25rocblas_finalize_identityDF16_DF16_EviPT2_PT3_.kd
    .uniform_work_group_size: 1
    .uses_dynamic_stack: false
    .vgpr_count:     9
    .vgpr_spill_count: 0
    .wavefront_size: 64
  - .args:
      - .offset:         0
        .size:           4
        .value_kind:     by_value
      - .actual_access:  read_only
        .address_space:  global
        .offset:         8
        .size:           8
        .value_kind:     global_buffer
      - .offset:         16
        .size:           8
        .value_kind:     by_value
      - .offset:         24
        .size:           4
        .value_kind:     by_value
      - .offset:         32
        .size:           8
        .value_kind:     by_value
      - .actual_access:  read_only
        .address_space:  global
        .offset:         40
        .size:           8
        .value_kind:     global_buffer
      - .offset:         48
        .size:           8
        .value_kind:     by_value
      - .offset:         56
        .size:           4
        .value_kind:     by_value
      - .offset:         64
        .size:           8
        .value_kind:     by_value
      - .offset:         72
        .size:           4
        .value_kind:     by_value
      - .actual_access:  write_only
        .address_space:  global
        .offset:         80
        .size:           8
        .value_kind:     global_buffer
    .group_segment_fixed_size: 0
    .kernarg_segment_align: 8
    .kernarg_segment_size: 88
    .language:       OpenCL C
    .language_version:
      - 2
      - 0
    .max_flat_workgroup_size: 128
    .name:           _ZL28rocblas_dot_batched_4_kernelIiLi32ELi4ELb1EDF16_DF16_PKPKDF16_EviT5_lT_lS4_lS5_liPT4_
    .private_segment_fixed_size: 0
    .sgpr_count:     22
    .sgpr_spill_count: 0
    .symbol:         _ZL28rocblas_dot_batched_4_kernelIiLi32ELi4ELb1EDF16_DF16_PKPKDF16_EviT5_lT_lS4_lS5_liPT4_.kd
    .uniform_work_group_size: 1
    .uses_dynamic_stack: false
    .vgpr_count:     16
    .vgpr_spill_count: 0
    .wavefront_size: 64
  - .args:
      - .offset:         0
        .size:           4
        .value_kind:     by_value
      - .actual_access:  read_only
        .address_space:  global
        .offset:         8
        .size:           8
        .value_kind:     global_buffer
      - .offset:         16
        .size:           8
        .value_kind:     by_value
      - .offset:         24
        .size:           4
        .value_kind:     by_value
      - .offset:         32
        .size:           8
        .value_kind:     by_value
      - .actual_access:  read_only
        .address_space:  global
        .offset:         40
        .size:           8
        .value_kind:     global_buffer
      - .offset:         48
        .size:           8
        .value_kind:     by_value
      - .offset:         56
        .size:           4
        .value_kind:     by_value
      - .offset:         64
        .size:           8
        .value_kind:     by_value
      - .offset:         72
        .size:           4
        .value_kind:     by_value
      - .actual_access:  write_only
        .address_space:  global
        .offset:         80
        .size:           8
        .value_kind:     global_buffer
    .group_segment_fixed_size: 0
    .kernarg_segment_align: 8
    .kernarg_segment_size: 88
    .language:       OpenCL C
    .language_version:
      - 2
      - 0
    .max_flat_workgroup_size: 256
    .name:           _ZL28rocblas_dot_batched_4_kernelIiLi64ELi4ELb1EDF16_DF16_PKPKDF16_EviT5_lT_lS4_lS5_liPT4_
    .private_segment_fixed_size: 0
    .sgpr_count:     24
    .sgpr_spill_count: 0
    .symbol:         _ZL28rocblas_dot_batched_4_kernelIiLi64ELi4ELb1EDF16_DF16_PKPKDF16_EviT5_lT_lS4_lS5_liPT4_.kd
    .uniform_work_group_size: 1
    .uses_dynamic_stack: false
    .vgpr_count:     14
    .vgpr_spill_count: 0
    .wavefront_size: 64
  - .args:
      - .offset:         0
        .size:           4
        .value_kind:     by_value
      - .actual_access:  read_only
        .address_space:  global
        .offset:         8
        .size:           8
        .value_kind:     global_buffer
      - .offset:         16
        .size:           8
        .value_kind:     by_value
      - .offset:         24
        .size:           8
        .value_kind:     by_value
      - .actual_access:  read_only
        .address_space:  global
        .offset:         32
        .size:           8
        .value_kind:     global_buffer
      - .offset:         40
        .size:           8
        .value_kind:     by_value
      - .offset:         48
        .size:           8
        .value_kind:     by_value
      - .offset:         56
        .size:           4
        .value_kind:     by_value
      - .actual_access:  read_only
        .address_space:  global
        .offset:         64
        .size:           8
        .value_kind:     global_buffer
      - .actual_access:  write_only
        .address_space:  global
        .offset:         72
        .size:           8
        .value_kind:     global_buffer
    .group_segment_fixed_size: 128
    .kernarg_segment_align: 8
    .kernarg_segment_size: 80
    .language:       OpenCL C
    .language_version:
      - 2
      - 0
    .max_flat_workgroup_size: 1024
    .name:           _ZL26rocblas_dot_kernel_inc1by2ILb1ELi1024ELi32ELb1EDF16_PKPKDF16_DF16_EviT4_llS4_lliPT5_PT3_
    .private_segment_fixed_size: 0
    .sgpr_count:     28
    .sgpr_spill_count: 0
    .symbol:         _ZL26rocblas_dot_kernel_inc1by2ILb1ELi1024ELi32ELb1EDF16_PKPKDF16_DF16_EviT4_llS4_lliPT5_PT3_.kd
    .uniform_work_group_size: 1
    .uses_dynamic_stack: false
    .vgpr_count:     10
    .vgpr_spill_count: 0
    .wavefront_size: 64
  - .args:
      - .offset:         0
        .size:           4
        .value_kind:     by_value
      - .actual_access:  read_only
        .address_space:  global
        .offset:         8
        .size:           8
        .value_kind:     global_buffer
      - .offset:         16
        .size:           8
        .value_kind:     by_value
      - .offset:         24
        .size:           4
        .value_kind:     by_value
      - .offset:         32
        .size:           8
        .value_kind:     by_value
      - .actual_access:  read_only
        .address_space:  global
        .offset:         40
        .size:           8
        .value_kind:     global_buffer
      - .offset:         48
        .size:           8
        .value_kind:     by_value
      - .offset:         56
        .size:           4
        .value_kind:     by_value
      - .offset:         64
        .size:           8
        .value_kind:     by_value
      - .offset:         72
        .size:           4
        .value_kind:     by_value
      - .actual_access:  read_only
        .address_space:  global
        .offset:         80
        .size:           8
        .value_kind:     global_buffer
      - .actual_access:  write_only
        .address_space:  global
        .offset:         88
        .size:           8
        .value_kind:     global_buffer
      - .offset:         96
        .size:           4
        .value_kind:     hidden_block_count_x
      - .offset:         100
        .size:           4
        .value_kind:     hidden_block_count_y
      - .offset:         104
        .size:           4
        .value_kind:     hidden_block_count_z
      - .offset:         108
        .size:           2
        .value_kind:     hidden_group_size_x
      - .offset:         110
        .size:           2
        .value_kind:     hidden_group_size_y
      - .offset:         112
        .size:           2
        .value_kind:     hidden_group_size_z
      - .offset:         114
        .size:           2
        .value_kind:     hidden_remainder_x
      - .offset:         116
        .size:           2
        .value_kind:     hidden_remainder_y
      - .offset:         118
        .size:           2
        .value_kind:     hidden_remainder_z
      - .offset:         136
        .size:           8
        .value_kind:     hidden_global_offset_x
      - .offset:         144
        .size:           8
        .value_kind:     hidden_global_offset_y
      - .offset:         152
        .size:           8
        .value_kind:     hidden_global_offset_z
      - .offset:         160
        .size:           2
        .value_kind:     hidden_grid_dims
    .group_segment_fixed_size: 128
    .kernarg_segment_align: 8
    .kernarg_segment_size: 352
    .language:       OpenCL C
    .language_version:
      - 2
      - 0
    .max_flat_workgroup_size: 1024
    .name:           _ZL18rocblas_dot_kernelIiLb1ELi1024ELi32ELb1EDF16_PKPKDF16_DF16_EviT5_lT_lS4_lS5_liPT6_PT4_
    .private_segment_fixed_size: 0
    .sgpr_count:     28
    .sgpr_spill_count: 0
    .symbol:         _ZL18rocblas_dot_kernelIiLb1ELi1024ELi32ELb1EDF16_PKPKDF16_DF16_EviT5_lT_lS4_lS5_liPT6_PT4_.kd
    .uniform_work_group_size: 1
    .uses_dynamic_stack: false
    .vgpr_count:     11
    .vgpr_spill_count: 0
    .wavefront_size: 64
  - .args:
      - .offset:         0
        .size:           4
        .value_kind:     by_value
      - .actual_access:  read_only
        .address_space:  global
        .offset:         8
        .size:           8
        .value_kind:     global_buffer
      - .offset:         16
        .size:           8
        .value_kind:     by_value
      - .offset:         24
        .size:           4
        .value_kind:     by_value
      - .offset:         32
        .size:           8
        .value_kind:     by_value
      - .offset:         40
        .size:           4
        .value_kind:     by_value
      - .actual_access:  read_only
        .address_space:  global
        .offset:         48
        .size:           8
        .value_kind:     global_buffer
      - .actual_access:  write_only
        .address_space:  global
        .offset:         56
        .size:           8
        .value_kind:     global_buffer
      - .offset:         64
        .size:           4
        .value_kind:     hidden_block_count_x
      - .offset:         68
        .size:           4
        .value_kind:     hidden_block_count_y
      - .offset:         72
        .size:           4
        .value_kind:     hidden_block_count_z
      - .offset:         76
        .size:           2
        .value_kind:     hidden_group_size_x
      - .offset:         78
        .size:           2
        .value_kind:     hidden_group_size_y
      - .offset:         80
        .size:           2
        .value_kind:     hidden_group_size_z
      - .offset:         82
        .size:           2
        .value_kind:     hidden_remainder_x
      - .offset:         84
        .size:           2
        .value_kind:     hidden_remainder_y
      - .offset:         86
        .size:           2
        .value_kind:     hidden_remainder_z
      - .offset:         104
        .size:           8
        .value_kind:     hidden_global_offset_x
      - .offset:         112
        .size:           8
        .value_kind:     hidden_global_offset_y
      - .offset:         120
        .size:           8
        .value_kind:     hidden_global_offset_z
      - .offset:         128
        .size:           2
        .value_kind:     hidden_grid_dims
    .group_segment_fixed_size: 128
    .kernarg_segment_align: 8
    .kernarg_segment_size: 320
    .language:       OpenCL C
    .language_version:
      - 2
      - 0
    .max_flat_workgroup_size: 1024
    .name:           _ZL24rocblas_dot_kernel_magsqIiLb1ELi1024ELi32ELb1EDF16_PKPKDF16_DF16_EviT5_lT_liPT6_PT4_
    .private_segment_fixed_size: 0
    .sgpr_count:     24
    .sgpr_spill_count: 0
    .symbol:         _ZL24rocblas_dot_kernel_magsqIiLb1ELi1024ELi32ELb1EDF16_PKPKDF16_DF16_EviT5_lT_liPT6_PT4_.kd
    .uniform_work_group_size: 1
    .uses_dynamic_stack: false
    .vgpr_count:     10
    .vgpr_spill_count: 0
    .wavefront_size: 64
  - .args:
      - .offset:         0
        .size:           4
        .value_kind:     by_value
      - .actual_access:  read_only
        .address_space:  global
        .offset:         8
        .size:           8
        .value_kind:     global_buffer
      - .offset:         16
        .size:           8
        .value_kind:     by_value
      - .offset:         24
        .size:           4
        .value_kind:     by_value
      - .offset:         32
        .size:           8
        .value_kind:     by_value
      - .actual_access:  read_only
        .address_space:  global
        .offset:         40
        .size:           8
        .value_kind:     global_buffer
      - .offset:         48
        .size:           8
        .value_kind:     by_value
      - .offset:         56
        .size:           4
        .value_kind:     by_value
      - .offset:         64
        .size:           8
        .value_kind:     by_value
      - .actual_access:  read_only
        .address_space:  global
        .offset:         72
        .size:           8
        .value_kind:     global_buffer
      - .actual_access:  read_only
        .address_space:  global
        .offset:         80
        .size:           8
        .value_kind:     global_buffer
    .group_segment_fixed_size: 0
    .kernarg_segment_align: 8
    .kernarg_segment_size: 88
    .language:       OpenCL C
    .language_version:
      - 2
      - 0
    .max_flat_workgroup_size: 1024
    .name:           _ZL38rocblas_dot_kernel_gfx942_float_doubleIiLi1024EDF16_PKPKDF16_DF16_EviT2_lT_lS4_lS5_lPT3_PT1_
    .private_segment_fixed_size: 0
    .sgpr_count:     4
    .sgpr_spill_count: 0
    .symbol:         _ZL38rocblas_dot_kernel_gfx942_float_doubleIiLi1024EDF16_PKPKDF16_DF16_EviT2_lT_lS4_lS5_lPT3_PT1_.kd
    .uniform_work_group_size: 1
    .uses_dynamic_stack: false
    .vgpr_count:     0
    .vgpr_spill_count: 0
    .wavefront_size: 64
  - .args:
      - .offset:         0
        .size:           4
        .value_kind:     by_value
      - .actual_access:  read_only
        .address_space:  global
        .offset:         8
        .size:           8
        .value_kind:     global_buffer
      - .offset:         16
        .size:           8
        .value_kind:     by_value
      - .offset:         24
        .size:           8
        .value_kind:     by_value
      - .actual_access:  read_only
        .address_space:  global
        .offset:         32
        .size:           8
        .value_kind:     global_buffer
      - .offset:         40
        .size:           8
        .value_kind:     by_value
      - .offset:         48
        .size:           8
        .value_kind:     by_value
      - .offset:         56
        .size:           4
        .value_kind:     by_value
      - .actual_access:  write_only
        .address_space:  global
        .offset:         64
        .size:           8
        .value_kind:     global_buffer
      - .actual_access:  write_only
        .address_space:  global
        .offset:         72
        .size:           8
        .value_kind:     global_buffer
      - .offset:         80
        .size:           4
        .value_kind:     hidden_block_count_x
      - .offset:         84
        .size:           4
        .value_kind:     hidden_block_count_y
      - .offset:         88
        .size:           4
        .value_kind:     hidden_block_count_z
      - .offset:         92
        .size:           2
        .value_kind:     hidden_group_size_x
      - .offset:         94
        .size:           2
        .value_kind:     hidden_group_size_y
      - .offset:         96
        .size:           2
        .value_kind:     hidden_group_size_z
      - .offset:         98
        .size:           2
        .value_kind:     hidden_remainder_x
      - .offset:         100
        .size:           2
        .value_kind:     hidden_remainder_y
      - .offset:         102
        .size:           2
        .value_kind:     hidden_remainder_z
      - .offset:         120
        .size:           8
        .value_kind:     hidden_global_offset_x
      - .offset:         128
        .size:           8
        .value_kind:     hidden_global_offset_y
      - .offset:         136
        .size:           8
        .value_kind:     hidden_global_offset_z
      - .offset:         144
        .size:           2
        .value_kind:     hidden_grid_dims
    .group_segment_fixed_size: 128
    .kernarg_segment_align: 8
    .kernarg_segment_size: 336
    .language:       OpenCL C
    .language_version:
      - 2
      - 0
    .max_flat_workgroup_size: 512
    .name:           _ZL23rocblas_dot_kernel_inc1ILb0ELi512ELi8ELb1EDF16_PKPKDF16_DF16_EviT4_llS4_lliPT5_PT3_
    .private_segment_fixed_size: 0
    .sgpr_count:     32
    .sgpr_spill_count: 0
    .symbol:         _ZL23rocblas_dot_kernel_inc1ILb0ELi512ELi8ELb1EDF16_PKPKDF16_DF16_EviT4_llS4_lliPT5_PT3_.kd
    .uniform_work_group_size: 1
    .uses_dynamic_stack: false
    .vgpr_count:     14
    .vgpr_spill_count: 0
    .wavefront_size: 64
  - .args:
      - .offset:         0
        .size:           4
        .value_kind:     by_value
      - .actual_access:  read_only
        .address_space:  global
        .offset:         8
        .size:           8
        .value_kind:     global_buffer
      - .offset:         16
        .size:           8
        .value_kind:     by_value
      - .offset:         24
        .size:           4
        .value_kind:     by_value
      - .offset:         32
        .size:           8
        .value_kind:     by_value
      - .actual_access:  read_only
        .address_space:  global
        .offset:         40
        .size:           8
        .value_kind:     global_buffer
      - .offset:         48
        .size:           8
        .value_kind:     by_value
      - .offset:         56
        .size:           4
        .value_kind:     by_value
      - .offset:         64
        .size:           8
        .value_kind:     by_value
      - .offset:         72
        .size:           4
        .value_kind:     by_value
      - .actual_access:  write_only
        .address_space:  global
        .offset:         80
        .size:           8
        .value_kind:     global_buffer
      - .actual_access:  write_only
        .address_space:  global
        .offset:         88
        .size:           8
        .value_kind:     global_buffer
      - .offset:         96
        .size:           4
        .value_kind:     hidden_block_count_x
      - .offset:         100
        .size:           4
        .value_kind:     hidden_block_count_y
      - .offset:         104
        .size:           4
        .value_kind:     hidden_block_count_z
      - .offset:         108
        .size:           2
        .value_kind:     hidden_group_size_x
      - .offset:         110
        .size:           2
        .value_kind:     hidden_group_size_y
      - .offset:         112
        .size:           2
        .value_kind:     hidden_group_size_z
      - .offset:         114
        .size:           2
        .value_kind:     hidden_remainder_x
      - .offset:         116
        .size:           2
        .value_kind:     hidden_remainder_y
      - .offset:         118
        .size:           2
        .value_kind:     hidden_remainder_z
      - .offset:         136
        .size:           8
        .value_kind:     hidden_global_offset_x
      - .offset:         144
        .size:           8
        .value_kind:     hidden_global_offset_y
      - .offset:         152
        .size:           8
        .value_kind:     hidden_global_offset_z
      - .offset:         160
        .size:           2
        .value_kind:     hidden_grid_dims
    .group_segment_fixed_size: 128
    .kernarg_segment_align: 8
    .kernarg_segment_size: 352
    .language:       OpenCL C
    .language_version:
      - 2
      - 0
    .max_flat_workgroup_size: 512
    .name:           _ZL18rocblas_dot_kernelIiLb0ELi512ELi8ELb1EDF16_PKPKDF16_DF16_EviT5_lT_lS4_lS5_liPT6_PT4_
    .private_segment_fixed_size: 0
    .sgpr_count:     32
    .sgpr_spill_count: 0
    .symbol:         _ZL18rocblas_dot_kernelIiLb0ELi512ELi8ELb1EDF16_PKPKDF16_DF16_EviT5_lT_lS4_lS5_liPT6_PT4_.kd
    .uniform_work_group_size: 1
    .uses_dynamic_stack: false
    .vgpr_count:     11
    .vgpr_spill_count: 0
    .wavefront_size: 64
  - .args:
      - .offset:         0
        .size:           4
        .value_kind:     by_value
      - .actual_access:  read_only
        .address_space:  global
        .offset:         8
        .size:           8
        .value_kind:     global_buffer
      - .offset:         16
        .size:           8
        .value_kind:     by_value
      - .offset:         24
        .size:           4
        .value_kind:     by_value
      - .offset:         32
        .size:           8
        .value_kind:     by_value
      - .offset:         40
        .size:           4
        .value_kind:     by_value
      - .actual_access:  write_only
        .address_space:  global
        .offset:         48
        .size:           8
        .value_kind:     global_buffer
      - .actual_access:  write_only
        .address_space:  global
        .offset:         56
        .size:           8
        .value_kind:     global_buffer
      - .offset:         64
        .size:           4
        .value_kind:     hidden_block_count_x
      - .offset:         68
        .size:           4
        .value_kind:     hidden_block_count_y
      - .offset:         72
        .size:           4
        .value_kind:     hidden_block_count_z
      - .offset:         76
        .size:           2
        .value_kind:     hidden_group_size_x
      - .offset:         78
        .size:           2
        .value_kind:     hidden_group_size_y
      - .offset:         80
        .size:           2
        .value_kind:     hidden_group_size_z
      - .offset:         82
        .size:           2
        .value_kind:     hidden_remainder_x
      - .offset:         84
        .size:           2
        .value_kind:     hidden_remainder_y
      - .offset:         86
        .size:           2
        .value_kind:     hidden_remainder_z
      - .offset:         104
        .size:           8
        .value_kind:     hidden_global_offset_x
      - .offset:         112
        .size:           8
        .value_kind:     hidden_global_offset_y
      - .offset:         120
        .size:           8
        .value_kind:     hidden_global_offset_z
      - .offset:         128
        .size:           2
        .value_kind:     hidden_grid_dims
    .group_segment_fixed_size: 128
    .kernarg_segment_align: 8
    .kernarg_segment_size: 320
    .language:       OpenCL C
    .language_version:
      - 2
      - 0
    .max_flat_workgroup_size: 512
    .name:           _ZL24rocblas_dot_kernel_magsqIiLb0ELi512ELi8ELb1EDF16_PKPKDF16_DF16_EviT5_lT_liPT6_PT4_
    .private_segment_fixed_size: 0
    .sgpr_count:     28
    .sgpr_spill_count: 0
    .symbol:         _ZL24rocblas_dot_kernel_magsqIiLb0ELi512ELi8ELb1EDF16_PKPKDF16_DF16_EviT5_lT_liPT6_PT4_.kd
    .uniform_work_group_size: 1
    .uses_dynamic_stack: false
    .vgpr_count:     9
    .vgpr_spill_count: 0
    .wavefront_size: 64
  - .args:
      - .offset:         0
        .size:           4
        .value_kind:     by_value
      - .actual_access:  read_only
        .address_space:  global
        .offset:         8
        .size:           8
        .value_kind:     global_buffer
      - .offset:         16
        .size:           8
        .value_kind:     by_value
      - .offset:         24
        .size:           4
        .value_kind:     by_value
      - .offset:         32
        .size:           8
        .value_kind:     by_value
      - .actual_access:  read_only
        .address_space:  global
        .offset:         40
        .size:           8
        .value_kind:     global_buffer
      - .offset:         48
        .size:           8
        .value_kind:     by_value
      - .offset:         56
        .size:           4
        .value_kind:     by_value
      - .offset:         64
        .size:           8
        .value_kind:     by_value
      - .offset:         72
        .size:           4
        .value_kind:     by_value
      - .actual_access:  write_only
        .address_space:  global
        .offset:         80
        .size:           8
        .value_kind:     global_buffer
    .group_segment_fixed_size: 0
    .kernarg_segment_align: 8
    .kernarg_segment_size: 88
    .language:       OpenCL C
    .language_version:
      - 2
      - 0
    .max_flat_workgroup_size: 128
    .name:           _ZL28rocblas_dot_batched_4_kernelIiLi32ELi4ELb1Ef16rocblas_bfloat16PKS0_EviT5_lT_lS3_lS4_liPT4_
    .private_segment_fixed_size: 0
    .sgpr_count:     26
    .sgpr_spill_count: 0
    .symbol:         _ZL28rocblas_dot_batched_4_kernelIiLi32ELi4ELb1Ef16rocblas_bfloat16PKS0_EviT5_lT_lS3_lS4_liPT4_.kd
    .uniform_work_group_size: 1
    .uses_dynamic_stack: false
    .vgpr_count:     13
    .vgpr_spill_count: 0
    .wavefront_size: 64
  - .args:
      - .offset:         0
        .size:           4
        .value_kind:     by_value
      - .actual_access:  read_only
        .address_space:  global
        .offset:         8
        .size:           8
        .value_kind:     global_buffer
      - .offset:         16
        .size:           8
        .value_kind:     by_value
      - .offset:         24
        .size:           4
        .value_kind:     by_value
      - .offset:         32
        .size:           8
        .value_kind:     by_value
      - .actual_access:  read_only
        .address_space:  global
        .offset:         40
        .size:           8
        .value_kind:     global_buffer
      - .offset:         48
        .size:           8
        .value_kind:     by_value
      - .offset:         56
        .size:           4
        .value_kind:     by_value
      - .offset:         64
        .size:           8
        .value_kind:     by_value
      - .offset:         72
        .size:           4
        .value_kind:     by_value
      - .actual_access:  write_only
        .address_space:  global
        .offset:         80
        .size:           8
        .value_kind:     global_buffer
    .group_segment_fixed_size: 0
    .kernarg_segment_align: 8
    .kernarg_segment_size: 88
    .language:       OpenCL C
    .language_version:
      - 2
      - 0
    .max_flat_workgroup_size: 256
    .name:           _ZL28rocblas_dot_batched_4_kernelIiLi64ELi4ELb1Ef16rocblas_bfloat16PKS0_EviT5_lT_lS3_lS4_liPT4_
    .private_segment_fixed_size: 0
    .sgpr_count:     26
    .sgpr_spill_count: 0
    .symbol:         _ZL28rocblas_dot_batched_4_kernelIiLi64ELi4ELb1Ef16rocblas_bfloat16PKS0_EviT5_lT_lS3_lS4_liPT4_.kd
    .uniform_work_group_size: 1
    .uses_dynamic_stack: false
    .vgpr_count:     13
    .vgpr_spill_count: 0
    .wavefront_size: 64
  - .args:
      - .offset:         0
        .size:           4
        .value_kind:     by_value
      - .actual_access:  read_only
        .address_space:  global
        .offset:         8
        .size:           8
        .value_kind:     global_buffer
      - .offset:         16
        .size:           8
        .value_kind:     by_value
      - .offset:         24
        .size:           8
        .value_kind:     by_value
      - .actual_access:  read_only
        .address_space:  global
        .offset:         32
        .size:           8
        .value_kind:     global_buffer
      - .offset:         40
        .size:           8
        .value_kind:     by_value
      - .offset:         48
        .size:           8
        .value_kind:     by_value
      - .offset:         56
        .size:           4
        .value_kind:     by_value
      - .actual_access:  read_only
        .address_space:  global
        .offset:         64
        .size:           8
        .value_kind:     global_buffer
      - .actual_access:  write_only
        .address_space:  global
        .offset:         72
        .size:           8
        .value_kind:     global_buffer
    .group_segment_fixed_size: 256
    .kernarg_segment_align: 8
    .kernarg_segment_size: 80
    .language:       OpenCL C
    .language_version:
      - 2
      - 0
    .max_flat_workgroup_size: 1024
    .name:           _ZL26rocblas_dot_kernel_inc1by2ILb1ELi1024ELi32ELb1E16rocblas_bfloat16PKS0_fEviT4_llS3_lliPT5_PT3_
    .private_segment_fixed_size: 0
    .sgpr_count:     32
    .sgpr_spill_count: 0
    .symbol:         _ZL26rocblas_dot_kernel_inc1by2ILb1ELi1024ELi32ELb1E16rocblas_bfloat16PKS0_fEviT4_llS3_lliPT5_PT3_.kd
    .uniform_work_group_size: 1
    .uses_dynamic_stack: false
    .vgpr_count:     11
    .vgpr_spill_count: 0
    .wavefront_size: 64
  - .args:
      - .offset:         0
        .size:           4
        .value_kind:     by_value
      - .actual_access:  read_only
        .address_space:  global
        .offset:         8
        .size:           8
        .value_kind:     global_buffer
      - .offset:         16
        .size:           8
        .value_kind:     by_value
      - .offset:         24
        .size:           4
        .value_kind:     by_value
      - .offset:         32
        .size:           8
        .value_kind:     by_value
      - .actual_access:  read_only
        .address_space:  global
        .offset:         40
        .size:           8
        .value_kind:     global_buffer
      - .offset:         48
        .size:           8
        .value_kind:     by_value
      - .offset:         56
        .size:           4
        .value_kind:     by_value
      - .offset:         64
        .size:           8
        .value_kind:     by_value
      - .offset:         72
        .size:           4
        .value_kind:     by_value
      - .actual_access:  read_only
        .address_space:  global
        .offset:         80
        .size:           8
        .value_kind:     global_buffer
      - .actual_access:  write_only
        .address_space:  global
        .offset:         88
        .size:           8
        .value_kind:     global_buffer
      - .offset:         96
        .size:           4
        .value_kind:     hidden_block_count_x
      - .offset:         100
        .size:           4
        .value_kind:     hidden_block_count_y
      - .offset:         104
        .size:           4
        .value_kind:     hidden_block_count_z
      - .offset:         108
        .size:           2
        .value_kind:     hidden_group_size_x
      - .offset:         110
        .size:           2
        .value_kind:     hidden_group_size_y
      - .offset:         112
        .size:           2
        .value_kind:     hidden_group_size_z
      - .offset:         114
        .size:           2
        .value_kind:     hidden_remainder_x
      - .offset:         116
        .size:           2
        .value_kind:     hidden_remainder_y
      - .offset:         118
        .size:           2
        .value_kind:     hidden_remainder_z
      - .offset:         136
        .size:           8
        .value_kind:     hidden_global_offset_x
      - .offset:         144
        .size:           8
        .value_kind:     hidden_global_offset_y
      - .offset:         152
        .size:           8
        .value_kind:     hidden_global_offset_z
      - .offset:         160
        .size:           2
        .value_kind:     hidden_grid_dims
    .group_segment_fixed_size: 256
    .kernarg_segment_align: 8
    .kernarg_segment_size: 352
    .language:       OpenCL C
    .language_version:
      - 2
      - 0
    .max_flat_workgroup_size: 1024
    .name:           _ZL18rocblas_dot_kernelIiLb1ELi1024ELi32ELb1E16rocblas_bfloat16PKS0_fEviT5_lT_lS3_lS4_liPT6_PT4_
    .private_segment_fixed_size: 0
    .sgpr_count:     29
    .sgpr_spill_count: 0
    .symbol:         _ZL18rocblas_dot_kernelIiLb1ELi1024ELi32ELb1E16rocblas_bfloat16PKS0_fEviT5_lT_lS3_lS4_liPT6_PT4_.kd
    .uniform_work_group_size: 1
    .uses_dynamic_stack: false
    .vgpr_count:     11
    .vgpr_spill_count: 0
    .wavefront_size: 64
  - .args:
      - .offset:         0
        .size:           4
        .value_kind:     by_value
      - .actual_access:  read_only
        .address_space:  global
        .offset:         8
        .size:           8
        .value_kind:     global_buffer
      - .offset:         16
        .size:           8
        .value_kind:     by_value
      - .offset:         24
        .size:           4
        .value_kind:     by_value
      - .offset:         32
        .size:           8
        .value_kind:     by_value
      - .offset:         40
        .size:           4
        .value_kind:     by_value
      - .actual_access:  read_only
        .address_space:  global
        .offset:         48
        .size:           8
        .value_kind:     global_buffer
      - .actual_access:  write_only
        .address_space:  global
        .offset:         56
        .size:           8
        .value_kind:     global_buffer
      - .offset:         64
        .size:           4
        .value_kind:     hidden_block_count_x
      - .offset:         68
        .size:           4
        .value_kind:     hidden_block_count_y
      - .offset:         72
        .size:           4
        .value_kind:     hidden_block_count_z
      - .offset:         76
        .size:           2
        .value_kind:     hidden_group_size_x
      - .offset:         78
        .size:           2
        .value_kind:     hidden_group_size_y
      - .offset:         80
        .size:           2
        .value_kind:     hidden_group_size_z
      - .offset:         82
        .size:           2
        .value_kind:     hidden_remainder_x
      - .offset:         84
        .size:           2
        .value_kind:     hidden_remainder_y
      - .offset:         86
        .size:           2
        .value_kind:     hidden_remainder_z
      - .offset:         104
        .size:           8
        .value_kind:     hidden_global_offset_x
      - .offset:         112
        .size:           8
        .value_kind:     hidden_global_offset_y
      - .offset:         120
        .size:           8
        .value_kind:     hidden_global_offset_z
      - .offset:         128
        .size:           2
        .value_kind:     hidden_grid_dims
    .group_segment_fixed_size: 256
    .kernarg_segment_align: 8
    .kernarg_segment_size: 320
    .language:       OpenCL C
    .language_version:
      - 2
      - 0
    .max_flat_workgroup_size: 1024
    .name:           _ZL24rocblas_dot_kernel_magsqIiLb1ELi1024ELi32ELb1E16rocblas_bfloat16PKS0_fEviT5_lT_liPT6_PT4_
    .private_segment_fixed_size: 0
    .sgpr_count:     24
    .sgpr_spill_count: 0
    .symbol:         _ZL24rocblas_dot_kernel_magsqIiLb1ELi1024ELi32ELb1E16rocblas_bfloat16PKS0_fEviT5_lT_liPT6_PT4_.kd
    .uniform_work_group_size: 1
    .uses_dynamic_stack: false
    .vgpr_count:     10
    .vgpr_spill_count: 0
    .wavefront_size: 64
  - .args:
      - .offset:         0
        .size:           4
        .value_kind:     by_value
      - .actual_access:  read_only
        .address_space:  global
        .offset:         8
        .size:           8
        .value_kind:     global_buffer
      - .offset:         16
        .size:           8
        .value_kind:     by_value
      - .offset:         24
        .size:           4
        .value_kind:     by_value
      - .offset:         32
        .size:           8
        .value_kind:     by_value
      - .actual_access:  read_only
        .address_space:  global
        .offset:         40
        .size:           8
        .value_kind:     global_buffer
      - .offset:         48
        .size:           8
        .value_kind:     by_value
      - .offset:         56
        .size:           4
        .value_kind:     by_value
      - .offset:         64
        .size:           8
        .value_kind:     by_value
      - .actual_access:  read_only
        .address_space:  global
        .offset:         72
        .size:           8
        .value_kind:     global_buffer
      - .actual_access:  read_only
        .address_space:  global
        .offset:         80
        .size:           8
        .value_kind:     global_buffer
    .group_segment_fixed_size: 0
    .kernarg_segment_align: 8
    .kernarg_segment_size: 88
    .language:       OpenCL C
    .language_version:
      - 2
      - 0
    .max_flat_workgroup_size: 1024
    .name:           _ZL38rocblas_dot_kernel_gfx942_float_doubleIiLi1024E16rocblas_bfloat16PKS0_fEviT2_lT_lS3_lS4_lPT3_PT1_
    .private_segment_fixed_size: 0
    .sgpr_count:     4
    .sgpr_spill_count: 0
    .symbol:         _ZL38rocblas_dot_kernel_gfx942_float_doubleIiLi1024E16rocblas_bfloat16PKS0_fEviT2_lT_lS3_lS4_lPT3_PT1_.kd
    .uniform_work_group_size: 1
    .uses_dynamic_stack: false
    .vgpr_count:     0
    .vgpr_spill_count: 0
    .wavefront_size: 64
  - .args:
      - .offset:         0
        .size:           4
        .value_kind:     by_value
      - .actual_access:  read_only
        .address_space:  global
        .offset:         8
        .size:           8
        .value_kind:     global_buffer
      - .actual_access:  write_only
        .address_space:  global
        .offset:         16
        .size:           8
        .value_kind:     global_buffer
    .group_segment_fixed_size: 256
    .kernarg_segment_align: 8
    .kernarg_segment_size: 24
    .language:       OpenCL C
    .language_version:
      - 2
      - 0
    .max_flat_workgroup_size: 1024
    .name:           _ZL30rocblas_reduction_kernel_part2ILi1024ELi4E25rocblas_finalize_identityf16rocblas_bfloat16EviPT2_PT3_
    .private_segment_fixed_size: 0
    .sgpr_count:     18
    .sgpr_spill_count: 0
    .symbol:         _ZL30rocblas_reduction_kernel_part2ILi1024ELi4E25rocblas_finalize_identityf16rocblas_bfloat16EviPT2_PT3_.kd
    .uniform_work_group_size: 1
    .uses_dynamic_stack: false
    .vgpr_count:     10
    .vgpr_spill_count: 0
    .wavefront_size: 64
  - .args:
      - .offset:         0
        .size:           4
        .value_kind:     by_value
      - .actual_access:  read_only
        .address_space:  global
        .offset:         8
        .size:           8
        .value_kind:     global_buffer
      - .offset:         16
        .size:           8
        .value_kind:     by_value
      - .offset:         24
        .size:           8
        .value_kind:     by_value
      - .actual_access:  read_only
        .address_space:  global
        .offset:         32
        .size:           8
        .value_kind:     global_buffer
      - .offset:         40
        .size:           8
        .value_kind:     by_value
      - .offset:         48
        .size:           8
        .value_kind:     by_value
      - .offset:         56
        .size:           4
        .value_kind:     by_value
      - .actual_access:  write_only
        .address_space:  global
        .offset:         64
        .size:           8
        .value_kind:     global_buffer
      - .actual_access:  write_only
        .address_space:  global
        .offset:         72
        .size:           8
        .value_kind:     global_buffer
      - .offset:         80
        .size:           4
        .value_kind:     hidden_block_count_x
      - .offset:         84
        .size:           4
        .value_kind:     hidden_block_count_y
      - .offset:         88
        .size:           4
        .value_kind:     hidden_block_count_z
      - .offset:         92
        .size:           2
        .value_kind:     hidden_group_size_x
      - .offset:         94
        .size:           2
        .value_kind:     hidden_group_size_y
      - .offset:         96
        .size:           2
        .value_kind:     hidden_group_size_z
      - .offset:         98
        .size:           2
        .value_kind:     hidden_remainder_x
      - .offset:         100
        .size:           2
        .value_kind:     hidden_remainder_y
      - .offset:         102
        .size:           2
        .value_kind:     hidden_remainder_z
      - .offset:         120
        .size:           8
        .value_kind:     hidden_global_offset_x
      - .offset:         128
        .size:           8
        .value_kind:     hidden_global_offset_y
      - .offset:         136
        .size:           8
        .value_kind:     hidden_global_offset_z
      - .offset:         144
        .size:           2
        .value_kind:     hidden_grid_dims
    .group_segment_fixed_size: 256
    .kernarg_segment_align: 8
    .kernarg_segment_size: 336
    .language:       OpenCL C
    .language_version:
      - 2
      - 0
    .max_flat_workgroup_size: 512
    .name:           _ZL23rocblas_dot_kernel_inc1ILb0ELi512ELi8ELb1E16rocblas_bfloat16PKS0_fEviT4_llS3_lliPT5_PT3_
    .private_segment_fixed_size: 0
    .sgpr_count:     32
    .sgpr_spill_count: 0
    .symbol:         _ZL23rocblas_dot_kernel_inc1ILb0ELi512ELi8ELb1E16rocblas_bfloat16PKS0_fEviT4_llS3_lliPT5_PT3_.kd
    .uniform_work_group_size: 1
    .uses_dynamic_stack: false
    .vgpr_count:     14
    .vgpr_spill_count: 0
    .wavefront_size: 64
  - .args:
      - .offset:         0
        .size:           4
        .value_kind:     by_value
      - .actual_access:  read_only
        .address_space:  global
        .offset:         8
        .size:           8
        .value_kind:     global_buffer
      - .offset:         16
        .size:           8
        .value_kind:     by_value
      - .offset:         24
        .size:           4
        .value_kind:     by_value
      - .offset:         32
        .size:           8
        .value_kind:     by_value
      - .actual_access:  read_only
        .address_space:  global
        .offset:         40
        .size:           8
        .value_kind:     global_buffer
      - .offset:         48
        .size:           8
        .value_kind:     by_value
      - .offset:         56
        .size:           4
        .value_kind:     by_value
      - .offset:         64
        .size:           8
        .value_kind:     by_value
      - .offset:         72
        .size:           4
        .value_kind:     by_value
      - .actual_access:  write_only
        .address_space:  global
        .offset:         80
        .size:           8
        .value_kind:     global_buffer
      - .actual_access:  write_only
        .address_space:  global
        .offset:         88
        .size:           8
        .value_kind:     global_buffer
      - .offset:         96
        .size:           4
        .value_kind:     hidden_block_count_x
      - .offset:         100
        .size:           4
        .value_kind:     hidden_block_count_y
      - .offset:         104
        .size:           4
        .value_kind:     hidden_block_count_z
      - .offset:         108
        .size:           2
        .value_kind:     hidden_group_size_x
      - .offset:         110
        .size:           2
        .value_kind:     hidden_group_size_y
      - .offset:         112
        .size:           2
        .value_kind:     hidden_group_size_z
      - .offset:         114
        .size:           2
        .value_kind:     hidden_remainder_x
      - .offset:         116
        .size:           2
        .value_kind:     hidden_remainder_y
      - .offset:         118
        .size:           2
        .value_kind:     hidden_remainder_z
      - .offset:         136
        .size:           8
        .value_kind:     hidden_global_offset_x
      - .offset:         144
        .size:           8
        .value_kind:     hidden_global_offset_y
      - .offset:         152
        .size:           8
        .value_kind:     hidden_global_offset_z
      - .offset:         160
        .size:           2
        .value_kind:     hidden_grid_dims
    .group_segment_fixed_size: 256
    .kernarg_segment_align: 8
    .kernarg_segment_size: 352
    .language:       OpenCL C
    .language_version:
      - 2
      - 0
    .max_flat_workgroup_size: 512
    .name:           _ZL18rocblas_dot_kernelIiLb0ELi512ELi8ELb1E16rocblas_bfloat16PKS0_fEviT5_lT_lS3_lS4_liPT6_PT4_
    .private_segment_fixed_size: 0
    .sgpr_count:     32
    .sgpr_spill_count: 0
    .symbol:         _ZL18rocblas_dot_kernelIiLb0ELi512ELi8ELb1E16rocblas_bfloat16PKS0_fEviT5_lT_lS3_lS4_liPT6_PT4_.kd
    .uniform_work_group_size: 1
    .uses_dynamic_stack: false
    .vgpr_count:     11
    .vgpr_spill_count: 0
    .wavefront_size: 64
  - .args:
      - .offset:         0
        .size:           4
        .value_kind:     by_value
      - .actual_access:  read_only
        .address_space:  global
        .offset:         8
        .size:           8
        .value_kind:     global_buffer
      - .offset:         16
        .size:           8
        .value_kind:     by_value
      - .offset:         24
        .size:           4
        .value_kind:     by_value
      - .offset:         32
        .size:           8
        .value_kind:     by_value
      - .offset:         40
        .size:           4
        .value_kind:     by_value
      - .actual_access:  write_only
        .address_space:  global
        .offset:         48
        .size:           8
        .value_kind:     global_buffer
      - .actual_access:  write_only
        .address_space:  global
        .offset:         56
        .size:           8
        .value_kind:     global_buffer
      - .offset:         64
        .size:           4
        .value_kind:     hidden_block_count_x
      - .offset:         68
        .size:           4
        .value_kind:     hidden_block_count_y
      - .offset:         72
        .size:           4
        .value_kind:     hidden_block_count_z
      - .offset:         76
        .size:           2
        .value_kind:     hidden_group_size_x
      - .offset:         78
        .size:           2
        .value_kind:     hidden_group_size_y
      - .offset:         80
        .size:           2
        .value_kind:     hidden_group_size_z
      - .offset:         82
        .size:           2
        .value_kind:     hidden_remainder_x
      - .offset:         84
        .size:           2
        .value_kind:     hidden_remainder_y
      - .offset:         86
        .size:           2
        .value_kind:     hidden_remainder_z
      - .offset:         104
        .size:           8
        .value_kind:     hidden_global_offset_x
      - .offset:         112
        .size:           8
        .value_kind:     hidden_global_offset_y
      - .offset:         120
        .size:           8
        .value_kind:     hidden_global_offset_z
      - .offset:         128
        .size:           2
        .value_kind:     hidden_grid_dims
    .group_segment_fixed_size: 256
    .kernarg_segment_align: 8
    .kernarg_segment_size: 320
    .language:       OpenCL C
    .language_version:
      - 2
      - 0
    .max_flat_workgroup_size: 512
    .name:           _ZL24rocblas_dot_kernel_magsqIiLb0ELi512ELi8ELb1E16rocblas_bfloat16PKS0_fEviT5_lT_liPT6_PT4_
    .private_segment_fixed_size: 0
    .sgpr_count:     28
    .sgpr_spill_count: 0
    .symbol:         _ZL24rocblas_dot_kernel_magsqIiLb0ELi512ELi8ELb1E16rocblas_bfloat16PKS0_fEviT5_lT_liPT6_PT4_.kd
    .uniform_work_group_size: 1
    .uses_dynamic_stack: false
    .vgpr_count:     9
    .vgpr_spill_count: 0
    .wavefront_size: 64
  - .args:
      - .offset:         0
        .size:           4
        .value_kind:     by_value
      - .actual_access:  read_only
        .address_space:  global
        .offset:         8
        .size:           8
        .value_kind:     global_buffer
      - .actual_access:  write_only
        .address_space:  global
        .offset:         16
        .size:           8
        .value_kind:     global_buffer
    .group_segment_fixed_size: 256
    .kernarg_segment_align: 8
    .kernarg_segment_size: 24
    .language:       OpenCL C
    .language_version:
      - 2
      - 0
    .max_flat_workgroup_size: 512
    .name:           _ZL30rocblas_reduction_kernel_part2ILi512ELi8E25rocblas_finalize_identityf16rocblas_bfloat16EviPT2_PT3_
    .private_segment_fixed_size: 0
    .sgpr_count:     18
    .sgpr_spill_count: 0
    .symbol:         _ZL30rocblas_reduction_kernel_part2ILi512ELi8E25rocblas_finalize_identityf16rocblas_bfloat16EviPT2_PT3_.kd
    .uniform_work_group_size: 1
    .uses_dynamic_stack: false
    .vgpr_count:     13
    .vgpr_spill_count: 0
    .wavefront_size: 64
  - .args:
      - .offset:         0
        .size:           4
        .value_kind:     by_value
      - .actual_access:  read_only
        .address_space:  global
        .offset:         8
        .size:           8
        .value_kind:     global_buffer
      - .offset:         16
        .size:           8
        .value_kind:     by_value
      - .offset:         24
        .size:           4
        .value_kind:     by_value
      - .offset:         32
        .size:           8
        .value_kind:     by_value
      - .actual_access:  read_only
        .address_space:  global
        .offset:         40
        .size:           8
        .value_kind:     global_buffer
      - .offset:         48
        .size:           8
        .value_kind:     by_value
      - .offset:         56
        .size:           4
        .value_kind:     by_value
      - .offset:         64
        .size:           8
        .value_kind:     by_value
      - .offset:         72
        .size:           4
        .value_kind:     by_value
      - .actual_access:  write_only
        .address_space:  global
        .offset:         80
        .size:           8
        .value_kind:     global_buffer
    .group_segment_fixed_size: 0
    .kernarg_segment_align: 8
    .kernarg_segment_size: 88
    .language:       OpenCL C
    .language_version:
      - 2
      - 0
    .max_flat_workgroup_size: 128
    .name:           _ZL28rocblas_dot_batched_4_kernelIiLi32ELi4ELb1Ef16rocblas_bfloat16PKPKS0_EviT5_lT_lS5_lS6_liPT4_
    .private_segment_fixed_size: 0
    .sgpr_count:     22
    .sgpr_spill_count: 0
    .symbol:         _ZL28rocblas_dot_batched_4_kernelIiLi32ELi4ELb1Ef16rocblas_bfloat16PKPKS0_EviT5_lT_lS5_lS6_liPT4_.kd
    .uniform_work_group_size: 1
    .uses_dynamic_stack: false
    .vgpr_count:     16
    .vgpr_spill_count: 0
    .wavefront_size: 64
  - .args:
      - .offset:         0
        .size:           4
        .value_kind:     by_value
      - .actual_access:  read_only
        .address_space:  global
        .offset:         8
        .size:           8
        .value_kind:     global_buffer
      - .offset:         16
        .size:           8
        .value_kind:     by_value
      - .offset:         24
        .size:           4
        .value_kind:     by_value
      - .offset:         32
        .size:           8
        .value_kind:     by_value
      - .actual_access:  read_only
        .address_space:  global
        .offset:         40
        .size:           8
        .value_kind:     global_buffer
      - .offset:         48
        .size:           8
        .value_kind:     by_value
      - .offset:         56
        .size:           4
        .value_kind:     by_value
      - .offset:         64
        .size:           8
        .value_kind:     by_value
      - .offset:         72
        .size:           4
        .value_kind:     by_value
      - .actual_access:  write_only
        .address_space:  global
        .offset:         80
        .size:           8
        .value_kind:     global_buffer
    .group_segment_fixed_size: 0
    .kernarg_segment_align: 8
    .kernarg_segment_size: 88
    .language:       OpenCL C
    .language_version:
      - 2
      - 0
    .max_flat_workgroup_size: 256
    .name:           _ZL28rocblas_dot_batched_4_kernelIiLi64ELi4ELb1Ef16rocblas_bfloat16PKPKS0_EviT5_lT_lS5_lS6_liPT4_
    .private_segment_fixed_size: 0
    .sgpr_count:     24
    .sgpr_spill_count: 0
    .symbol:         _ZL28rocblas_dot_batched_4_kernelIiLi64ELi4ELb1Ef16rocblas_bfloat16PKPKS0_EviT5_lT_lS5_lS6_liPT4_.kd
    .uniform_work_group_size: 1
    .uses_dynamic_stack: false
    .vgpr_count:     14
    .vgpr_spill_count: 0
    .wavefront_size: 64
  - .args:
      - .offset:         0
        .size:           4
        .value_kind:     by_value
      - .actual_access:  read_only
        .address_space:  global
        .offset:         8
        .size:           8
        .value_kind:     global_buffer
      - .offset:         16
        .size:           8
        .value_kind:     by_value
      - .offset:         24
        .size:           8
        .value_kind:     by_value
      - .actual_access:  read_only
        .address_space:  global
        .offset:         32
        .size:           8
        .value_kind:     global_buffer
      - .offset:         40
        .size:           8
        .value_kind:     by_value
      - .offset:         48
        .size:           8
        .value_kind:     by_value
      - .offset:         56
        .size:           4
        .value_kind:     by_value
      - .actual_access:  read_only
        .address_space:  global
        .offset:         64
        .size:           8
        .value_kind:     global_buffer
      - .actual_access:  write_only
        .address_space:  global
        .offset:         72
        .size:           8
        .value_kind:     global_buffer
    .group_segment_fixed_size: 256
    .kernarg_segment_align: 8
    .kernarg_segment_size: 80
    .language:       OpenCL C
    .language_version:
      - 2
      - 0
    .max_flat_workgroup_size: 1024
    .name:           _ZL26rocblas_dot_kernel_inc1by2ILb1ELi1024ELi32ELb1E16rocblas_bfloat16PKPKS0_fEviT4_llS5_lliPT5_PT3_
    .private_segment_fixed_size: 0
    .sgpr_count:     28
    .sgpr_spill_count: 0
    .symbol:         _ZL26rocblas_dot_kernel_inc1by2ILb1ELi1024ELi32ELb1E16rocblas_bfloat16PKPKS0_fEviT4_llS5_lliPT5_PT3_.kd
    .uniform_work_group_size: 1
    .uses_dynamic_stack: false
    .vgpr_count:     11
    .vgpr_spill_count: 0
    .wavefront_size: 64
  - .args:
      - .offset:         0
        .size:           4
        .value_kind:     by_value
      - .actual_access:  read_only
        .address_space:  global
        .offset:         8
        .size:           8
        .value_kind:     global_buffer
      - .offset:         16
        .size:           8
        .value_kind:     by_value
      - .offset:         24
        .size:           4
        .value_kind:     by_value
      - .offset:         32
        .size:           8
        .value_kind:     by_value
      - .actual_access:  read_only
        .address_space:  global
        .offset:         40
        .size:           8
        .value_kind:     global_buffer
      - .offset:         48
        .size:           8
        .value_kind:     by_value
      - .offset:         56
        .size:           4
        .value_kind:     by_value
      - .offset:         64
        .size:           8
        .value_kind:     by_value
      - .offset:         72
        .size:           4
        .value_kind:     by_value
      - .actual_access:  read_only
        .address_space:  global
        .offset:         80
        .size:           8
        .value_kind:     global_buffer
      - .actual_access:  write_only
        .address_space:  global
        .offset:         88
        .size:           8
        .value_kind:     global_buffer
      - .offset:         96
        .size:           4
        .value_kind:     hidden_block_count_x
      - .offset:         100
        .size:           4
        .value_kind:     hidden_block_count_y
      - .offset:         104
        .size:           4
        .value_kind:     hidden_block_count_z
      - .offset:         108
        .size:           2
        .value_kind:     hidden_group_size_x
      - .offset:         110
        .size:           2
        .value_kind:     hidden_group_size_y
      - .offset:         112
        .size:           2
        .value_kind:     hidden_group_size_z
      - .offset:         114
        .size:           2
        .value_kind:     hidden_remainder_x
      - .offset:         116
        .size:           2
        .value_kind:     hidden_remainder_y
      - .offset:         118
        .size:           2
        .value_kind:     hidden_remainder_z
      - .offset:         136
        .size:           8
        .value_kind:     hidden_global_offset_x
      - .offset:         144
        .size:           8
        .value_kind:     hidden_global_offset_y
      - .offset:         152
        .size:           8
        .value_kind:     hidden_global_offset_z
      - .offset:         160
        .size:           2
        .value_kind:     hidden_grid_dims
    .group_segment_fixed_size: 256
    .kernarg_segment_align: 8
    .kernarg_segment_size: 352
    .language:       OpenCL C
    .language_version:
      - 2
      - 0
    .max_flat_workgroup_size: 1024
    .name:           _ZL18rocblas_dot_kernelIiLb1ELi1024ELi32ELb1E16rocblas_bfloat16PKPKS0_fEviT5_lT_lS5_lS6_liPT6_PT4_
    .private_segment_fixed_size: 0
    .sgpr_count:     28
    .sgpr_spill_count: 0
    .symbol:         _ZL18rocblas_dot_kernelIiLb1ELi1024ELi32ELb1E16rocblas_bfloat16PKPKS0_fEviT5_lT_lS5_lS6_liPT6_PT4_.kd
    .uniform_work_group_size: 1
    .uses_dynamic_stack: false
    .vgpr_count:     11
    .vgpr_spill_count: 0
    .wavefront_size: 64
  - .args:
      - .offset:         0
        .size:           4
        .value_kind:     by_value
      - .actual_access:  read_only
        .address_space:  global
        .offset:         8
        .size:           8
        .value_kind:     global_buffer
      - .offset:         16
        .size:           8
        .value_kind:     by_value
      - .offset:         24
        .size:           4
        .value_kind:     by_value
      - .offset:         32
        .size:           8
        .value_kind:     by_value
      - .offset:         40
        .size:           4
        .value_kind:     by_value
      - .actual_access:  read_only
        .address_space:  global
        .offset:         48
        .size:           8
        .value_kind:     global_buffer
      - .actual_access:  write_only
        .address_space:  global
        .offset:         56
        .size:           8
        .value_kind:     global_buffer
      - .offset:         64
        .size:           4
        .value_kind:     hidden_block_count_x
      - .offset:         68
        .size:           4
        .value_kind:     hidden_block_count_y
      - .offset:         72
        .size:           4
        .value_kind:     hidden_block_count_z
      - .offset:         76
        .size:           2
        .value_kind:     hidden_group_size_x
      - .offset:         78
        .size:           2
        .value_kind:     hidden_group_size_y
      - .offset:         80
        .size:           2
        .value_kind:     hidden_group_size_z
      - .offset:         82
        .size:           2
        .value_kind:     hidden_remainder_x
      - .offset:         84
        .size:           2
        .value_kind:     hidden_remainder_y
      - .offset:         86
        .size:           2
        .value_kind:     hidden_remainder_z
      - .offset:         104
        .size:           8
        .value_kind:     hidden_global_offset_x
      - .offset:         112
        .size:           8
        .value_kind:     hidden_global_offset_y
      - .offset:         120
        .size:           8
        .value_kind:     hidden_global_offset_z
      - .offset:         128
        .size:           2
        .value_kind:     hidden_grid_dims
    .group_segment_fixed_size: 256
    .kernarg_segment_align: 8
    .kernarg_segment_size: 320
    .language:       OpenCL C
    .language_version:
      - 2
      - 0
    .max_flat_workgroup_size: 1024
    .name:           _ZL24rocblas_dot_kernel_magsqIiLb1ELi1024ELi32ELb1E16rocblas_bfloat16PKPKS0_fEviT5_lT_liPT6_PT4_
    .private_segment_fixed_size: 0
    .sgpr_count:     24
    .sgpr_spill_count: 0
    .symbol:         _ZL24rocblas_dot_kernel_magsqIiLb1ELi1024ELi32ELb1E16rocblas_bfloat16PKPKS0_fEviT5_lT_liPT6_PT4_.kd
    .uniform_work_group_size: 1
    .uses_dynamic_stack: false
    .vgpr_count:     10
    .vgpr_spill_count: 0
    .wavefront_size: 64
  - .args:
      - .offset:         0
        .size:           4
        .value_kind:     by_value
      - .actual_access:  read_only
        .address_space:  global
        .offset:         8
        .size:           8
        .value_kind:     global_buffer
      - .offset:         16
        .size:           8
        .value_kind:     by_value
      - .offset:         24
        .size:           4
        .value_kind:     by_value
      - .offset:         32
        .size:           8
        .value_kind:     by_value
      - .actual_access:  read_only
        .address_space:  global
        .offset:         40
        .size:           8
        .value_kind:     global_buffer
      - .offset:         48
        .size:           8
        .value_kind:     by_value
      - .offset:         56
        .size:           4
        .value_kind:     by_value
      - .offset:         64
        .size:           8
        .value_kind:     by_value
      - .actual_access:  read_only
        .address_space:  global
        .offset:         72
        .size:           8
        .value_kind:     global_buffer
      - .actual_access:  read_only
        .address_space:  global
        .offset:         80
        .size:           8
        .value_kind:     global_buffer
    .group_segment_fixed_size: 0
    .kernarg_segment_align: 8
    .kernarg_segment_size: 88
    .language:       OpenCL C
    .language_version:
      - 2
      - 0
    .max_flat_workgroup_size: 1024
    .name:           _ZL38rocblas_dot_kernel_gfx942_float_doubleIiLi1024E16rocblas_bfloat16PKPKS0_fEviT2_lT_lS5_lS6_lPT3_PT1_
    .private_segment_fixed_size: 0
    .sgpr_count:     4
    .sgpr_spill_count: 0
    .symbol:         _ZL38rocblas_dot_kernel_gfx942_float_doubleIiLi1024E16rocblas_bfloat16PKPKS0_fEviT2_lT_lS5_lS6_lPT3_PT1_.kd
    .uniform_work_group_size: 1
    .uses_dynamic_stack: false
    .vgpr_count:     0
    .vgpr_spill_count: 0
    .wavefront_size: 64
  - .args:
      - .offset:         0
        .size:           4
        .value_kind:     by_value
      - .actual_access:  read_only
        .address_space:  global
        .offset:         8
        .size:           8
        .value_kind:     global_buffer
      - .offset:         16
        .size:           8
        .value_kind:     by_value
      - .offset:         24
        .size:           8
        .value_kind:     by_value
      - .actual_access:  read_only
        .address_space:  global
        .offset:         32
        .size:           8
        .value_kind:     global_buffer
      - .offset:         40
        .size:           8
        .value_kind:     by_value
      - .offset:         48
        .size:           8
        .value_kind:     by_value
      - .offset:         56
        .size:           4
        .value_kind:     by_value
      - .actual_access:  write_only
        .address_space:  global
        .offset:         64
        .size:           8
        .value_kind:     global_buffer
      - .actual_access:  write_only
        .address_space:  global
        .offset:         72
        .size:           8
        .value_kind:     global_buffer
      - .offset:         80
        .size:           4
        .value_kind:     hidden_block_count_x
      - .offset:         84
        .size:           4
        .value_kind:     hidden_block_count_y
      - .offset:         88
        .size:           4
        .value_kind:     hidden_block_count_z
      - .offset:         92
        .size:           2
        .value_kind:     hidden_group_size_x
      - .offset:         94
        .size:           2
        .value_kind:     hidden_group_size_y
      - .offset:         96
        .size:           2
        .value_kind:     hidden_group_size_z
      - .offset:         98
        .size:           2
        .value_kind:     hidden_remainder_x
      - .offset:         100
        .size:           2
        .value_kind:     hidden_remainder_y
      - .offset:         102
        .size:           2
        .value_kind:     hidden_remainder_z
      - .offset:         120
        .size:           8
        .value_kind:     hidden_global_offset_x
      - .offset:         128
        .size:           8
        .value_kind:     hidden_global_offset_y
      - .offset:         136
        .size:           8
        .value_kind:     hidden_global_offset_z
      - .offset:         144
        .size:           2
        .value_kind:     hidden_grid_dims
    .group_segment_fixed_size: 256
    .kernarg_segment_align: 8
    .kernarg_segment_size: 336
    .language:       OpenCL C
    .language_version:
      - 2
      - 0
    .max_flat_workgroup_size: 512
    .name:           _ZL23rocblas_dot_kernel_inc1ILb0ELi512ELi8ELb1E16rocblas_bfloat16PKPKS0_fEviT4_llS5_lliPT5_PT3_
    .private_segment_fixed_size: 0
    .sgpr_count:     32
    .sgpr_spill_count: 0
    .symbol:         _ZL23rocblas_dot_kernel_inc1ILb0ELi512ELi8ELb1E16rocblas_bfloat16PKPKS0_fEviT4_llS5_lliPT5_PT3_.kd
    .uniform_work_group_size: 1
    .uses_dynamic_stack: false
    .vgpr_count:     14
    .vgpr_spill_count: 0
    .wavefront_size: 64
  - .args:
      - .offset:         0
        .size:           4
        .value_kind:     by_value
      - .actual_access:  read_only
        .address_space:  global
        .offset:         8
        .size:           8
        .value_kind:     global_buffer
      - .offset:         16
        .size:           8
        .value_kind:     by_value
      - .offset:         24
        .size:           4
        .value_kind:     by_value
      - .offset:         32
        .size:           8
        .value_kind:     by_value
      - .actual_access:  read_only
        .address_space:  global
        .offset:         40
        .size:           8
        .value_kind:     global_buffer
      - .offset:         48
        .size:           8
        .value_kind:     by_value
      - .offset:         56
        .size:           4
        .value_kind:     by_value
      - .offset:         64
        .size:           8
        .value_kind:     by_value
      - .offset:         72
        .size:           4
        .value_kind:     by_value
      - .actual_access:  write_only
        .address_space:  global
        .offset:         80
        .size:           8
        .value_kind:     global_buffer
      - .actual_access:  write_only
        .address_space:  global
        .offset:         88
        .size:           8
        .value_kind:     global_buffer
      - .offset:         96
        .size:           4
        .value_kind:     hidden_block_count_x
      - .offset:         100
        .size:           4
        .value_kind:     hidden_block_count_y
      - .offset:         104
        .size:           4
        .value_kind:     hidden_block_count_z
      - .offset:         108
        .size:           2
        .value_kind:     hidden_group_size_x
      - .offset:         110
        .size:           2
        .value_kind:     hidden_group_size_y
      - .offset:         112
        .size:           2
        .value_kind:     hidden_group_size_z
      - .offset:         114
        .size:           2
        .value_kind:     hidden_remainder_x
      - .offset:         116
        .size:           2
        .value_kind:     hidden_remainder_y
      - .offset:         118
        .size:           2
        .value_kind:     hidden_remainder_z
      - .offset:         136
        .size:           8
        .value_kind:     hidden_global_offset_x
      - .offset:         144
        .size:           8
        .value_kind:     hidden_global_offset_y
      - .offset:         152
        .size:           8
        .value_kind:     hidden_global_offset_z
      - .offset:         160
        .size:           2
        .value_kind:     hidden_grid_dims
    .group_segment_fixed_size: 256
    .kernarg_segment_align: 8
    .kernarg_segment_size: 352
    .language:       OpenCL C
    .language_version:
      - 2
      - 0
    .max_flat_workgroup_size: 512
    .name:           _ZL18rocblas_dot_kernelIiLb0ELi512ELi8ELb1E16rocblas_bfloat16PKPKS0_fEviT5_lT_lS5_lS6_liPT6_PT4_
    .private_segment_fixed_size: 0
    .sgpr_count:     32
    .sgpr_spill_count: 0
    .symbol:         _ZL18rocblas_dot_kernelIiLb0ELi512ELi8ELb1E16rocblas_bfloat16PKPKS0_fEviT5_lT_lS5_lS6_liPT6_PT4_.kd
    .uniform_work_group_size: 1
    .uses_dynamic_stack: false
    .vgpr_count:     11
    .vgpr_spill_count: 0
    .wavefront_size: 64
  - .args:
      - .offset:         0
        .size:           4
        .value_kind:     by_value
      - .actual_access:  read_only
        .address_space:  global
        .offset:         8
        .size:           8
        .value_kind:     global_buffer
      - .offset:         16
        .size:           8
        .value_kind:     by_value
      - .offset:         24
        .size:           4
        .value_kind:     by_value
      - .offset:         32
        .size:           8
        .value_kind:     by_value
      - .offset:         40
        .size:           4
        .value_kind:     by_value
      - .actual_access:  write_only
        .address_space:  global
        .offset:         48
        .size:           8
        .value_kind:     global_buffer
      - .actual_access:  write_only
        .address_space:  global
        .offset:         56
        .size:           8
        .value_kind:     global_buffer
      - .offset:         64
        .size:           4
        .value_kind:     hidden_block_count_x
      - .offset:         68
        .size:           4
        .value_kind:     hidden_block_count_y
      - .offset:         72
        .size:           4
        .value_kind:     hidden_block_count_z
      - .offset:         76
        .size:           2
        .value_kind:     hidden_group_size_x
      - .offset:         78
        .size:           2
        .value_kind:     hidden_group_size_y
      - .offset:         80
        .size:           2
        .value_kind:     hidden_group_size_z
      - .offset:         82
        .size:           2
        .value_kind:     hidden_remainder_x
      - .offset:         84
        .size:           2
        .value_kind:     hidden_remainder_y
      - .offset:         86
        .size:           2
        .value_kind:     hidden_remainder_z
      - .offset:         104
        .size:           8
        .value_kind:     hidden_global_offset_x
      - .offset:         112
        .size:           8
        .value_kind:     hidden_global_offset_y
      - .offset:         120
        .size:           8
        .value_kind:     hidden_global_offset_z
      - .offset:         128
        .size:           2
        .value_kind:     hidden_grid_dims
    .group_segment_fixed_size: 256
    .kernarg_segment_align: 8
    .kernarg_segment_size: 320
    .language:       OpenCL C
    .language_version:
      - 2
      - 0
    .max_flat_workgroup_size: 512
    .name:           _ZL24rocblas_dot_kernel_magsqIiLb0ELi512ELi8ELb1E16rocblas_bfloat16PKPKS0_fEviT5_lT_liPT6_PT4_
    .private_segment_fixed_size: 0
    .sgpr_count:     28
    .sgpr_spill_count: 0
    .symbol:         _ZL24rocblas_dot_kernel_magsqIiLb0ELi512ELi8ELb1E16rocblas_bfloat16PKPKS0_fEviT5_lT_liPT6_PT4_.kd
    .uniform_work_group_size: 1
    .uses_dynamic_stack: false
    .vgpr_count:     9
    .vgpr_spill_count: 0
    .wavefront_size: 64
  - .args:
      - .offset:         0
        .size:           4
        .value_kind:     by_value
      - .actual_access:  read_only
        .address_space:  global
        .offset:         8
        .size:           8
        .value_kind:     global_buffer
      - .offset:         16
        .size:           8
        .value_kind:     by_value
      - .offset:         24
        .size:           4
        .value_kind:     by_value
      - .offset:         32
        .size:           8
        .value_kind:     by_value
      - .actual_access:  read_only
        .address_space:  global
        .offset:         40
        .size:           8
        .value_kind:     global_buffer
      - .offset:         48
        .size:           8
        .value_kind:     by_value
      - .offset:         56
        .size:           4
        .value_kind:     by_value
      - .offset:         64
        .size:           8
        .value_kind:     by_value
      - .offset:         72
        .size:           4
        .value_kind:     by_value
      - .actual_access:  write_only
        .address_space:  global
        .offset:         80
        .size:           8
        .value_kind:     global_buffer
    .group_segment_fixed_size: 0
    .kernarg_segment_align: 8
    .kernarg_segment_size: 88
    .language:       OpenCL C
    .language_version:
      - 2
      - 0
    .max_flat_workgroup_size: 128
    .name:           _ZL28rocblas_dot_batched_4_kernelIiLi32ELi4ELb1EffPKfEviT5_lT_lS2_lS3_liPT4_
    .private_segment_fixed_size: 0
    .sgpr_count:     26
    .sgpr_spill_count: 0
    .symbol:         _ZL28rocblas_dot_batched_4_kernelIiLi32ELi4ELb1EffPKfEviT5_lT_lS2_lS3_liPT4_.kd
    .uniform_work_group_size: 1
    .uses_dynamic_stack: false
    .vgpr_count:     13
    .vgpr_spill_count: 0
    .wavefront_size: 64
  - .args:
      - .offset:         0
        .size:           4
        .value_kind:     by_value
      - .actual_access:  read_only
        .address_space:  global
        .offset:         8
        .size:           8
        .value_kind:     global_buffer
      - .offset:         16
        .size:           8
        .value_kind:     by_value
      - .offset:         24
        .size:           4
        .value_kind:     by_value
      - .offset:         32
        .size:           8
        .value_kind:     by_value
      - .actual_access:  read_only
        .address_space:  global
        .offset:         40
        .size:           8
        .value_kind:     global_buffer
      - .offset:         48
        .size:           8
        .value_kind:     by_value
      - .offset:         56
        .size:           4
        .value_kind:     by_value
      - .offset:         64
        .size:           8
        .value_kind:     by_value
      - .offset:         72
        .size:           4
        .value_kind:     by_value
      - .actual_access:  write_only
        .address_space:  global
        .offset:         80
        .size:           8
        .value_kind:     global_buffer
    .group_segment_fixed_size: 0
    .kernarg_segment_align: 8
    .kernarg_segment_size: 88
    .language:       OpenCL C
    .language_version:
      - 2
      - 0
    .max_flat_workgroup_size: 256
    .name:           _ZL28rocblas_dot_batched_4_kernelIiLi64ELi4ELb1EffPKfEviT5_lT_lS2_lS3_liPT4_
    .private_segment_fixed_size: 0
    .sgpr_count:     26
    .sgpr_spill_count: 0
    .symbol:         _ZL28rocblas_dot_batched_4_kernelIiLi64ELi4ELb1EffPKfEviT5_lT_lS2_lS3_liPT4_.kd
    .uniform_work_group_size: 1
    .uses_dynamic_stack: false
    .vgpr_count:     13
    .vgpr_spill_count: 0
    .wavefront_size: 64
  - .args:
      - .offset:         0
        .size:           4
        .value_kind:     by_value
      - .actual_access:  read_only
        .address_space:  global
        .offset:         8
        .size:           8
        .value_kind:     global_buffer
      - .offset:         16
        .size:           8
        .value_kind:     by_value
      - .offset:         24
        .size:           8
        .value_kind:     by_value
      - .actual_access:  read_only
        .address_space:  global
        .offset:         32
        .size:           8
        .value_kind:     global_buffer
      - .offset:         40
        .size:           8
        .value_kind:     by_value
      - .offset:         48
        .size:           8
        .value_kind:     by_value
      - .offset:         56
        .size:           4
        .value_kind:     by_value
      - .actual_access:  read_only
        .address_space:  global
        .offset:         64
        .size:           8
        .value_kind:     global_buffer
      - .actual_access:  write_only
        .address_space:  global
        .offset:         72
        .size:           8
        .value_kind:     global_buffer
    .group_segment_fixed_size: 256
    .kernarg_segment_align: 8
    .kernarg_segment_size: 80
    .language:       OpenCL C
    .language_version:
      - 2
      - 0
    .max_flat_workgroup_size: 1024
    .name:           _ZL26rocblas_dot_kernel_inc1by2ILb1ELi1024ELi32ELb1EfPKffEviT4_llS2_lliPT5_PT3_
    .private_segment_fixed_size: 0
    .sgpr_count:     32
    .sgpr_spill_count: 0
    .symbol:         _ZL26rocblas_dot_kernel_inc1by2ILb1ELi1024ELi32ELb1EfPKffEviT4_llS2_lliPT5_PT3_.kd
    .uniform_work_group_size: 1
    .uses_dynamic_stack: false
    .vgpr_count:     11
    .vgpr_spill_count: 0
    .wavefront_size: 64
  - .args:
      - .offset:         0
        .size:           4
        .value_kind:     by_value
      - .actual_access:  read_only
        .address_space:  global
        .offset:         8
        .size:           8
        .value_kind:     global_buffer
      - .offset:         16
        .size:           8
        .value_kind:     by_value
      - .offset:         24
        .size:           4
        .value_kind:     by_value
      - .offset:         32
        .size:           8
        .value_kind:     by_value
      - .actual_access:  read_only
        .address_space:  global
        .offset:         40
        .size:           8
        .value_kind:     global_buffer
      - .offset:         48
        .size:           8
        .value_kind:     by_value
      - .offset:         56
        .size:           4
        .value_kind:     by_value
      - .offset:         64
        .size:           8
        .value_kind:     by_value
      - .offset:         72
        .size:           4
        .value_kind:     by_value
      - .actual_access:  read_only
        .address_space:  global
        .offset:         80
        .size:           8
        .value_kind:     global_buffer
      - .actual_access:  write_only
        .address_space:  global
        .offset:         88
        .size:           8
        .value_kind:     global_buffer
      - .offset:         96
        .size:           4
        .value_kind:     hidden_block_count_x
      - .offset:         100
        .size:           4
        .value_kind:     hidden_block_count_y
      - .offset:         104
        .size:           4
        .value_kind:     hidden_block_count_z
      - .offset:         108
        .size:           2
        .value_kind:     hidden_group_size_x
      - .offset:         110
        .size:           2
        .value_kind:     hidden_group_size_y
      - .offset:         112
        .size:           2
        .value_kind:     hidden_group_size_z
      - .offset:         114
        .size:           2
        .value_kind:     hidden_remainder_x
      - .offset:         116
        .size:           2
        .value_kind:     hidden_remainder_y
      - .offset:         118
        .size:           2
        .value_kind:     hidden_remainder_z
      - .offset:         136
        .size:           8
        .value_kind:     hidden_global_offset_x
      - .offset:         144
        .size:           8
        .value_kind:     hidden_global_offset_y
      - .offset:         152
        .size:           8
        .value_kind:     hidden_global_offset_z
      - .offset:         160
        .size:           2
        .value_kind:     hidden_grid_dims
    .group_segment_fixed_size: 256
    .kernarg_segment_align: 8
    .kernarg_segment_size: 352
    .language:       OpenCL C
    .language_version:
      - 2
      - 0
    .max_flat_workgroup_size: 1024
    .name:           _ZL18rocblas_dot_kernelIiLb1ELi1024ELi32ELb1EfPKffEviT5_lT_lS2_lS3_liPT6_PT4_
    .private_segment_fixed_size: 0
    .sgpr_count:     29
    .sgpr_spill_count: 0
    .symbol:         _ZL18rocblas_dot_kernelIiLb1ELi1024ELi32ELb1EfPKffEviT5_lT_lS2_lS3_liPT6_PT4_.kd
    .uniform_work_group_size: 1
    .uses_dynamic_stack: false
    .vgpr_count:     11
    .vgpr_spill_count: 0
    .wavefront_size: 64
  - .args:
      - .offset:         0
        .size:           4
        .value_kind:     by_value
      - .actual_access:  read_only
        .address_space:  global
        .offset:         8
        .size:           8
        .value_kind:     global_buffer
      - .offset:         16
        .size:           8
        .value_kind:     by_value
      - .offset:         24
        .size:           4
        .value_kind:     by_value
      - .offset:         32
        .size:           8
        .value_kind:     by_value
      - .offset:         40
        .size:           4
        .value_kind:     by_value
      - .actual_access:  read_only
        .address_space:  global
        .offset:         48
        .size:           8
        .value_kind:     global_buffer
      - .actual_access:  write_only
        .address_space:  global
        .offset:         56
        .size:           8
        .value_kind:     global_buffer
      - .offset:         64
        .size:           4
        .value_kind:     hidden_block_count_x
      - .offset:         68
        .size:           4
        .value_kind:     hidden_block_count_y
      - .offset:         72
        .size:           4
        .value_kind:     hidden_block_count_z
      - .offset:         76
        .size:           2
        .value_kind:     hidden_group_size_x
      - .offset:         78
        .size:           2
        .value_kind:     hidden_group_size_y
      - .offset:         80
        .size:           2
        .value_kind:     hidden_group_size_z
      - .offset:         82
        .size:           2
        .value_kind:     hidden_remainder_x
      - .offset:         84
        .size:           2
        .value_kind:     hidden_remainder_y
      - .offset:         86
        .size:           2
        .value_kind:     hidden_remainder_z
      - .offset:         104
        .size:           8
        .value_kind:     hidden_global_offset_x
      - .offset:         112
        .size:           8
        .value_kind:     hidden_global_offset_y
      - .offset:         120
        .size:           8
        .value_kind:     hidden_global_offset_z
      - .offset:         128
        .size:           2
        .value_kind:     hidden_grid_dims
    .group_segment_fixed_size: 256
    .kernarg_segment_align: 8
    .kernarg_segment_size: 320
    .language:       OpenCL C
    .language_version:
      - 2
      - 0
    .max_flat_workgroup_size: 1024
    .name:           _ZL24rocblas_dot_kernel_magsqIiLb1ELi1024ELi32ELb1EfPKffEviT5_lT_liPT6_PT4_
    .private_segment_fixed_size: 0
    .sgpr_count:     24
    .sgpr_spill_count: 0
    .symbol:         _ZL24rocblas_dot_kernel_magsqIiLb1ELi1024ELi32ELb1EfPKffEviT5_lT_liPT6_PT4_.kd
    .uniform_work_group_size: 1
    .uses_dynamic_stack: false
    .vgpr_count:     10
    .vgpr_spill_count: 0
    .wavefront_size: 64
  - .args:
      - .offset:         0
        .size:           4
        .value_kind:     by_value
      - .actual_access:  read_only
        .address_space:  global
        .offset:         8
        .size:           8
        .value_kind:     global_buffer
      - .offset:         16
        .size:           8
        .value_kind:     by_value
      - .offset:         24
        .size:           4
        .value_kind:     by_value
      - .offset:         32
        .size:           8
        .value_kind:     by_value
      - .actual_access:  read_only
        .address_space:  global
        .offset:         40
        .size:           8
        .value_kind:     global_buffer
      - .offset:         48
        .size:           8
        .value_kind:     by_value
      - .offset:         56
        .size:           4
        .value_kind:     by_value
      - .offset:         64
        .size:           8
        .value_kind:     by_value
      - .actual_access:  read_only
        .address_space:  global
        .offset:         72
        .size:           8
        .value_kind:     global_buffer
      - .actual_access:  read_only
        .address_space:  global
        .offset:         80
        .size:           8
        .value_kind:     global_buffer
    .group_segment_fixed_size: 0
    .kernarg_segment_align: 8
    .kernarg_segment_size: 88
    .language:       OpenCL C
    .language_version:
      - 2
      - 0
    .max_flat_workgroup_size: 1024
    .name:           _ZL38rocblas_dot_kernel_gfx942_float_doubleIiLi1024EfPKffEviT2_lT_lS2_lS3_lPT3_PT1_
    .private_segment_fixed_size: 0
    .sgpr_count:     4
    .sgpr_spill_count: 0
    .symbol:         _ZL38rocblas_dot_kernel_gfx942_float_doubleIiLi1024EfPKffEviT2_lT_lS2_lS3_lPT3_PT1_.kd
    .uniform_work_group_size: 1
    .uses_dynamic_stack: false
    .vgpr_count:     0
    .vgpr_spill_count: 0
    .wavefront_size: 64
  - .args:
      - .offset:         0
        .size:           4
        .value_kind:     by_value
      - .actual_access:  read_only
        .address_space:  global
        .offset:         8
        .size:           8
        .value_kind:     global_buffer
      - .actual_access:  write_only
        .address_space:  global
        .offset:         16
        .size:           8
        .value_kind:     global_buffer
    .group_segment_fixed_size: 256
    .kernarg_segment_align: 8
    .kernarg_segment_size: 24
    .language:       OpenCL C
    .language_version:
      - 2
      - 0
    .max_flat_workgroup_size: 1024
    .name:           _ZL30rocblas_reduction_kernel_part2ILi1024ELi4E25rocblas_finalize_identityffEviPT2_PT3_
    .private_segment_fixed_size: 0
    .sgpr_count:     18
    .sgpr_spill_count: 0
    .symbol:         _ZL30rocblas_reduction_kernel_part2ILi1024ELi4E25rocblas_finalize_identityffEviPT2_PT3_.kd
    .uniform_work_group_size: 1
    .uses_dynamic_stack: false
    .vgpr_count:     10
    .vgpr_spill_count: 0
    .wavefront_size: 64
  - .args:
      - .offset:         0
        .size:           4
        .value_kind:     by_value
      - .actual_access:  read_only
        .address_space:  global
        .offset:         8
        .size:           8
        .value_kind:     global_buffer
      - .offset:         16
        .size:           8
        .value_kind:     by_value
      - .offset:         24
        .size:           8
        .value_kind:     by_value
      - .actual_access:  read_only
        .address_space:  global
        .offset:         32
        .size:           8
        .value_kind:     global_buffer
      - .offset:         40
        .size:           8
        .value_kind:     by_value
      - .offset:         48
        .size:           8
        .value_kind:     by_value
      - .offset:         56
        .size:           4
        .value_kind:     by_value
      - .actual_access:  write_only
        .address_space:  global
        .offset:         64
        .size:           8
        .value_kind:     global_buffer
      - .actual_access:  write_only
        .address_space:  global
        .offset:         72
        .size:           8
        .value_kind:     global_buffer
      - .offset:         80
        .size:           4
        .value_kind:     hidden_block_count_x
      - .offset:         84
        .size:           4
        .value_kind:     hidden_block_count_y
      - .offset:         88
        .size:           4
        .value_kind:     hidden_block_count_z
      - .offset:         92
        .size:           2
        .value_kind:     hidden_group_size_x
      - .offset:         94
        .size:           2
        .value_kind:     hidden_group_size_y
      - .offset:         96
        .size:           2
        .value_kind:     hidden_group_size_z
      - .offset:         98
        .size:           2
        .value_kind:     hidden_remainder_x
      - .offset:         100
        .size:           2
        .value_kind:     hidden_remainder_y
      - .offset:         102
        .size:           2
        .value_kind:     hidden_remainder_z
      - .offset:         120
        .size:           8
        .value_kind:     hidden_global_offset_x
      - .offset:         128
        .size:           8
        .value_kind:     hidden_global_offset_y
      - .offset:         136
        .size:           8
        .value_kind:     hidden_global_offset_z
      - .offset:         144
        .size:           2
        .value_kind:     hidden_grid_dims
    .group_segment_fixed_size: 256
    .kernarg_segment_align: 8
    .kernarg_segment_size: 336
    .language:       OpenCL C
    .language_version:
      - 2
      - 0
    .max_flat_workgroup_size: 512
    .name:           _ZL23rocblas_dot_kernel_inc1ILb0ELi512ELi4ELb1EfPKffEviT4_llS2_lliPT5_PT3_
    .private_segment_fixed_size: 0
    .sgpr_count:     32
    .sgpr_spill_count: 0
    .symbol:         _ZL23rocblas_dot_kernel_inc1ILb0ELi512ELi4ELb1EfPKffEviT4_llS2_lliPT5_PT3_.kd
    .uniform_work_group_size: 1
    .uses_dynamic_stack: false
    .vgpr_count:     14
    .vgpr_spill_count: 0
    .wavefront_size: 64
  - .args:
      - .offset:         0
        .size:           4
        .value_kind:     by_value
      - .actual_access:  read_only
        .address_space:  global
        .offset:         8
        .size:           8
        .value_kind:     global_buffer
      - .offset:         16
        .size:           8
        .value_kind:     by_value
      - .offset:         24
        .size:           4
        .value_kind:     by_value
      - .offset:         32
        .size:           8
        .value_kind:     by_value
      - .actual_access:  read_only
        .address_space:  global
        .offset:         40
        .size:           8
        .value_kind:     global_buffer
      - .offset:         48
        .size:           8
        .value_kind:     by_value
      - .offset:         56
        .size:           4
        .value_kind:     by_value
      - .offset:         64
        .size:           8
        .value_kind:     by_value
      - .offset:         72
        .size:           4
        .value_kind:     by_value
      - .actual_access:  write_only
        .address_space:  global
        .offset:         80
        .size:           8
        .value_kind:     global_buffer
      - .actual_access:  write_only
        .address_space:  global
        .offset:         88
        .size:           8
        .value_kind:     global_buffer
      - .offset:         96
        .size:           4
        .value_kind:     hidden_block_count_x
      - .offset:         100
        .size:           4
        .value_kind:     hidden_block_count_y
      - .offset:         104
        .size:           4
        .value_kind:     hidden_block_count_z
      - .offset:         108
        .size:           2
        .value_kind:     hidden_group_size_x
      - .offset:         110
        .size:           2
        .value_kind:     hidden_group_size_y
      - .offset:         112
        .size:           2
        .value_kind:     hidden_group_size_z
      - .offset:         114
        .size:           2
        .value_kind:     hidden_remainder_x
      - .offset:         116
        .size:           2
        .value_kind:     hidden_remainder_y
      - .offset:         118
        .size:           2
        .value_kind:     hidden_remainder_z
      - .offset:         136
        .size:           8
        .value_kind:     hidden_global_offset_x
      - .offset:         144
        .size:           8
        .value_kind:     hidden_global_offset_y
      - .offset:         152
        .size:           8
        .value_kind:     hidden_global_offset_z
      - .offset:         160
        .size:           2
        .value_kind:     hidden_grid_dims
    .group_segment_fixed_size: 256
    .kernarg_segment_align: 8
    .kernarg_segment_size: 352
    .language:       OpenCL C
    .language_version:
      - 2
      - 0
    .max_flat_workgroup_size: 512
    .name:           _ZL18rocblas_dot_kernelIiLb0ELi512ELi4ELb1EfPKffEviT5_lT_lS2_lS3_liPT6_PT4_
    .private_segment_fixed_size: 0
    .sgpr_count:     32
    .sgpr_spill_count: 0
    .symbol:         _ZL18rocblas_dot_kernelIiLb0ELi512ELi4ELb1EfPKffEviT5_lT_lS2_lS3_liPT6_PT4_.kd
    .uniform_work_group_size: 1
    .uses_dynamic_stack: false
    .vgpr_count:     11
    .vgpr_spill_count: 0
    .wavefront_size: 64
  - .args:
      - .offset:         0
        .size:           4
        .value_kind:     by_value
      - .actual_access:  read_only
        .address_space:  global
        .offset:         8
        .size:           8
        .value_kind:     global_buffer
      - .offset:         16
        .size:           8
        .value_kind:     by_value
      - .offset:         24
        .size:           4
        .value_kind:     by_value
      - .offset:         32
        .size:           8
        .value_kind:     by_value
      - .offset:         40
        .size:           4
        .value_kind:     by_value
      - .actual_access:  write_only
        .address_space:  global
        .offset:         48
        .size:           8
        .value_kind:     global_buffer
      - .actual_access:  write_only
        .address_space:  global
        .offset:         56
        .size:           8
        .value_kind:     global_buffer
      - .offset:         64
        .size:           4
        .value_kind:     hidden_block_count_x
      - .offset:         68
        .size:           4
        .value_kind:     hidden_block_count_y
      - .offset:         72
        .size:           4
        .value_kind:     hidden_block_count_z
      - .offset:         76
        .size:           2
        .value_kind:     hidden_group_size_x
      - .offset:         78
        .size:           2
        .value_kind:     hidden_group_size_y
      - .offset:         80
        .size:           2
        .value_kind:     hidden_group_size_z
      - .offset:         82
        .size:           2
        .value_kind:     hidden_remainder_x
      - .offset:         84
        .size:           2
        .value_kind:     hidden_remainder_y
      - .offset:         86
        .size:           2
        .value_kind:     hidden_remainder_z
      - .offset:         104
        .size:           8
        .value_kind:     hidden_global_offset_x
      - .offset:         112
        .size:           8
        .value_kind:     hidden_global_offset_y
      - .offset:         120
        .size:           8
        .value_kind:     hidden_global_offset_z
      - .offset:         128
        .size:           2
        .value_kind:     hidden_grid_dims
    .group_segment_fixed_size: 256
    .kernarg_segment_align: 8
    .kernarg_segment_size: 320
    .language:       OpenCL C
    .language_version:
      - 2
      - 0
    .max_flat_workgroup_size: 512
    .name:           _ZL24rocblas_dot_kernel_magsqIiLb0ELi512ELi4ELb1EfPKffEviT5_lT_liPT6_PT4_
    .private_segment_fixed_size: 0
    .sgpr_count:     28
    .sgpr_spill_count: 0
    .symbol:         _ZL24rocblas_dot_kernel_magsqIiLb0ELi512ELi4ELb1EfPKffEviT5_lT_liPT6_PT4_.kd
    .uniform_work_group_size: 1
    .uses_dynamic_stack: false
    .vgpr_count:     9
    .vgpr_spill_count: 0
    .wavefront_size: 64
  - .args:
      - .offset:         0
        .size:           4
        .value_kind:     by_value
      - .actual_access:  read_only
        .address_space:  global
        .offset:         8
        .size:           8
        .value_kind:     global_buffer
      - .actual_access:  write_only
        .address_space:  global
        .offset:         16
        .size:           8
        .value_kind:     global_buffer
    .group_segment_fixed_size: 256
    .kernarg_segment_align: 8
    .kernarg_segment_size: 24
    .language:       OpenCL C
    .language_version:
      - 2
      - 0
    .max_flat_workgroup_size: 512
    .name:           _ZL30rocblas_reduction_kernel_part2ILi512ELi4E25rocblas_finalize_identityffEviPT2_PT3_
    .private_segment_fixed_size: 0
    .sgpr_count:     18
    .sgpr_spill_count: 0
    .symbol:         _ZL30rocblas_reduction_kernel_part2ILi512ELi4E25rocblas_finalize_identityffEviPT2_PT3_.kd
    .uniform_work_group_size: 1
    .uses_dynamic_stack: false
    .vgpr_count:     9
    .vgpr_spill_count: 0
    .wavefront_size: 64
  - .args:
      - .offset:         0
        .size:           4
        .value_kind:     by_value
      - .actual_access:  read_only
        .address_space:  global
        .offset:         8
        .size:           8
        .value_kind:     global_buffer
      - .offset:         16
        .size:           8
        .value_kind:     by_value
      - .offset:         24
        .size:           4
        .value_kind:     by_value
      - .offset:         32
        .size:           8
        .value_kind:     by_value
      - .actual_access:  read_only
        .address_space:  global
        .offset:         40
        .size:           8
        .value_kind:     global_buffer
      - .offset:         48
        .size:           8
        .value_kind:     by_value
      - .offset:         56
        .size:           4
        .value_kind:     by_value
      - .offset:         64
        .size:           8
        .value_kind:     by_value
      - .offset:         72
        .size:           4
        .value_kind:     by_value
      - .actual_access:  write_only
        .address_space:  global
        .offset:         80
        .size:           8
        .value_kind:     global_buffer
    .group_segment_fixed_size: 0
    .kernarg_segment_align: 8
    .kernarg_segment_size: 88
    .language:       OpenCL C
    .language_version:
      - 2
      - 0
    .max_flat_workgroup_size: 128
    .name:           _ZL28rocblas_dot_batched_4_kernelIiLi32ELi4ELb1EffPKPKfEviT5_lT_lS4_lS5_liPT4_
    .private_segment_fixed_size: 0
    .sgpr_count:     22
    .sgpr_spill_count: 0
    .symbol:         _ZL28rocblas_dot_batched_4_kernelIiLi32ELi4ELb1EffPKPKfEviT5_lT_lS4_lS5_liPT4_.kd
    .uniform_work_group_size: 1
    .uses_dynamic_stack: false
    .vgpr_count:     16
    .vgpr_spill_count: 0
    .wavefront_size: 64
  - .args:
      - .offset:         0
        .size:           4
        .value_kind:     by_value
      - .actual_access:  read_only
        .address_space:  global
        .offset:         8
        .size:           8
        .value_kind:     global_buffer
      - .offset:         16
        .size:           8
        .value_kind:     by_value
      - .offset:         24
        .size:           4
        .value_kind:     by_value
      - .offset:         32
        .size:           8
        .value_kind:     by_value
      - .actual_access:  read_only
        .address_space:  global
        .offset:         40
        .size:           8
        .value_kind:     global_buffer
      - .offset:         48
        .size:           8
        .value_kind:     by_value
      - .offset:         56
        .size:           4
        .value_kind:     by_value
      - .offset:         64
        .size:           8
        .value_kind:     by_value
      - .offset:         72
        .size:           4
        .value_kind:     by_value
      - .actual_access:  write_only
        .address_space:  global
        .offset:         80
        .size:           8
        .value_kind:     global_buffer
    .group_segment_fixed_size: 0
    .kernarg_segment_align: 8
    .kernarg_segment_size: 88
    .language:       OpenCL C
    .language_version:
      - 2
      - 0
    .max_flat_workgroup_size: 256
    .name:           _ZL28rocblas_dot_batched_4_kernelIiLi64ELi4ELb1EffPKPKfEviT5_lT_lS4_lS5_liPT4_
    .private_segment_fixed_size: 0
    .sgpr_count:     24
    .sgpr_spill_count: 0
    .symbol:         _ZL28rocblas_dot_batched_4_kernelIiLi64ELi4ELb1EffPKPKfEviT5_lT_lS4_lS5_liPT4_.kd
    .uniform_work_group_size: 1
    .uses_dynamic_stack: false
    .vgpr_count:     14
    .vgpr_spill_count: 0
    .wavefront_size: 64
  - .args:
      - .offset:         0
        .size:           4
        .value_kind:     by_value
      - .actual_access:  read_only
        .address_space:  global
        .offset:         8
        .size:           8
        .value_kind:     global_buffer
      - .offset:         16
        .size:           8
        .value_kind:     by_value
      - .offset:         24
        .size:           8
        .value_kind:     by_value
      - .actual_access:  read_only
        .address_space:  global
        .offset:         32
        .size:           8
        .value_kind:     global_buffer
      - .offset:         40
        .size:           8
        .value_kind:     by_value
      - .offset:         48
        .size:           8
        .value_kind:     by_value
      - .offset:         56
        .size:           4
        .value_kind:     by_value
      - .actual_access:  read_only
        .address_space:  global
        .offset:         64
        .size:           8
        .value_kind:     global_buffer
      - .actual_access:  write_only
        .address_space:  global
        .offset:         72
        .size:           8
        .value_kind:     global_buffer
    .group_segment_fixed_size: 256
    .kernarg_segment_align: 8
    .kernarg_segment_size: 80
    .language:       OpenCL C
    .language_version:
      - 2
      - 0
    .max_flat_workgroup_size: 1024
    .name:           _ZL26rocblas_dot_kernel_inc1by2ILb1ELi1024ELi32ELb1EfPKPKffEviT4_llS4_lliPT5_PT3_
    .private_segment_fixed_size: 0
    .sgpr_count:     28
    .sgpr_spill_count: 0
    .symbol:         _ZL26rocblas_dot_kernel_inc1by2ILb1ELi1024ELi32ELb1EfPKPKffEviT4_llS4_lliPT5_PT3_.kd
    .uniform_work_group_size: 1
    .uses_dynamic_stack: false
    .vgpr_count:     11
    .vgpr_spill_count: 0
    .wavefront_size: 64
  - .args:
      - .offset:         0
        .size:           4
        .value_kind:     by_value
      - .actual_access:  read_only
        .address_space:  global
        .offset:         8
        .size:           8
        .value_kind:     global_buffer
      - .offset:         16
        .size:           8
        .value_kind:     by_value
      - .offset:         24
        .size:           4
        .value_kind:     by_value
      - .offset:         32
        .size:           8
        .value_kind:     by_value
      - .actual_access:  read_only
        .address_space:  global
        .offset:         40
        .size:           8
        .value_kind:     global_buffer
      - .offset:         48
        .size:           8
        .value_kind:     by_value
      - .offset:         56
        .size:           4
        .value_kind:     by_value
      - .offset:         64
        .size:           8
        .value_kind:     by_value
      - .offset:         72
        .size:           4
        .value_kind:     by_value
      - .actual_access:  read_only
        .address_space:  global
        .offset:         80
        .size:           8
        .value_kind:     global_buffer
      - .actual_access:  write_only
        .address_space:  global
        .offset:         88
        .size:           8
        .value_kind:     global_buffer
      - .offset:         96
        .size:           4
        .value_kind:     hidden_block_count_x
      - .offset:         100
        .size:           4
        .value_kind:     hidden_block_count_y
      - .offset:         104
        .size:           4
        .value_kind:     hidden_block_count_z
      - .offset:         108
        .size:           2
        .value_kind:     hidden_group_size_x
      - .offset:         110
        .size:           2
        .value_kind:     hidden_group_size_y
      - .offset:         112
        .size:           2
        .value_kind:     hidden_group_size_z
      - .offset:         114
        .size:           2
        .value_kind:     hidden_remainder_x
      - .offset:         116
        .size:           2
        .value_kind:     hidden_remainder_y
      - .offset:         118
        .size:           2
        .value_kind:     hidden_remainder_z
      - .offset:         136
        .size:           8
        .value_kind:     hidden_global_offset_x
      - .offset:         144
        .size:           8
        .value_kind:     hidden_global_offset_y
      - .offset:         152
        .size:           8
        .value_kind:     hidden_global_offset_z
      - .offset:         160
        .size:           2
        .value_kind:     hidden_grid_dims
    .group_segment_fixed_size: 256
    .kernarg_segment_align: 8
    .kernarg_segment_size: 352
    .language:       OpenCL C
    .language_version:
      - 2
      - 0
    .max_flat_workgroup_size: 1024
    .name:           _ZL18rocblas_dot_kernelIiLb1ELi1024ELi32ELb1EfPKPKffEviT5_lT_lS4_lS5_liPT6_PT4_
    .private_segment_fixed_size: 0
    .sgpr_count:     28
    .sgpr_spill_count: 0
    .symbol:         _ZL18rocblas_dot_kernelIiLb1ELi1024ELi32ELb1EfPKPKffEviT5_lT_lS4_lS5_liPT6_PT4_.kd
    .uniform_work_group_size: 1
    .uses_dynamic_stack: false
    .vgpr_count:     11
    .vgpr_spill_count: 0
    .wavefront_size: 64
  - .args:
      - .offset:         0
        .size:           4
        .value_kind:     by_value
      - .actual_access:  read_only
        .address_space:  global
        .offset:         8
        .size:           8
        .value_kind:     global_buffer
      - .offset:         16
        .size:           8
        .value_kind:     by_value
      - .offset:         24
        .size:           4
        .value_kind:     by_value
      - .offset:         32
        .size:           8
        .value_kind:     by_value
      - .offset:         40
        .size:           4
        .value_kind:     by_value
      - .actual_access:  read_only
        .address_space:  global
        .offset:         48
        .size:           8
        .value_kind:     global_buffer
      - .actual_access:  write_only
        .address_space:  global
        .offset:         56
        .size:           8
        .value_kind:     global_buffer
      - .offset:         64
        .size:           4
        .value_kind:     hidden_block_count_x
      - .offset:         68
        .size:           4
        .value_kind:     hidden_block_count_y
      - .offset:         72
        .size:           4
        .value_kind:     hidden_block_count_z
      - .offset:         76
        .size:           2
        .value_kind:     hidden_group_size_x
      - .offset:         78
        .size:           2
        .value_kind:     hidden_group_size_y
      - .offset:         80
        .size:           2
        .value_kind:     hidden_group_size_z
      - .offset:         82
        .size:           2
        .value_kind:     hidden_remainder_x
      - .offset:         84
        .size:           2
        .value_kind:     hidden_remainder_y
      - .offset:         86
        .size:           2
        .value_kind:     hidden_remainder_z
      - .offset:         104
        .size:           8
        .value_kind:     hidden_global_offset_x
      - .offset:         112
        .size:           8
        .value_kind:     hidden_global_offset_y
      - .offset:         120
        .size:           8
        .value_kind:     hidden_global_offset_z
      - .offset:         128
        .size:           2
        .value_kind:     hidden_grid_dims
    .group_segment_fixed_size: 256
    .kernarg_segment_align: 8
    .kernarg_segment_size: 320
    .language:       OpenCL C
    .language_version:
      - 2
      - 0
    .max_flat_workgroup_size: 1024
    .name:           _ZL24rocblas_dot_kernel_magsqIiLb1ELi1024ELi32ELb1EfPKPKffEviT5_lT_liPT6_PT4_
    .private_segment_fixed_size: 0
    .sgpr_count:     24
    .sgpr_spill_count: 0
    .symbol:         _ZL24rocblas_dot_kernel_magsqIiLb1ELi1024ELi32ELb1EfPKPKffEviT5_lT_liPT6_PT4_.kd
    .uniform_work_group_size: 1
    .uses_dynamic_stack: false
    .vgpr_count:     10
    .vgpr_spill_count: 0
    .wavefront_size: 64
  - .args:
      - .offset:         0
        .size:           4
        .value_kind:     by_value
      - .actual_access:  read_only
        .address_space:  global
        .offset:         8
        .size:           8
        .value_kind:     global_buffer
      - .offset:         16
        .size:           8
        .value_kind:     by_value
      - .offset:         24
        .size:           4
        .value_kind:     by_value
      - .offset:         32
        .size:           8
        .value_kind:     by_value
      - .actual_access:  read_only
        .address_space:  global
        .offset:         40
        .size:           8
        .value_kind:     global_buffer
      - .offset:         48
        .size:           8
        .value_kind:     by_value
      - .offset:         56
        .size:           4
        .value_kind:     by_value
      - .offset:         64
        .size:           8
        .value_kind:     by_value
      - .actual_access:  read_only
        .address_space:  global
        .offset:         72
        .size:           8
        .value_kind:     global_buffer
      - .actual_access:  read_only
        .address_space:  global
        .offset:         80
        .size:           8
        .value_kind:     global_buffer
    .group_segment_fixed_size: 0
    .kernarg_segment_align: 8
    .kernarg_segment_size: 88
    .language:       OpenCL C
    .language_version:
      - 2
      - 0
    .max_flat_workgroup_size: 1024
    .name:           _ZL38rocblas_dot_kernel_gfx942_float_doubleIiLi1024EfPKPKffEviT2_lT_lS4_lS5_lPT3_PT1_
    .private_segment_fixed_size: 0
    .sgpr_count:     4
    .sgpr_spill_count: 0
    .symbol:         _ZL38rocblas_dot_kernel_gfx942_float_doubleIiLi1024EfPKPKffEviT2_lT_lS4_lS5_lPT3_PT1_.kd
    .uniform_work_group_size: 1
    .uses_dynamic_stack: false
    .vgpr_count:     0
    .vgpr_spill_count: 0
    .wavefront_size: 64
  - .args:
      - .offset:         0
        .size:           4
        .value_kind:     by_value
      - .actual_access:  read_only
        .address_space:  global
        .offset:         8
        .size:           8
        .value_kind:     global_buffer
      - .offset:         16
        .size:           8
        .value_kind:     by_value
      - .offset:         24
        .size:           8
        .value_kind:     by_value
      - .actual_access:  read_only
        .address_space:  global
        .offset:         32
        .size:           8
        .value_kind:     global_buffer
      - .offset:         40
        .size:           8
        .value_kind:     by_value
      - .offset:         48
        .size:           8
        .value_kind:     by_value
      - .offset:         56
        .size:           4
        .value_kind:     by_value
      - .actual_access:  write_only
        .address_space:  global
        .offset:         64
        .size:           8
        .value_kind:     global_buffer
      - .actual_access:  write_only
        .address_space:  global
        .offset:         72
        .size:           8
        .value_kind:     global_buffer
      - .offset:         80
        .size:           4
        .value_kind:     hidden_block_count_x
      - .offset:         84
        .size:           4
        .value_kind:     hidden_block_count_y
      - .offset:         88
        .size:           4
        .value_kind:     hidden_block_count_z
      - .offset:         92
        .size:           2
        .value_kind:     hidden_group_size_x
      - .offset:         94
        .size:           2
        .value_kind:     hidden_group_size_y
      - .offset:         96
        .size:           2
        .value_kind:     hidden_group_size_z
      - .offset:         98
        .size:           2
        .value_kind:     hidden_remainder_x
      - .offset:         100
        .size:           2
        .value_kind:     hidden_remainder_y
      - .offset:         102
        .size:           2
        .value_kind:     hidden_remainder_z
      - .offset:         120
        .size:           8
        .value_kind:     hidden_global_offset_x
      - .offset:         128
        .size:           8
        .value_kind:     hidden_global_offset_y
      - .offset:         136
        .size:           8
        .value_kind:     hidden_global_offset_z
      - .offset:         144
        .size:           2
        .value_kind:     hidden_grid_dims
    .group_segment_fixed_size: 256
    .kernarg_segment_align: 8
    .kernarg_segment_size: 336
    .language:       OpenCL C
    .language_version:
      - 2
      - 0
    .max_flat_workgroup_size: 512
    .name:           _ZL23rocblas_dot_kernel_inc1ILb0ELi512ELi4ELb1EfPKPKffEviT4_llS4_lliPT5_PT3_
    .private_segment_fixed_size: 0
    .sgpr_count:     32
    .sgpr_spill_count: 0
    .symbol:         _ZL23rocblas_dot_kernel_inc1ILb0ELi512ELi4ELb1EfPKPKffEviT4_llS4_lliPT5_PT3_.kd
    .uniform_work_group_size: 1
    .uses_dynamic_stack: false
    .vgpr_count:     14
    .vgpr_spill_count: 0
    .wavefront_size: 64
  - .args:
      - .offset:         0
        .size:           4
        .value_kind:     by_value
      - .actual_access:  read_only
        .address_space:  global
        .offset:         8
        .size:           8
        .value_kind:     global_buffer
      - .offset:         16
        .size:           8
        .value_kind:     by_value
      - .offset:         24
        .size:           4
        .value_kind:     by_value
      - .offset:         32
        .size:           8
        .value_kind:     by_value
      - .actual_access:  read_only
        .address_space:  global
        .offset:         40
        .size:           8
        .value_kind:     global_buffer
      - .offset:         48
        .size:           8
        .value_kind:     by_value
      - .offset:         56
        .size:           4
        .value_kind:     by_value
      - .offset:         64
        .size:           8
        .value_kind:     by_value
      - .offset:         72
        .size:           4
        .value_kind:     by_value
      - .actual_access:  write_only
        .address_space:  global
        .offset:         80
        .size:           8
        .value_kind:     global_buffer
      - .actual_access:  write_only
        .address_space:  global
        .offset:         88
        .size:           8
        .value_kind:     global_buffer
      - .offset:         96
        .size:           4
        .value_kind:     hidden_block_count_x
      - .offset:         100
        .size:           4
        .value_kind:     hidden_block_count_y
      - .offset:         104
        .size:           4
        .value_kind:     hidden_block_count_z
      - .offset:         108
        .size:           2
        .value_kind:     hidden_group_size_x
      - .offset:         110
        .size:           2
        .value_kind:     hidden_group_size_y
      - .offset:         112
        .size:           2
        .value_kind:     hidden_group_size_z
      - .offset:         114
        .size:           2
        .value_kind:     hidden_remainder_x
      - .offset:         116
        .size:           2
        .value_kind:     hidden_remainder_y
      - .offset:         118
        .size:           2
        .value_kind:     hidden_remainder_z
      - .offset:         136
        .size:           8
        .value_kind:     hidden_global_offset_x
      - .offset:         144
        .size:           8
        .value_kind:     hidden_global_offset_y
      - .offset:         152
        .size:           8
        .value_kind:     hidden_global_offset_z
      - .offset:         160
        .size:           2
        .value_kind:     hidden_grid_dims
    .group_segment_fixed_size: 256
    .kernarg_segment_align: 8
    .kernarg_segment_size: 352
    .language:       OpenCL C
    .language_version:
      - 2
      - 0
    .max_flat_workgroup_size: 512
    .name:           _ZL18rocblas_dot_kernelIiLb0ELi512ELi4ELb1EfPKPKffEviT5_lT_lS4_lS5_liPT6_PT4_
    .private_segment_fixed_size: 0
    .sgpr_count:     32
    .sgpr_spill_count: 0
    .symbol:         _ZL18rocblas_dot_kernelIiLb0ELi512ELi4ELb1EfPKPKffEviT5_lT_lS4_lS5_liPT6_PT4_.kd
    .uniform_work_group_size: 1
    .uses_dynamic_stack: false
    .vgpr_count:     11
    .vgpr_spill_count: 0
    .wavefront_size: 64
  - .args:
      - .offset:         0
        .size:           4
        .value_kind:     by_value
      - .actual_access:  read_only
        .address_space:  global
        .offset:         8
        .size:           8
        .value_kind:     global_buffer
      - .offset:         16
        .size:           8
        .value_kind:     by_value
      - .offset:         24
        .size:           4
        .value_kind:     by_value
      - .offset:         32
        .size:           8
        .value_kind:     by_value
      - .offset:         40
        .size:           4
        .value_kind:     by_value
      - .actual_access:  write_only
        .address_space:  global
        .offset:         48
        .size:           8
        .value_kind:     global_buffer
      - .actual_access:  write_only
        .address_space:  global
        .offset:         56
        .size:           8
        .value_kind:     global_buffer
      - .offset:         64
        .size:           4
        .value_kind:     hidden_block_count_x
      - .offset:         68
        .size:           4
        .value_kind:     hidden_block_count_y
      - .offset:         72
        .size:           4
        .value_kind:     hidden_block_count_z
      - .offset:         76
        .size:           2
        .value_kind:     hidden_group_size_x
      - .offset:         78
        .size:           2
        .value_kind:     hidden_group_size_y
      - .offset:         80
        .size:           2
        .value_kind:     hidden_group_size_z
      - .offset:         82
        .size:           2
        .value_kind:     hidden_remainder_x
      - .offset:         84
        .size:           2
        .value_kind:     hidden_remainder_y
      - .offset:         86
        .size:           2
        .value_kind:     hidden_remainder_z
      - .offset:         104
        .size:           8
        .value_kind:     hidden_global_offset_x
      - .offset:         112
        .size:           8
        .value_kind:     hidden_global_offset_y
      - .offset:         120
        .size:           8
        .value_kind:     hidden_global_offset_z
      - .offset:         128
        .size:           2
        .value_kind:     hidden_grid_dims
    .group_segment_fixed_size: 256
    .kernarg_segment_align: 8
    .kernarg_segment_size: 320
    .language:       OpenCL C
    .language_version:
      - 2
      - 0
    .max_flat_workgroup_size: 512
    .name:           _ZL24rocblas_dot_kernel_magsqIiLb0ELi512ELi4ELb1EfPKPKffEviT5_lT_liPT6_PT4_
    .private_segment_fixed_size: 0
    .sgpr_count:     28
    .sgpr_spill_count: 0
    .symbol:         _ZL24rocblas_dot_kernel_magsqIiLb0ELi512ELi4ELb1EfPKPKffEviT5_lT_liPT6_PT4_.kd
    .uniform_work_group_size: 1
    .uses_dynamic_stack: false
    .vgpr_count:     9
    .vgpr_spill_count: 0
    .wavefront_size: 64
  - .args:
      - .offset:         0
        .size:           4
        .value_kind:     by_value
      - .actual_access:  read_only
        .address_space:  global
        .offset:         8
        .size:           8
        .value_kind:     global_buffer
      - .offset:         16
        .size:           8
        .value_kind:     by_value
      - .offset:         24
        .size:           4
        .value_kind:     by_value
      - .offset:         32
        .size:           8
        .value_kind:     by_value
      - .actual_access:  read_only
        .address_space:  global
        .offset:         40
        .size:           8
        .value_kind:     global_buffer
      - .offset:         48
        .size:           8
        .value_kind:     by_value
      - .offset:         56
        .size:           4
        .value_kind:     by_value
      - .offset:         64
        .size:           8
        .value_kind:     by_value
      - .offset:         72
        .size:           4
        .value_kind:     by_value
      - .actual_access:  write_only
        .address_space:  global
        .offset:         80
        .size:           8
        .value_kind:     global_buffer
    .group_segment_fixed_size: 0
    .kernarg_segment_align: 8
    .kernarg_segment_size: 88
    .language:       OpenCL C
    .language_version:
      - 2
      - 0
    .max_flat_workgroup_size: 128
    .name:           _ZL28rocblas_dot_batched_4_kernelIiLi32ELi4ELb1EdfPKdEviT5_lT_lS2_lS3_liPT4_
    .private_segment_fixed_size: 0
    .sgpr_count:     26
    .sgpr_spill_count: 0
    .symbol:         _ZL28rocblas_dot_batched_4_kernelIiLi32ELi4ELb1EdfPKdEviT5_lT_lS2_lS3_liPT4_.kd
    .uniform_work_group_size: 1
    .uses_dynamic_stack: false
    .vgpr_count:     16
    .vgpr_spill_count: 0
    .wavefront_size: 64
  - .args:
      - .offset:         0
        .size:           4
        .value_kind:     by_value
      - .actual_access:  read_only
        .address_space:  global
        .offset:         8
        .size:           8
        .value_kind:     global_buffer
      - .offset:         16
        .size:           8
        .value_kind:     by_value
      - .offset:         24
        .size:           4
        .value_kind:     by_value
      - .offset:         32
        .size:           8
        .value_kind:     by_value
      - .actual_access:  read_only
        .address_space:  global
        .offset:         40
        .size:           8
        .value_kind:     global_buffer
      - .offset:         48
        .size:           8
        .value_kind:     by_value
      - .offset:         56
        .size:           4
        .value_kind:     by_value
      - .offset:         64
        .size:           8
        .value_kind:     by_value
      - .offset:         72
        .size:           4
        .value_kind:     by_value
      - .actual_access:  write_only
        .address_space:  global
        .offset:         80
        .size:           8
        .value_kind:     global_buffer
    .group_segment_fixed_size: 0
    .kernarg_segment_align: 8
    .kernarg_segment_size: 88
    .language:       OpenCL C
    .language_version:
      - 2
      - 0
    .max_flat_workgroup_size: 256
    .name:           _ZL28rocblas_dot_batched_4_kernelIiLi64ELi4ELb1EdfPKdEviT5_lT_lS2_lS3_liPT4_
    .private_segment_fixed_size: 0
    .sgpr_count:     26
    .sgpr_spill_count: 0
    .symbol:         _ZL28rocblas_dot_batched_4_kernelIiLi64ELi4ELb1EdfPKdEviT5_lT_lS2_lS3_liPT4_.kd
    .uniform_work_group_size: 1
    .uses_dynamic_stack: false
    .vgpr_count:     16
    .vgpr_spill_count: 0
    .wavefront_size: 64
  - .args:
      - .offset:         0
        .size:           4
        .value_kind:     by_value
      - .actual_access:  read_only
        .address_space:  global
        .offset:         8
        .size:           8
        .value_kind:     global_buffer
      - .offset:         16
        .size:           8
        .value_kind:     by_value
      - .offset:         24
        .size:           8
        .value_kind:     by_value
      - .actual_access:  read_only
        .address_space:  global
        .offset:         32
        .size:           8
        .value_kind:     global_buffer
      - .offset:         40
        .size:           8
        .value_kind:     by_value
      - .offset:         48
        .size:           8
        .value_kind:     by_value
      - .offset:         56
        .size:           4
        .value_kind:     by_value
      - .actual_access:  read_only
        .address_space:  global
        .offset:         64
        .size:           8
        .value_kind:     global_buffer
      - .actual_access:  write_only
        .address_space:  global
        .offset:         72
        .size:           8
        .value_kind:     global_buffer
    .group_segment_fixed_size: 512
    .kernarg_segment_align: 8
    .kernarg_segment_size: 80
    .language:       OpenCL C
    .language_version:
      - 2
      - 0
    .max_flat_workgroup_size: 1024
    .name:           _ZL26rocblas_dot_kernel_inc1by2ILb1ELi1024ELi32ELb1EfPKddEviT4_llS2_lliPT5_PT3_
    .private_segment_fixed_size: 0
    .sgpr_count:     32
    .sgpr_spill_count: 0
    .symbol:         _ZL26rocblas_dot_kernel_inc1by2ILb1ELi1024ELi32ELb1EfPKddEviT4_llS2_lliPT5_PT3_.kd
    .uniform_work_group_size: 1
    .uses_dynamic_stack: false
    .vgpr_count:     16
    .vgpr_spill_count: 0
    .wavefront_size: 64
  - .args:
      - .offset:         0
        .size:           4
        .value_kind:     by_value
      - .actual_access:  read_only
        .address_space:  global
        .offset:         8
        .size:           8
        .value_kind:     global_buffer
      - .offset:         16
        .size:           8
        .value_kind:     by_value
      - .offset:         24
        .size:           4
        .value_kind:     by_value
      - .offset:         32
        .size:           8
        .value_kind:     by_value
      - .actual_access:  read_only
        .address_space:  global
        .offset:         40
        .size:           8
        .value_kind:     global_buffer
      - .offset:         48
        .size:           8
        .value_kind:     by_value
      - .offset:         56
        .size:           4
        .value_kind:     by_value
      - .offset:         64
        .size:           8
        .value_kind:     by_value
      - .offset:         72
        .size:           4
        .value_kind:     by_value
      - .actual_access:  read_only
        .address_space:  global
        .offset:         80
        .size:           8
        .value_kind:     global_buffer
      - .actual_access:  write_only
        .address_space:  global
        .offset:         88
        .size:           8
        .value_kind:     global_buffer
      - .offset:         96
        .size:           4
        .value_kind:     hidden_block_count_x
      - .offset:         100
        .size:           4
        .value_kind:     hidden_block_count_y
      - .offset:         104
        .size:           4
        .value_kind:     hidden_block_count_z
      - .offset:         108
        .size:           2
        .value_kind:     hidden_group_size_x
      - .offset:         110
        .size:           2
        .value_kind:     hidden_group_size_y
      - .offset:         112
        .size:           2
        .value_kind:     hidden_group_size_z
      - .offset:         114
        .size:           2
        .value_kind:     hidden_remainder_x
      - .offset:         116
        .size:           2
        .value_kind:     hidden_remainder_y
      - .offset:         118
        .size:           2
        .value_kind:     hidden_remainder_z
      - .offset:         136
        .size:           8
        .value_kind:     hidden_global_offset_x
      - .offset:         144
        .size:           8
        .value_kind:     hidden_global_offset_y
      - .offset:         152
        .size:           8
        .value_kind:     hidden_global_offset_z
      - .offset:         160
        .size:           2
        .value_kind:     hidden_grid_dims
    .group_segment_fixed_size: 512
    .kernarg_segment_align: 8
    .kernarg_segment_size: 352
    .language:       OpenCL C
    .language_version:
      - 2
      - 0
    .max_flat_workgroup_size: 1024
    .name:           _ZL18rocblas_dot_kernelIiLb1ELi1024ELi32ELb1EfPKddEviT5_lT_lS2_lS3_liPT6_PT4_
    .private_segment_fixed_size: 0
    .sgpr_count:     29
    .sgpr_spill_count: 0
    .symbol:         _ZL18rocblas_dot_kernelIiLb1ELi1024ELi32ELb1EfPKddEviT5_lT_lS2_lS3_liPT6_PT4_.kd
    .uniform_work_group_size: 1
    .uses_dynamic_stack: false
    .vgpr_count:     14
    .vgpr_spill_count: 0
    .wavefront_size: 64
  - .args:
      - .offset:         0
        .size:           4
        .value_kind:     by_value
      - .actual_access:  read_only
        .address_space:  global
        .offset:         8
        .size:           8
        .value_kind:     global_buffer
      - .offset:         16
        .size:           8
        .value_kind:     by_value
      - .offset:         24
        .size:           4
        .value_kind:     by_value
      - .offset:         32
        .size:           8
        .value_kind:     by_value
      - .offset:         40
        .size:           4
        .value_kind:     by_value
      - .actual_access:  read_only
        .address_space:  global
        .offset:         48
        .size:           8
        .value_kind:     global_buffer
      - .actual_access:  write_only
        .address_space:  global
        .offset:         56
        .size:           8
        .value_kind:     global_buffer
      - .offset:         64
        .size:           4
        .value_kind:     hidden_block_count_x
      - .offset:         68
        .size:           4
        .value_kind:     hidden_block_count_y
      - .offset:         72
        .size:           4
        .value_kind:     hidden_block_count_z
      - .offset:         76
        .size:           2
        .value_kind:     hidden_group_size_x
      - .offset:         78
        .size:           2
        .value_kind:     hidden_group_size_y
      - .offset:         80
        .size:           2
        .value_kind:     hidden_group_size_z
      - .offset:         82
        .size:           2
        .value_kind:     hidden_remainder_x
      - .offset:         84
        .size:           2
        .value_kind:     hidden_remainder_y
      - .offset:         86
        .size:           2
        .value_kind:     hidden_remainder_z
      - .offset:         104
        .size:           8
        .value_kind:     hidden_global_offset_x
      - .offset:         112
        .size:           8
        .value_kind:     hidden_global_offset_y
      - .offset:         120
        .size:           8
        .value_kind:     hidden_global_offset_z
      - .offset:         128
        .size:           2
        .value_kind:     hidden_grid_dims
    .group_segment_fixed_size: 512
    .kernarg_segment_align: 8
    .kernarg_segment_size: 320
    .language:       OpenCL C
    .language_version:
      - 2
      - 0
    .max_flat_workgroup_size: 1024
    .name:           _ZL24rocblas_dot_kernel_magsqIiLb1ELi1024ELi32ELb1EfPKddEviT5_lT_liPT6_PT4_
    .private_segment_fixed_size: 0
    .sgpr_count:     24
    .sgpr_spill_count: 0
    .symbol:         _ZL24rocblas_dot_kernel_magsqIiLb1ELi1024ELi32ELb1EfPKddEviT5_lT_liPT6_PT4_.kd
    .uniform_work_group_size: 1
    .uses_dynamic_stack: false
    .vgpr_count:     12
    .vgpr_spill_count: 0
    .wavefront_size: 64
  - .args:
      - .offset:         0
        .size:           4
        .value_kind:     by_value
      - .actual_access:  read_only
        .address_space:  global
        .offset:         8
        .size:           8
        .value_kind:     global_buffer
      - .offset:         16
        .size:           8
        .value_kind:     by_value
      - .offset:         24
        .size:           4
        .value_kind:     by_value
      - .offset:         32
        .size:           8
        .value_kind:     by_value
      - .actual_access:  read_only
        .address_space:  global
        .offset:         40
        .size:           8
        .value_kind:     global_buffer
      - .offset:         48
        .size:           8
        .value_kind:     by_value
      - .offset:         56
        .size:           4
        .value_kind:     by_value
      - .offset:         64
        .size:           8
        .value_kind:     by_value
      - .actual_access:  read_only
        .address_space:  global
        .offset:         72
        .size:           8
        .value_kind:     global_buffer
      - .actual_access:  read_only
        .address_space:  global
        .offset:         80
        .size:           8
        .value_kind:     global_buffer
    .group_segment_fixed_size: 0
    .kernarg_segment_align: 8
    .kernarg_segment_size: 88
    .language:       OpenCL C
    .language_version:
      - 2
      - 0
    .max_flat_workgroup_size: 1024
    .name:           _ZL38rocblas_dot_kernel_gfx942_float_doubleIiLi1024EfPKddEviT2_lT_lS2_lS3_lPT3_PT1_
    .private_segment_fixed_size: 0
    .sgpr_count:     4
    .sgpr_spill_count: 0
    .symbol:         _ZL38rocblas_dot_kernel_gfx942_float_doubleIiLi1024EfPKddEviT2_lT_lS2_lS3_lPT3_PT1_.kd
    .uniform_work_group_size: 1
    .uses_dynamic_stack: false
    .vgpr_count:     0
    .vgpr_spill_count: 0
    .wavefront_size: 64
  - .args:
      - .offset:         0
        .size:           4
        .value_kind:     by_value
      - .actual_access:  read_only
        .address_space:  global
        .offset:         8
        .size:           8
        .value_kind:     global_buffer
      - .actual_access:  write_only
        .address_space:  global
        .offset:         16
        .size:           8
        .value_kind:     global_buffer
    .group_segment_fixed_size: 512
    .kernarg_segment_align: 8
    .kernarg_segment_size: 24
    .language:       OpenCL C
    .language_version:
      - 2
      - 0
    .max_flat_workgroup_size: 1024
    .name:           _ZL30rocblas_reduction_kernel_part2ILi1024ELi4E25rocblas_finalize_identitydfEviPT2_PT3_
    .private_segment_fixed_size: 0
    .sgpr_count:     20
    .sgpr_spill_count: 0
    .symbol:         _ZL30rocblas_reduction_kernel_part2ILi1024ELi4E25rocblas_finalize_identitydfEviPT2_PT3_.kd
    .uniform_work_group_size: 1
    .uses_dynamic_stack: false
    .vgpr_count:     14
    .vgpr_spill_count: 0
    .wavefront_size: 64
  - .args:
      - .offset:         0
        .size:           4
        .value_kind:     by_value
      - .actual_access:  read_only
        .address_space:  global
        .offset:         8
        .size:           8
        .value_kind:     global_buffer
      - .offset:         16
        .size:           8
        .value_kind:     by_value
      - .offset:         24
        .size:           8
        .value_kind:     by_value
      - .actual_access:  read_only
        .address_space:  global
        .offset:         32
        .size:           8
        .value_kind:     global_buffer
      - .offset:         40
        .size:           8
        .value_kind:     by_value
      - .offset:         48
        .size:           8
        .value_kind:     by_value
      - .offset:         56
        .size:           4
        .value_kind:     by_value
      - .actual_access:  write_only
        .address_space:  global
        .offset:         64
        .size:           8
        .value_kind:     global_buffer
      - .actual_access:  write_only
        .address_space:  global
        .offset:         72
        .size:           8
        .value_kind:     global_buffer
      - .offset:         80
        .size:           4
        .value_kind:     hidden_block_count_x
      - .offset:         84
        .size:           4
        .value_kind:     hidden_block_count_y
      - .offset:         88
        .size:           4
        .value_kind:     hidden_block_count_z
      - .offset:         92
        .size:           2
        .value_kind:     hidden_group_size_x
      - .offset:         94
        .size:           2
        .value_kind:     hidden_group_size_y
      - .offset:         96
        .size:           2
        .value_kind:     hidden_group_size_z
      - .offset:         98
        .size:           2
        .value_kind:     hidden_remainder_x
      - .offset:         100
        .size:           2
        .value_kind:     hidden_remainder_y
      - .offset:         102
        .size:           2
        .value_kind:     hidden_remainder_z
      - .offset:         120
        .size:           8
        .value_kind:     hidden_global_offset_x
      - .offset:         128
        .size:           8
        .value_kind:     hidden_global_offset_y
      - .offset:         136
        .size:           8
        .value_kind:     hidden_global_offset_z
      - .offset:         144
        .size:           2
        .value_kind:     hidden_grid_dims
    .group_segment_fixed_size: 512
    .kernarg_segment_align: 8
    .kernarg_segment_size: 336
    .language:       OpenCL C
    .language_version:
      - 2
      - 0
    .max_flat_workgroup_size: 512
    .name:           _ZL23rocblas_dot_kernel_inc1ILb0ELi512ELi4ELb1EfPKddEviT4_llS2_lliPT5_PT3_
    .private_segment_fixed_size: 0
    .sgpr_count:     32
    .sgpr_spill_count: 0
    .symbol:         _ZL23rocblas_dot_kernel_inc1ILb0ELi512ELi4ELb1EfPKddEviT4_llS2_lliPT5_PT3_.kd
    .uniform_work_group_size: 1
    .uses_dynamic_stack: false
    .vgpr_count:     17
    .vgpr_spill_count: 0
    .wavefront_size: 64
  - .args:
      - .offset:         0
        .size:           4
        .value_kind:     by_value
      - .actual_access:  read_only
        .address_space:  global
        .offset:         8
        .size:           8
        .value_kind:     global_buffer
      - .offset:         16
        .size:           8
        .value_kind:     by_value
      - .offset:         24
        .size:           4
        .value_kind:     by_value
      - .offset:         32
        .size:           8
        .value_kind:     by_value
      - .actual_access:  read_only
        .address_space:  global
        .offset:         40
        .size:           8
        .value_kind:     global_buffer
      - .offset:         48
        .size:           8
        .value_kind:     by_value
      - .offset:         56
        .size:           4
        .value_kind:     by_value
      - .offset:         64
        .size:           8
        .value_kind:     by_value
      - .offset:         72
        .size:           4
        .value_kind:     by_value
      - .actual_access:  write_only
        .address_space:  global
        .offset:         80
        .size:           8
        .value_kind:     global_buffer
      - .actual_access:  write_only
        .address_space:  global
        .offset:         88
        .size:           8
        .value_kind:     global_buffer
      - .offset:         96
        .size:           4
        .value_kind:     hidden_block_count_x
      - .offset:         100
        .size:           4
        .value_kind:     hidden_block_count_y
      - .offset:         104
        .size:           4
        .value_kind:     hidden_block_count_z
      - .offset:         108
        .size:           2
        .value_kind:     hidden_group_size_x
      - .offset:         110
        .size:           2
        .value_kind:     hidden_group_size_y
      - .offset:         112
        .size:           2
        .value_kind:     hidden_group_size_z
      - .offset:         114
        .size:           2
        .value_kind:     hidden_remainder_x
      - .offset:         116
        .size:           2
        .value_kind:     hidden_remainder_y
      - .offset:         118
        .size:           2
        .value_kind:     hidden_remainder_z
      - .offset:         136
        .size:           8
        .value_kind:     hidden_global_offset_x
      - .offset:         144
        .size:           8
        .value_kind:     hidden_global_offset_y
      - .offset:         152
        .size:           8
        .value_kind:     hidden_global_offset_z
      - .offset:         160
        .size:           2
        .value_kind:     hidden_grid_dims
    .group_segment_fixed_size: 512
    .kernarg_segment_align: 8
    .kernarg_segment_size: 352
    .language:       OpenCL C
    .language_version:
      - 2
      - 0
    .max_flat_workgroup_size: 512
    .name:           _ZL18rocblas_dot_kernelIiLb0ELi512ELi4ELb1EfPKddEviT5_lT_lS2_lS3_liPT6_PT4_
    .private_segment_fixed_size: 0
    .sgpr_count:     32
    .sgpr_spill_count: 0
    .symbol:         _ZL18rocblas_dot_kernelIiLb0ELi512ELi4ELb1EfPKddEviT5_lT_lS2_lS3_liPT6_PT4_.kd
    .uniform_work_group_size: 1
    .uses_dynamic_stack: false
    .vgpr_count:     14
    .vgpr_spill_count: 0
    .wavefront_size: 64
  - .args:
      - .offset:         0
        .size:           4
        .value_kind:     by_value
      - .actual_access:  read_only
        .address_space:  global
        .offset:         8
        .size:           8
        .value_kind:     global_buffer
      - .offset:         16
        .size:           8
        .value_kind:     by_value
      - .offset:         24
        .size:           4
        .value_kind:     by_value
      - .offset:         32
        .size:           8
        .value_kind:     by_value
      - .offset:         40
        .size:           4
        .value_kind:     by_value
      - .actual_access:  write_only
        .address_space:  global
        .offset:         48
        .size:           8
        .value_kind:     global_buffer
      - .actual_access:  write_only
        .address_space:  global
        .offset:         56
        .size:           8
        .value_kind:     global_buffer
      - .offset:         64
        .size:           4
        .value_kind:     hidden_block_count_x
      - .offset:         68
        .size:           4
        .value_kind:     hidden_block_count_y
      - .offset:         72
        .size:           4
        .value_kind:     hidden_block_count_z
      - .offset:         76
        .size:           2
        .value_kind:     hidden_group_size_x
      - .offset:         78
        .size:           2
        .value_kind:     hidden_group_size_y
      - .offset:         80
        .size:           2
        .value_kind:     hidden_group_size_z
      - .offset:         82
        .size:           2
        .value_kind:     hidden_remainder_x
      - .offset:         84
        .size:           2
        .value_kind:     hidden_remainder_y
      - .offset:         86
        .size:           2
        .value_kind:     hidden_remainder_z
      - .offset:         104
        .size:           8
        .value_kind:     hidden_global_offset_x
      - .offset:         112
        .size:           8
        .value_kind:     hidden_global_offset_y
      - .offset:         120
        .size:           8
        .value_kind:     hidden_global_offset_z
      - .offset:         128
        .size:           2
        .value_kind:     hidden_grid_dims
    .group_segment_fixed_size: 512
    .kernarg_segment_align: 8
    .kernarg_segment_size: 320
    .language:       OpenCL C
    .language_version:
      - 2
      - 0
    .max_flat_workgroup_size: 512
    .name:           _ZL24rocblas_dot_kernel_magsqIiLb0ELi512ELi4ELb1EfPKddEviT5_lT_liPT6_PT4_
    .private_segment_fixed_size: 0
    .sgpr_count:     28
    .sgpr_spill_count: 0
    .symbol:         _ZL24rocblas_dot_kernel_magsqIiLb0ELi512ELi4ELb1EfPKddEviT5_lT_liPT6_PT4_.kd
    .uniform_work_group_size: 1
    .uses_dynamic_stack: false
    .vgpr_count:     11
    .vgpr_spill_count: 0
    .wavefront_size: 64
  - .args:
      - .offset:         0
        .size:           4
        .value_kind:     by_value
      - .actual_access:  read_only
        .address_space:  global
        .offset:         8
        .size:           8
        .value_kind:     global_buffer
      - .actual_access:  write_only
        .address_space:  global
        .offset:         16
        .size:           8
        .value_kind:     global_buffer
    .group_segment_fixed_size: 512
    .kernarg_segment_align: 8
    .kernarg_segment_size: 24
    .language:       OpenCL C
    .language_version:
      - 2
      - 0
    .max_flat_workgroup_size: 512
    .name:           _ZL30rocblas_reduction_kernel_part2ILi512ELi4E25rocblas_finalize_identitydfEviPT2_PT3_
    .private_segment_fixed_size: 0
    .sgpr_count:     20
    .sgpr_spill_count: 0
    .symbol:         _ZL30rocblas_reduction_kernel_part2ILi512ELi4E25rocblas_finalize_identitydfEviPT2_PT3_.kd
    .uniform_work_group_size: 1
    .uses_dynamic_stack: false
    .vgpr_count:     14
    .vgpr_spill_count: 0
    .wavefront_size: 64
  - .args:
      - .offset:         0
        .size:           4
        .value_kind:     by_value
      - .actual_access:  read_only
        .address_space:  global
        .offset:         8
        .size:           8
        .value_kind:     global_buffer
      - .offset:         16
        .size:           8
        .value_kind:     by_value
      - .offset:         24
        .size:           4
        .value_kind:     by_value
      - .offset:         32
        .size:           8
        .value_kind:     by_value
      - .actual_access:  read_only
        .address_space:  global
        .offset:         40
        .size:           8
        .value_kind:     global_buffer
      - .offset:         48
        .size:           8
        .value_kind:     by_value
      - .offset:         56
        .size:           4
        .value_kind:     by_value
      - .offset:         64
        .size:           8
        .value_kind:     by_value
      - .offset:         72
        .size:           4
        .value_kind:     by_value
      - .actual_access:  write_only
        .address_space:  global
        .offset:         80
        .size:           8
        .value_kind:     global_buffer
    .group_segment_fixed_size: 0
    .kernarg_segment_align: 8
    .kernarg_segment_size: 88
    .language:       OpenCL C
    .language_version:
      - 2
      - 0
    .max_flat_workgroup_size: 128
    .name:           _ZL28rocblas_dot_batched_4_kernelIiLi32ELi4ELb1EdfPKPKdEviT5_lT_lS4_lS5_liPT4_
    .private_segment_fixed_size: 0
    .sgpr_count:     24
    .sgpr_spill_count: 0
    .symbol:         _ZL28rocblas_dot_batched_4_kernelIiLi32ELi4ELb1EdfPKPKdEviT5_lT_lS4_lS5_liPT4_.kd
    .uniform_work_group_size: 1
    .uses_dynamic_stack: false
    .vgpr_count:     16
    .vgpr_spill_count: 0
    .wavefront_size: 64
  - .args:
      - .offset:         0
        .size:           4
        .value_kind:     by_value
      - .actual_access:  read_only
        .address_space:  global
        .offset:         8
        .size:           8
        .value_kind:     global_buffer
      - .offset:         16
        .size:           8
        .value_kind:     by_value
      - .offset:         24
        .size:           4
        .value_kind:     by_value
      - .offset:         32
        .size:           8
        .value_kind:     by_value
      - .actual_access:  read_only
        .address_space:  global
        .offset:         40
        .size:           8
        .value_kind:     global_buffer
      - .offset:         48
        .size:           8
        .value_kind:     by_value
      - .offset:         56
        .size:           4
        .value_kind:     by_value
      - .offset:         64
        .size:           8
        .value_kind:     by_value
      - .offset:         72
        .size:           4
        .value_kind:     by_value
      - .actual_access:  write_only
        .address_space:  global
        .offset:         80
        .size:           8
        .value_kind:     global_buffer
    .group_segment_fixed_size: 0
    .kernarg_segment_align: 8
    .kernarg_segment_size: 88
    .language:       OpenCL C
    .language_version:
      - 2
      - 0
    .max_flat_workgroup_size: 256
    .name:           _ZL28rocblas_dot_batched_4_kernelIiLi64ELi4ELb1EdfPKPKdEviT5_lT_lS4_lS5_liPT4_
    .private_segment_fixed_size: 0
    .sgpr_count:     24
    .sgpr_spill_count: 0
    .symbol:         _ZL28rocblas_dot_batched_4_kernelIiLi64ELi4ELb1EdfPKPKdEviT5_lT_lS4_lS5_liPT4_.kd
    .uniform_work_group_size: 1
    .uses_dynamic_stack: false
    .vgpr_count:     16
    .vgpr_spill_count: 0
    .wavefront_size: 64
  - .args:
      - .offset:         0
        .size:           4
        .value_kind:     by_value
      - .actual_access:  read_only
        .address_space:  global
        .offset:         8
        .size:           8
        .value_kind:     global_buffer
      - .offset:         16
        .size:           8
        .value_kind:     by_value
      - .offset:         24
        .size:           8
        .value_kind:     by_value
      - .actual_access:  read_only
        .address_space:  global
        .offset:         32
        .size:           8
        .value_kind:     global_buffer
      - .offset:         40
        .size:           8
        .value_kind:     by_value
      - .offset:         48
        .size:           8
        .value_kind:     by_value
      - .offset:         56
        .size:           4
        .value_kind:     by_value
      - .actual_access:  read_only
        .address_space:  global
        .offset:         64
        .size:           8
        .value_kind:     global_buffer
      - .actual_access:  write_only
        .address_space:  global
        .offset:         72
        .size:           8
        .value_kind:     global_buffer
    .group_segment_fixed_size: 512
    .kernarg_segment_align: 8
    .kernarg_segment_size: 80
    .language:       OpenCL C
    .language_version:
      - 2
      - 0
    .max_flat_workgroup_size: 1024
    .name:           _ZL26rocblas_dot_kernel_inc1by2ILb1ELi1024ELi32ELb1EfPKPKddEviT4_llS4_lliPT5_PT3_
    .private_segment_fixed_size: 0
    .sgpr_count:     28
    .sgpr_spill_count: 0
    .symbol:         _ZL26rocblas_dot_kernel_inc1by2ILb1ELi1024ELi32ELb1EfPKPKddEviT4_llS4_lliPT5_PT3_.kd
    .uniform_work_group_size: 1
    .uses_dynamic_stack: false
    .vgpr_count:     16
    .vgpr_spill_count: 0
    .wavefront_size: 64
  - .args:
      - .offset:         0
        .size:           4
        .value_kind:     by_value
      - .actual_access:  read_only
        .address_space:  global
        .offset:         8
        .size:           8
        .value_kind:     global_buffer
      - .offset:         16
        .size:           8
        .value_kind:     by_value
      - .offset:         24
        .size:           4
        .value_kind:     by_value
      - .offset:         32
        .size:           8
        .value_kind:     by_value
      - .actual_access:  read_only
        .address_space:  global
        .offset:         40
        .size:           8
        .value_kind:     global_buffer
      - .offset:         48
        .size:           8
        .value_kind:     by_value
      - .offset:         56
        .size:           4
        .value_kind:     by_value
      - .offset:         64
        .size:           8
        .value_kind:     by_value
      - .offset:         72
        .size:           4
        .value_kind:     by_value
      - .actual_access:  read_only
        .address_space:  global
        .offset:         80
        .size:           8
        .value_kind:     global_buffer
      - .actual_access:  write_only
        .address_space:  global
        .offset:         88
        .size:           8
        .value_kind:     global_buffer
      - .offset:         96
        .size:           4
        .value_kind:     hidden_block_count_x
      - .offset:         100
        .size:           4
        .value_kind:     hidden_block_count_y
      - .offset:         104
        .size:           4
        .value_kind:     hidden_block_count_z
      - .offset:         108
        .size:           2
        .value_kind:     hidden_group_size_x
      - .offset:         110
        .size:           2
        .value_kind:     hidden_group_size_y
      - .offset:         112
        .size:           2
        .value_kind:     hidden_group_size_z
      - .offset:         114
        .size:           2
        .value_kind:     hidden_remainder_x
      - .offset:         116
        .size:           2
        .value_kind:     hidden_remainder_y
      - .offset:         118
        .size:           2
        .value_kind:     hidden_remainder_z
      - .offset:         136
        .size:           8
        .value_kind:     hidden_global_offset_x
      - .offset:         144
        .size:           8
        .value_kind:     hidden_global_offset_y
      - .offset:         152
        .size:           8
        .value_kind:     hidden_global_offset_z
      - .offset:         160
        .size:           2
        .value_kind:     hidden_grid_dims
    .group_segment_fixed_size: 512
    .kernarg_segment_align: 8
    .kernarg_segment_size: 352
    .language:       OpenCL C
    .language_version:
      - 2
      - 0
    .max_flat_workgroup_size: 1024
    .name:           _ZL18rocblas_dot_kernelIiLb1ELi1024ELi32ELb1EfPKPKddEviT5_lT_lS4_lS5_liPT6_PT4_
    .private_segment_fixed_size: 0
    .sgpr_count:     28
    .sgpr_spill_count: 0
    .symbol:         _ZL18rocblas_dot_kernelIiLb1ELi1024ELi32ELb1EfPKPKddEviT5_lT_lS4_lS5_liPT6_PT4_.kd
    .uniform_work_group_size: 1
    .uses_dynamic_stack: false
    .vgpr_count:     14
    .vgpr_spill_count: 0
    .wavefront_size: 64
  - .args:
      - .offset:         0
        .size:           4
        .value_kind:     by_value
      - .actual_access:  read_only
        .address_space:  global
        .offset:         8
        .size:           8
        .value_kind:     global_buffer
      - .offset:         16
        .size:           8
        .value_kind:     by_value
      - .offset:         24
        .size:           4
        .value_kind:     by_value
      - .offset:         32
        .size:           8
        .value_kind:     by_value
      - .offset:         40
        .size:           4
        .value_kind:     by_value
      - .actual_access:  read_only
        .address_space:  global
        .offset:         48
        .size:           8
        .value_kind:     global_buffer
      - .actual_access:  write_only
        .address_space:  global
        .offset:         56
        .size:           8
        .value_kind:     global_buffer
      - .offset:         64
        .size:           4
        .value_kind:     hidden_block_count_x
      - .offset:         68
        .size:           4
        .value_kind:     hidden_block_count_y
      - .offset:         72
        .size:           4
        .value_kind:     hidden_block_count_z
      - .offset:         76
        .size:           2
        .value_kind:     hidden_group_size_x
      - .offset:         78
        .size:           2
        .value_kind:     hidden_group_size_y
      - .offset:         80
        .size:           2
        .value_kind:     hidden_group_size_z
      - .offset:         82
        .size:           2
        .value_kind:     hidden_remainder_x
      - .offset:         84
        .size:           2
        .value_kind:     hidden_remainder_y
      - .offset:         86
        .size:           2
        .value_kind:     hidden_remainder_z
      - .offset:         104
        .size:           8
        .value_kind:     hidden_global_offset_x
      - .offset:         112
        .size:           8
        .value_kind:     hidden_global_offset_y
      - .offset:         120
        .size:           8
        .value_kind:     hidden_global_offset_z
      - .offset:         128
        .size:           2
        .value_kind:     hidden_grid_dims
    .group_segment_fixed_size: 512
    .kernarg_segment_align: 8
    .kernarg_segment_size: 320
    .language:       OpenCL C
    .language_version:
      - 2
      - 0
    .max_flat_workgroup_size: 1024
    .name:           _ZL24rocblas_dot_kernel_magsqIiLb1ELi1024ELi32ELb1EfPKPKddEviT5_lT_liPT6_PT4_
    .private_segment_fixed_size: 0
    .sgpr_count:     24
    .sgpr_spill_count: 0
    .symbol:         _ZL24rocblas_dot_kernel_magsqIiLb1ELi1024ELi32ELb1EfPKPKddEviT5_lT_liPT6_PT4_.kd
    .uniform_work_group_size: 1
    .uses_dynamic_stack: false
    .vgpr_count:     12
    .vgpr_spill_count: 0
    .wavefront_size: 64
  - .args:
      - .offset:         0
        .size:           4
        .value_kind:     by_value
      - .actual_access:  read_only
        .address_space:  global
        .offset:         8
        .size:           8
        .value_kind:     global_buffer
      - .offset:         16
        .size:           8
        .value_kind:     by_value
      - .offset:         24
        .size:           4
        .value_kind:     by_value
      - .offset:         32
        .size:           8
        .value_kind:     by_value
      - .actual_access:  read_only
        .address_space:  global
        .offset:         40
        .size:           8
        .value_kind:     global_buffer
      - .offset:         48
        .size:           8
        .value_kind:     by_value
      - .offset:         56
        .size:           4
        .value_kind:     by_value
      - .offset:         64
        .size:           8
        .value_kind:     by_value
      - .actual_access:  read_only
        .address_space:  global
        .offset:         72
        .size:           8
        .value_kind:     global_buffer
      - .actual_access:  read_only
        .address_space:  global
        .offset:         80
        .size:           8
        .value_kind:     global_buffer
    .group_segment_fixed_size: 0
    .kernarg_segment_align: 8
    .kernarg_segment_size: 88
    .language:       OpenCL C
    .language_version:
      - 2
      - 0
    .max_flat_workgroup_size: 1024
    .name:           _ZL38rocblas_dot_kernel_gfx942_float_doubleIiLi1024EfPKPKddEviT2_lT_lS4_lS5_lPT3_PT1_
    .private_segment_fixed_size: 0
    .sgpr_count:     4
    .sgpr_spill_count: 0
    .symbol:         _ZL38rocblas_dot_kernel_gfx942_float_doubleIiLi1024EfPKPKddEviT2_lT_lS4_lS5_lPT3_PT1_.kd
    .uniform_work_group_size: 1
    .uses_dynamic_stack: false
    .vgpr_count:     0
    .vgpr_spill_count: 0
    .wavefront_size: 64
  - .args:
      - .offset:         0
        .size:           4
        .value_kind:     by_value
      - .actual_access:  read_only
        .address_space:  global
        .offset:         8
        .size:           8
        .value_kind:     global_buffer
      - .offset:         16
        .size:           8
        .value_kind:     by_value
      - .offset:         24
        .size:           8
        .value_kind:     by_value
      - .actual_access:  read_only
        .address_space:  global
        .offset:         32
        .size:           8
        .value_kind:     global_buffer
      - .offset:         40
        .size:           8
        .value_kind:     by_value
      - .offset:         48
        .size:           8
        .value_kind:     by_value
      - .offset:         56
        .size:           4
        .value_kind:     by_value
      - .actual_access:  write_only
        .address_space:  global
        .offset:         64
        .size:           8
        .value_kind:     global_buffer
      - .actual_access:  write_only
        .address_space:  global
        .offset:         72
        .size:           8
        .value_kind:     global_buffer
      - .offset:         80
        .size:           4
        .value_kind:     hidden_block_count_x
      - .offset:         84
        .size:           4
        .value_kind:     hidden_block_count_y
      - .offset:         88
        .size:           4
        .value_kind:     hidden_block_count_z
      - .offset:         92
        .size:           2
        .value_kind:     hidden_group_size_x
      - .offset:         94
        .size:           2
        .value_kind:     hidden_group_size_y
      - .offset:         96
        .size:           2
        .value_kind:     hidden_group_size_z
      - .offset:         98
        .size:           2
        .value_kind:     hidden_remainder_x
      - .offset:         100
        .size:           2
        .value_kind:     hidden_remainder_y
      - .offset:         102
        .size:           2
        .value_kind:     hidden_remainder_z
      - .offset:         120
        .size:           8
        .value_kind:     hidden_global_offset_x
      - .offset:         128
        .size:           8
        .value_kind:     hidden_global_offset_y
      - .offset:         136
        .size:           8
        .value_kind:     hidden_global_offset_z
      - .offset:         144
        .size:           2
        .value_kind:     hidden_grid_dims
    .group_segment_fixed_size: 512
    .kernarg_segment_align: 8
    .kernarg_segment_size: 336
    .language:       OpenCL C
    .language_version:
      - 2
      - 0
    .max_flat_workgroup_size: 512
    .name:           _ZL23rocblas_dot_kernel_inc1ILb0ELi512ELi4ELb1EfPKPKddEviT4_llS4_lliPT5_PT3_
    .private_segment_fixed_size: 0
    .sgpr_count:     32
    .sgpr_spill_count: 0
    .symbol:         _ZL23rocblas_dot_kernel_inc1ILb0ELi512ELi4ELb1EfPKPKddEviT4_llS4_lliPT5_PT3_.kd
    .uniform_work_group_size: 1
    .uses_dynamic_stack: false
    .vgpr_count:     17
    .vgpr_spill_count: 0
    .wavefront_size: 64
  - .args:
      - .offset:         0
        .size:           4
        .value_kind:     by_value
      - .actual_access:  read_only
        .address_space:  global
        .offset:         8
        .size:           8
        .value_kind:     global_buffer
      - .offset:         16
        .size:           8
        .value_kind:     by_value
      - .offset:         24
        .size:           4
        .value_kind:     by_value
      - .offset:         32
        .size:           8
        .value_kind:     by_value
      - .actual_access:  read_only
        .address_space:  global
        .offset:         40
        .size:           8
        .value_kind:     global_buffer
      - .offset:         48
        .size:           8
        .value_kind:     by_value
      - .offset:         56
        .size:           4
        .value_kind:     by_value
      - .offset:         64
        .size:           8
        .value_kind:     by_value
      - .offset:         72
        .size:           4
        .value_kind:     by_value
      - .actual_access:  write_only
        .address_space:  global
        .offset:         80
        .size:           8
        .value_kind:     global_buffer
      - .actual_access:  write_only
        .address_space:  global
        .offset:         88
        .size:           8
        .value_kind:     global_buffer
      - .offset:         96
        .size:           4
        .value_kind:     hidden_block_count_x
      - .offset:         100
        .size:           4
        .value_kind:     hidden_block_count_y
      - .offset:         104
        .size:           4
        .value_kind:     hidden_block_count_z
      - .offset:         108
        .size:           2
        .value_kind:     hidden_group_size_x
      - .offset:         110
        .size:           2
        .value_kind:     hidden_group_size_y
      - .offset:         112
        .size:           2
        .value_kind:     hidden_group_size_z
      - .offset:         114
        .size:           2
        .value_kind:     hidden_remainder_x
      - .offset:         116
        .size:           2
        .value_kind:     hidden_remainder_y
      - .offset:         118
        .size:           2
        .value_kind:     hidden_remainder_z
      - .offset:         136
        .size:           8
        .value_kind:     hidden_global_offset_x
      - .offset:         144
        .size:           8
        .value_kind:     hidden_global_offset_y
      - .offset:         152
        .size:           8
        .value_kind:     hidden_global_offset_z
      - .offset:         160
        .size:           2
        .value_kind:     hidden_grid_dims
    .group_segment_fixed_size: 512
    .kernarg_segment_align: 8
    .kernarg_segment_size: 352
    .language:       OpenCL C
    .language_version:
      - 2
      - 0
    .max_flat_workgroup_size: 512
    .name:           _ZL18rocblas_dot_kernelIiLb0ELi512ELi4ELb1EfPKPKddEviT5_lT_lS4_lS5_liPT6_PT4_
    .private_segment_fixed_size: 0
    .sgpr_count:     32
    .sgpr_spill_count: 0
    .symbol:         _ZL18rocblas_dot_kernelIiLb0ELi512ELi4ELb1EfPKPKddEviT5_lT_lS4_lS5_liPT6_PT4_.kd
    .uniform_work_group_size: 1
    .uses_dynamic_stack: false
    .vgpr_count:     14
    .vgpr_spill_count: 0
    .wavefront_size: 64
  - .args:
      - .offset:         0
        .size:           4
        .value_kind:     by_value
      - .actual_access:  read_only
        .address_space:  global
        .offset:         8
        .size:           8
        .value_kind:     global_buffer
      - .offset:         16
        .size:           8
        .value_kind:     by_value
      - .offset:         24
        .size:           4
        .value_kind:     by_value
      - .offset:         32
        .size:           8
        .value_kind:     by_value
      - .offset:         40
        .size:           4
        .value_kind:     by_value
      - .actual_access:  write_only
        .address_space:  global
        .offset:         48
        .size:           8
        .value_kind:     global_buffer
      - .actual_access:  write_only
        .address_space:  global
        .offset:         56
        .size:           8
        .value_kind:     global_buffer
      - .offset:         64
        .size:           4
        .value_kind:     hidden_block_count_x
      - .offset:         68
        .size:           4
        .value_kind:     hidden_block_count_y
      - .offset:         72
        .size:           4
        .value_kind:     hidden_block_count_z
      - .offset:         76
        .size:           2
        .value_kind:     hidden_group_size_x
      - .offset:         78
        .size:           2
        .value_kind:     hidden_group_size_y
      - .offset:         80
        .size:           2
        .value_kind:     hidden_group_size_z
      - .offset:         82
        .size:           2
        .value_kind:     hidden_remainder_x
      - .offset:         84
        .size:           2
        .value_kind:     hidden_remainder_y
      - .offset:         86
        .size:           2
        .value_kind:     hidden_remainder_z
      - .offset:         104
        .size:           8
        .value_kind:     hidden_global_offset_x
      - .offset:         112
        .size:           8
        .value_kind:     hidden_global_offset_y
      - .offset:         120
        .size:           8
        .value_kind:     hidden_global_offset_z
      - .offset:         128
        .size:           2
        .value_kind:     hidden_grid_dims
    .group_segment_fixed_size: 512
    .kernarg_segment_align: 8
    .kernarg_segment_size: 320
    .language:       OpenCL C
    .language_version:
      - 2
      - 0
    .max_flat_workgroup_size: 512
    .name:           _ZL24rocblas_dot_kernel_magsqIiLb0ELi512ELi4ELb1EfPKPKddEviT5_lT_liPT6_PT4_
    .private_segment_fixed_size: 0
    .sgpr_count:     28
    .sgpr_spill_count: 0
    .symbol:         _ZL24rocblas_dot_kernel_magsqIiLb0ELi512ELi4ELb1EfPKPKddEviT5_lT_liPT6_PT4_.kd
    .uniform_work_group_size: 1
    .uses_dynamic_stack: false
    .vgpr_count:     11
    .vgpr_spill_count: 0
    .wavefront_size: 64
  - .args:
      - .offset:         0
        .size:           4
        .value_kind:     by_value
      - .actual_access:  read_only
        .address_space:  global
        .offset:         8
        .size:           8
        .value_kind:     global_buffer
      - .offset:         16
        .size:           8
        .value_kind:     by_value
      - .offset:         24
        .size:           4
        .value_kind:     by_value
      - .offset:         32
        .size:           8
        .value_kind:     by_value
      - .actual_access:  read_only
        .address_space:  global
        .offset:         40
        .size:           8
        .value_kind:     global_buffer
      - .offset:         48
        .size:           8
        .value_kind:     by_value
      - .offset:         56
        .size:           4
        .value_kind:     by_value
      - .offset:         64
        .size:           8
        .value_kind:     by_value
      - .offset:         72
        .size:           4
        .value_kind:     by_value
      - .actual_access:  write_only
        .address_space:  global
        .offset:         80
        .size:           8
        .value_kind:     global_buffer
    .group_segment_fixed_size: 0
    .kernarg_segment_align: 8
    .kernarg_segment_size: 88
    .language:       OpenCL C
    .language_version:
      - 2
      - 0
    .max_flat_workgroup_size: 128
    .name:           _ZL28rocblas_dot_batched_4_kernelIiLi32ELi4ELb1EddPKdEviT5_lT_lS2_lS3_liPT4_
    .private_segment_fixed_size: 0
    .sgpr_count:     26
    .sgpr_spill_count: 0
    .symbol:         _ZL28rocblas_dot_batched_4_kernelIiLi32ELi4ELb1EddPKdEviT5_lT_lS2_lS3_liPT4_.kd
    .uniform_work_group_size: 1
    .uses_dynamic_stack: false
    .vgpr_count:     16
    .vgpr_spill_count: 0
    .wavefront_size: 64
  - .args:
      - .offset:         0
        .size:           4
        .value_kind:     by_value
      - .actual_access:  read_only
        .address_space:  global
        .offset:         8
        .size:           8
        .value_kind:     global_buffer
      - .offset:         16
        .size:           8
        .value_kind:     by_value
      - .offset:         24
        .size:           4
        .value_kind:     by_value
      - .offset:         32
        .size:           8
        .value_kind:     by_value
      - .actual_access:  read_only
        .address_space:  global
        .offset:         40
        .size:           8
        .value_kind:     global_buffer
      - .offset:         48
        .size:           8
        .value_kind:     by_value
      - .offset:         56
        .size:           4
        .value_kind:     by_value
      - .offset:         64
        .size:           8
        .value_kind:     by_value
      - .offset:         72
        .size:           4
        .value_kind:     by_value
      - .actual_access:  write_only
        .address_space:  global
        .offset:         80
        .size:           8
        .value_kind:     global_buffer
    .group_segment_fixed_size: 0
    .kernarg_segment_align: 8
    .kernarg_segment_size: 88
    .language:       OpenCL C
    .language_version:
      - 2
      - 0
    .max_flat_workgroup_size: 256
    .name:           _ZL28rocblas_dot_batched_4_kernelIiLi64ELi4ELb1EddPKdEviT5_lT_lS2_lS3_liPT4_
    .private_segment_fixed_size: 0
    .sgpr_count:     26
    .sgpr_spill_count: 0
    .symbol:         _ZL28rocblas_dot_batched_4_kernelIiLi64ELi4ELb1EddPKdEviT5_lT_lS2_lS3_liPT4_.kd
    .uniform_work_group_size: 1
    .uses_dynamic_stack: false
    .vgpr_count:     16
    .vgpr_spill_count: 0
    .wavefront_size: 64
  - .args:
      - .offset:         0
        .size:           4
        .value_kind:     by_value
      - .actual_access:  read_only
        .address_space:  global
        .offset:         8
        .size:           8
        .value_kind:     global_buffer
      - .offset:         16
        .size:           8
        .value_kind:     by_value
      - .offset:         24
        .size:           8
        .value_kind:     by_value
      - .actual_access:  read_only
        .address_space:  global
        .offset:         32
        .size:           8
        .value_kind:     global_buffer
      - .offset:         40
        .size:           8
        .value_kind:     by_value
      - .offset:         48
        .size:           8
        .value_kind:     by_value
      - .offset:         56
        .size:           4
        .value_kind:     by_value
      - .actual_access:  read_only
        .address_space:  global
        .offset:         64
        .size:           8
        .value_kind:     global_buffer
      - .actual_access:  write_only
        .address_space:  global
        .offset:         72
        .size:           8
        .value_kind:     global_buffer
    .group_segment_fixed_size: 512
    .kernarg_segment_align: 8
    .kernarg_segment_size: 80
    .language:       OpenCL C
    .language_version:
      - 2
      - 0
    .max_flat_workgroup_size: 1024
    .name:           _ZL26rocblas_dot_kernel_inc1by2ILb1ELi1024ELi32ELb1EdPKddEviT4_llS2_lliPT5_PT3_
    .private_segment_fixed_size: 0
    .sgpr_count:     26
    .sgpr_spill_count: 0
    .symbol:         _ZL26rocblas_dot_kernel_inc1by2ILb1ELi1024ELi32ELb1EdPKddEviT4_llS2_lliPT5_PT3_.kd
    .uniform_work_group_size: 1
    .uses_dynamic_stack: false
    .vgpr_count:     12
    .vgpr_spill_count: 0
    .wavefront_size: 64
  - .args:
      - .offset:         0
        .size:           4
        .value_kind:     by_value
      - .actual_access:  read_only
        .address_space:  global
        .offset:         8
        .size:           8
        .value_kind:     global_buffer
      - .offset:         16
        .size:           8
        .value_kind:     by_value
      - .offset:         24
        .size:           4
        .value_kind:     by_value
      - .offset:         32
        .size:           8
        .value_kind:     by_value
      - .actual_access:  read_only
        .address_space:  global
        .offset:         40
        .size:           8
        .value_kind:     global_buffer
      - .offset:         48
        .size:           8
        .value_kind:     by_value
      - .offset:         56
        .size:           4
        .value_kind:     by_value
      - .offset:         64
        .size:           8
        .value_kind:     by_value
      - .offset:         72
        .size:           4
        .value_kind:     by_value
      - .actual_access:  read_only
        .address_space:  global
        .offset:         80
        .size:           8
        .value_kind:     global_buffer
      - .actual_access:  write_only
        .address_space:  global
        .offset:         88
        .size:           8
        .value_kind:     global_buffer
      - .offset:         96
        .size:           4
        .value_kind:     hidden_block_count_x
      - .offset:         100
        .size:           4
        .value_kind:     hidden_block_count_y
      - .offset:         104
        .size:           4
        .value_kind:     hidden_block_count_z
      - .offset:         108
        .size:           2
        .value_kind:     hidden_group_size_x
      - .offset:         110
        .size:           2
        .value_kind:     hidden_group_size_y
      - .offset:         112
        .size:           2
        .value_kind:     hidden_group_size_z
      - .offset:         114
        .size:           2
        .value_kind:     hidden_remainder_x
      - .offset:         116
        .size:           2
        .value_kind:     hidden_remainder_y
      - .offset:         118
        .size:           2
        .value_kind:     hidden_remainder_z
      - .offset:         136
        .size:           8
        .value_kind:     hidden_global_offset_x
      - .offset:         144
        .size:           8
        .value_kind:     hidden_global_offset_y
      - .offset:         152
        .size:           8
        .value_kind:     hidden_global_offset_z
      - .offset:         160
        .size:           2
        .value_kind:     hidden_grid_dims
    .group_segment_fixed_size: 512
    .kernarg_segment_align: 8
    .kernarg_segment_size: 352
    .language:       OpenCL C
    .language_version:
      - 2
      - 0
    .max_flat_workgroup_size: 1024
    .name:           _ZL18rocblas_dot_kernelIiLb1ELi1024ELi32ELb1EdPKddEviT5_lT_lS2_lS3_liPT6_PT4_
    .private_segment_fixed_size: 0
    .sgpr_count:     29
    .sgpr_spill_count: 0
    .symbol:         _ZL18rocblas_dot_kernelIiLb1ELi1024ELi32ELb1EdPKddEviT5_lT_lS2_lS3_liPT6_PT4_.kd
    .uniform_work_group_size: 1
    .uses_dynamic_stack: false
    .vgpr_count:     14
    .vgpr_spill_count: 0
    .wavefront_size: 64
  - .args:
      - .offset:         0
        .size:           4
        .value_kind:     by_value
      - .actual_access:  read_only
        .address_space:  global
        .offset:         8
        .size:           8
        .value_kind:     global_buffer
      - .offset:         16
        .size:           8
        .value_kind:     by_value
      - .offset:         24
        .size:           4
        .value_kind:     by_value
      - .offset:         32
        .size:           8
        .value_kind:     by_value
      - .offset:         40
        .size:           4
        .value_kind:     by_value
      - .actual_access:  read_only
        .address_space:  global
        .offset:         48
        .size:           8
        .value_kind:     global_buffer
      - .actual_access:  write_only
        .address_space:  global
        .offset:         56
        .size:           8
        .value_kind:     global_buffer
      - .offset:         64
        .size:           4
        .value_kind:     hidden_block_count_x
      - .offset:         68
        .size:           4
        .value_kind:     hidden_block_count_y
      - .offset:         72
        .size:           4
        .value_kind:     hidden_block_count_z
      - .offset:         76
        .size:           2
        .value_kind:     hidden_group_size_x
      - .offset:         78
        .size:           2
        .value_kind:     hidden_group_size_y
      - .offset:         80
        .size:           2
        .value_kind:     hidden_group_size_z
      - .offset:         82
        .size:           2
        .value_kind:     hidden_remainder_x
      - .offset:         84
        .size:           2
        .value_kind:     hidden_remainder_y
      - .offset:         86
        .size:           2
        .value_kind:     hidden_remainder_z
      - .offset:         104
        .size:           8
        .value_kind:     hidden_global_offset_x
      - .offset:         112
        .size:           8
        .value_kind:     hidden_global_offset_y
      - .offset:         120
        .size:           8
        .value_kind:     hidden_global_offset_z
      - .offset:         128
        .size:           2
        .value_kind:     hidden_grid_dims
    .group_segment_fixed_size: 512
    .kernarg_segment_align: 8
    .kernarg_segment_size: 320
    .language:       OpenCL C
    .language_version:
      - 2
      - 0
    .max_flat_workgroup_size: 1024
    .name:           _ZL24rocblas_dot_kernel_magsqIiLb1ELi1024ELi32ELb1EdPKddEviT5_lT_liPT6_PT4_
    .private_segment_fixed_size: 0
    .sgpr_count:     24
    .sgpr_spill_count: 0
    .symbol:         _ZL24rocblas_dot_kernel_magsqIiLb1ELi1024ELi32ELb1EdPKddEviT5_lT_liPT6_PT4_.kd
    .uniform_work_group_size: 1
    .uses_dynamic_stack: false
    .vgpr_count:     12
    .vgpr_spill_count: 0
    .wavefront_size: 64
  - .args:
      - .offset:         0
        .size:           4
        .value_kind:     by_value
      - .actual_access:  read_only
        .address_space:  global
        .offset:         8
        .size:           8
        .value_kind:     global_buffer
      - .offset:         16
        .size:           8
        .value_kind:     by_value
      - .offset:         24
        .size:           4
        .value_kind:     by_value
      - .offset:         32
        .size:           8
        .value_kind:     by_value
      - .actual_access:  read_only
        .address_space:  global
        .offset:         40
        .size:           8
        .value_kind:     global_buffer
      - .offset:         48
        .size:           8
        .value_kind:     by_value
      - .offset:         56
        .size:           4
        .value_kind:     by_value
      - .offset:         64
        .size:           8
        .value_kind:     by_value
      - .actual_access:  read_only
        .address_space:  global
        .offset:         72
        .size:           8
        .value_kind:     global_buffer
      - .actual_access:  read_only
        .address_space:  global
        .offset:         80
        .size:           8
        .value_kind:     global_buffer
    .group_segment_fixed_size: 0
    .kernarg_segment_align: 8
    .kernarg_segment_size: 88
    .language:       OpenCL C
    .language_version:
      - 2
      - 0
    .max_flat_workgroup_size: 1024
    .name:           _ZL38rocblas_dot_kernel_gfx942_float_doubleIiLi1024EdPKddEviT2_lT_lS2_lS3_lPT3_PT1_
    .private_segment_fixed_size: 0
    .sgpr_count:     4
    .sgpr_spill_count: 0
    .symbol:         _ZL38rocblas_dot_kernel_gfx942_float_doubleIiLi1024EdPKddEviT2_lT_lS2_lS3_lPT3_PT1_.kd
    .uniform_work_group_size: 1
    .uses_dynamic_stack: false
    .vgpr_count:     0
    .vgpr_spill_count: 0
    .wavefront_size: 64
  - .args:
      - .offset:         0
        .size:           4
        .value_kind:     by_value
      - .actual_access:  read_only
        .address_space:  global
        .offset:         8
        .size:           8
        .value_kind:     global_buffer
      - .actual_access:  write_only
        .address_space:  global
        .offset:         16
        .size:           8
        .value_kind:     global_buffer
    .group_segment_fixed_size: 512
    .kernarg_segment_align: 8
    .kernarg_segment_size: 24
    .language:       OpenCL C
    .language_version:
      - 2
      - 0
    .max_flat_workgroup_size: 1024
    .name:           _ZL30rocblas_reduction_kernel_part2ILi1024ELi4E25rocblas_finalize_identityddEviPT2_PT3_
    .private_segment_fixed_size: 0
    .sgpr_count:     20
    .sgpr_spill_count: 0
    .symbol:         _ZL30rocblas_reduction_kernel_part2ILi1024ELi4E25rocblas_finalize_identityddEviPT2_PT3_.kd
    .uniform_work_group_size: 1
    .uses_dynamic_stack: false
    .vgpr_count:     14
    .vgpr_spill_count: 0
    .wavefront_size: 64
  - .args:
      - .offset:         0
        .size:           4
        .value_kind:     by_value
      - .actual_access:  read_only
        .address_space:  global
        .offset:         8
        .size:           8
        .value_kind:     global_buffer
      - .offset:         16
        .size:           8
        .value_kind:     by_value
      - .offset:         24
        .size:           8
        .value_kind:     by_value
      - .actual_access:  read_only
        .address_space:  global
        .offset:         32
        .size:           8
        .value_kind:     global_buffer
      - .offset:         40
        .size:           8
        .value_kind:     by_value
      - .offset:         48
        .size:           8
        .value_kind:     by_value
      - .offset:         56
        .size:           4
        .value_kind:     by_value
      - .actual_access:  write_only
        .address_space:  global
        .offset:         64
        .size:           8
        .value_kind:     global_buffer
      - .actual_access:  write_only
        .address_space:  global
        .offset:         72
        .size:           8
        .value_kind:     global_buffer
      - .offset:         80
        .size:           4
        .value_kind:     hidden_block_count_x
      - .offset:         84
        .size:           4
        .value_kind:     hidden_block_count_y
      - .offset:         88
        .size:           4
        .value_kind:     hidden_block_count_z
      - .offset:         92
        .size:           2
        .value_kind:     hidden_group_size_x
      - .offset:         94
        .size:           2
        .value_kind:     hidden_group_size_y
      - .offset:         96
        .size:           2
        .value_kind:     hidden_group_size_z
      - .offset:         98
        .size:           2
        .value_kind:     hidden_remainder_x
      - .offset:         100
        .size:           2
        .value_kind:     hidden_remainder_y
      - .offset:         102
        .size:           2
        .value_kind:     hidden_remainder_z
      - .offset:         120
        .size:           8
        .value_kind:     hidden_global_offset_x
      - .offset:         128
        .size:           8
        .value_kind:     hidden_global_offset_y
      - .offset:         136
        .size:           8
        .value_kind:     hidden_global_offset_z
      - .offset:         144
        .size:           2
        .value_kind:     hidden_grid_dims
    .group_segment_fixed_size: 512
    .kernarg_segment_align: 8
    .kernarg_segment_size: 336
    .language:       OpenCL C
    .language_version:
      - 2
      - 0
    .max_flat_workgroup_size: 512
    .name:           _ZL23rocblas_dot_kernel_inc1ILb0ELi512ELi2ELb1EdPKddEviT4_llS2_lliPT5_PT3_
    .private_segment_fixed_size: 0
    .sgpr_count:     26
    .sgpr_spill_count: 0
    .symbol:         _ZL23rocblas_dot_kernel_inc1ILb0ELi512ELi2ELb1EdPKddEviT4_llS2_lliPT5_PT3_.kd
    .uniform_work_group_size: 1
    .uses_dynamic_stack: false
    .vgpr_count:     11
    .vgpr_spill_count: 0
    .wavefront_size: 64
  - .args:
      - .offset:         0
        .size:           4
        .value_kind:     by_value
      - .actual_access:  read_only
        .address_space:  global
        .offset:         8
        .size:           8
        .value_kind:     global_buffer
      - .offset:         16
        .size:           8
        .value_kind:     by_value
      - .offset:         24
        .size:           4
        .value_kind:     by_value
      - .offset:         32
        .size:           8
        .value_kind:     by_value
      - .actual_access:  read_only
        .address_space:  global
        .offset:         40
        .size:           8
        .value_kind:     global_buffer
      - .offset:         48
        .size:           8
        .value_kind:     by_value
      - .offset:         56
        .size:           4
        .value_kind:     by_value
      - .offset:         64
        .size:           8
        .value_kind:     by_value
      - .offset:         72
        .size:           4
        .value_kind:     by_value
      - .actual_access:  write_only
        .address_space:  global
        .offset:         80
        .size:           8
        .value_kind:     global_buffer
      - .actual_access:  write_only
        .address_space:  global
        .offset:         88
        .size:           8
        .value_kind:     global_buffer
      - .offset:         96
        .size:           4
        .value_kind:     hidden_block_count_x
      - .offset:         100
        .size:           4
        .value_kind:     hidden_block_count_y
      - .offset:         104
        .size:           4
        .value_kind:     hidden_block_count_z
      - .offset:         108
        .size:           2
        .value_kind:     hidden_group_size_x
      - .offset:         110
        .size:           2
        .value_kind:     hidden_group_size_y
      - .offset:         112
        .size:           2
        .value_kind:     hidden_group_size_z
      - .offset:         114
        .size:           2
        .value_kind:     hidden_remainder_x
      - .offset:         116
        .size:           2
        .value_kind:     hidden_remainder_y
      - .offset:         118
        .size:           2
        .value_kind:     hidden_remainder_z
      - .offset:         136
        .size:           8
        .value_kind:     hidden_global_offset_x
      - .offset:         144
        .size:           8
        .value_kind:     hidden_global_offset_y
      - .offset:         152
        .size:           8
        .value_kind:     hidden_global_offset_z
      - .offset:         160
        .size:           2
        .value_kind:     hidden_grid_dims
    .group_segment_fixed_size: 512
    .kernarg_segment_align: 8
    .kernarg_segment_size: 352
    .language:       OpenCL C
    .language_version:
      - 2
      - 0
    .max_flat_workgroup_size: 512
    .name:           _ZL18rocblas_dot_kernelIiLb0ELi512ELi2ELb1EdPKddEviT5_lT_lS2_lS3_liPT6_PT4_
    .private_segment_fixed_size: 0
    .sgpr_count:     30
    .sgpr_spill_count: 0
    .symbol:         _ZL18rocblas_dot_kernelIiLb0ELi512ELi2ELb1EdPKddEviT5_lT_lS2_lS3_liPT6_PT4_.kd
    .uniform_work_group_size: 1
    .uses_dynamic_stack: false
    .vgpr_count:     11
    .vgpr_spill_count: 0
    .wavefront_size: 64
  - .args:
      - .offset:         0
        .size:           4
        .value_kind:     by_value
      - .actual_access:  read_only
        .address_space:  global
        .offset:         8
        .size:           8
        .value_kind:     global_buffer
      - .offset:         16
        .size:           8
        .value_kind:     by_value
      - .offset:         24
        .size:           4
        .value_kind:     by_value
      - .offset:         32
        .size:           8
        .value_kind:     by_value
      - .offset:         40
        .size:           4
        .value_kind:     by_value
      - .actual_access:  write_only
        .address_space:  global
        .offset:         48
        .size:           8
        .value_kind:     global_buffer
      - .actual_access:  write_only
        .address_space:  global
        .offset:         56
        .size:           8
        .value_kind:     global_buffer
      - .offset:         64
        .size:           4
        .value_kind:     hidden_block_count_x
      - .offset:         68
        .size:           4
        .value_kind:     hidden_block_count_y
      - .offset:         72
        .size:           4
        .value_kind:     hidden_block_count_z
      - .offset:         76
        .size:           2
        .value_kind:     hidden_group_size_x
      - .offset:         78
        .size:           2
        .value_kind:     hidden_group_size_y
      - .offset:         80
        .size:           2
        .value_kind:     hidden_group_size_z
      - .offset:         82
        .size:           2
        .value_kind:     hidden_remainder_x
      - .offset:         84
        .size:           2
        .value_kind:     hidden_remainder_y
      - .offset:         86
        .size:           2
        .value_kind:     hidden_remainder_z
      - .offset:         104
        .size:           8
        .value_kind:     hidden_global_offset_x
      - .offset:         112
        .size:           8
        .value_kind:     hidden_global_offset_y
      - .offset:         120
        .size:           8
        .value_kind:     hidden_global_offset_z
      - .offset:         128
        .size:           2
        .value_kind:     hidden_grid_dims
    .group_segment_fixed_size: 512
    .kernarg_segment_align: 8
    .kernarg_segment_size: 320
    .language:       OpenCL C
    .language_version:
      - 2
      - 0
    .max_flat_workgroup_size: 512
    .name:           _ZL24rocblas_dot_kernel_magsqIiLb0ELi512ELi2ELb1EdPKddEviT5_lT_liPT6_PT4_
    .private_segment_fixed_size: 0
    .sgpr_count:     21
    .sgpr_spill_count: 0
    .symbol:         _ZL24rocblas_dot_kernel_magsqIiLb0ELi512ELi2ELb1EdPKddEviT5_lT_liPT6_PT4_.kd
    .uniform_work_group_size: 1
    .uses_dynamic_stack: false
    .vgpr_count:     11
    .vgpr_spill_count: 0
    .wavefront_size: 64
  - .args:
      - .offset:         0
        .size:           4
        .value_kind:     by_value
      - .actual_access:  read_only
        .address_space:  global
        .offset:         8
        .size:           8
        .value_kind:     global_buffer
      - .actual_access:  write_only
        .address_space:  global
        .offset:         16
        .size:           8
        .value_kind:     global_buffer
    .group_segment_fixed_size: 512
    .kernarg_segment_align: 8
    .kernarg_segment_size: 24
    .language:       OpenCL C
    .language_version:
      - 2
      - 0
    .max_flat_workgroup_size: 512
    .name:           _ZL30rocblas_reduction_kernel_part2ILi512ELi2E25rocblas_finalize_identityddEviPT2_PT3_
    .private_segment_fixed_size: 0
    .sgpr_count:     20
    .sgpr_spill_count: 0
    .symbol:         _ZL30rocblas_reduction_kernel_part2ILi512ELi2E25rocblas_finalize_identityddEviPT2_PT3_.kd
    .uniform_work_group_size: 1
    .uses_dynamic_stack: false
    .vgpr_count:     11
    .vgpr_spill_count: 0
    .wavefront_size: 64
  - .args:
      - .offset:         0
        .size:           4
        .value_kind:     by_value
      - .actual_access:  read_only
        .address_space:  global
        .offset:         8
        .size:           8
        .value_kind:     global_buffer
      - .offset:         16
        .size:           8
        .value_kind:     by_value
      - .offset:         24
        .size:           4
        .value_kind:     by_value
      - .offset:         32
        .size:           8
        .value_kind:     by_value
      - .actual_access:  read_only
        .address_space:  global
        .offset:         40
        .size:           8
        .value_kind:     global_buffer
      - .offset:         48
        .size:           8
        .value_kind:     by_value
      - .offset:         56
        .size:           4
        .value_kind:     by_value
      - .offset:         64
        .size:           8
        .value_kind:     by_value
      - .offset:         72
        .size:           4
        .value_kind:     by_value
      - .actual_access:  write_only
        .address_space:  global
        .offset:         80
        .size:           8
        .value_kind:     global_buffer
    .group_segment_fixed_size: 0
    .kernarg_segment_align: 8
    .kernarg_segment_size: 88
    .language:       OpenCL C
    .language_version:
      - 2
      - 0
    .max_flat_workgroup_size: 128
    .name:           _ZL28rocblas_dot_batched_4_kernelIiLi32ELi4ELb1EddPKPKdEviT5_lT_lS4_lS5_liPT4_
    .private_segment_fixed_size: 0
    .sgpr_count:     24
    .sgpr_spill_count: 0
    .symbol:         _ZL28rocblas_dot_batched_4_kernelIiLi32ELi4ELb1EddPKPKdEviT5_lT_lS4_lS5_liPT4_.kd
    .uniform_work_group_size: 1
    .uses_dynamic_stack: false
    .vgpr_count:     16
    .vgpr_spill_count: 0
    .wavefront_size: 64
  - .args:
      - .offset:         0
        .size:           4
        .value_kind:     by_value
      - .actual_access:  read_only
        .address_space:  global
        .offset:         8
        .size:           8
        .value_kind:     global_buffer
      - .offset:         16
        .size:           8
        .value_kind:     by_value
      - .offset:         24
        .size:           4
        .value_kind:     by_value
      - .offset:         32
        .size:           8
        .value_kind:     by_value
      - .actual_access:  read_only
        .address_space:  global
        .offset:         40
        .size:           8
        .value_kind:     global_buffer
      - .offset:         48
        .size:           8
        .value_kind:     by_value
      - .offset:         56
        .size:           4
        .value_kind:     by_value
      - .offset:         64
        .size:           8
        .value_kind:     by_value
      - .offset:         72
        .size:           4
        .value_kind:     by_value
      - .actual_access:  write_only
        .address_space:  global
        .offset:         80
        .size:           8
        .value_kind:     global_buffer
    .group_segment_fixed_size: 0
    .kernarg_segment_align: 8
    .kernarg_segment_size: 88
    .language:       OpenCL C
    .language_version:
      - 2
      - 0
    .max_flat_workgroup_size: 256
    .name:           _ZL28rocblas_dot_batched_4_kernelIiLi64ELi4ELb1EddPKPKdEviT5_lT_lS4_lS5_liPT4_
    .private_segment_fixed_size: 0
    .sgpr_count:     24
    .sgpr_spill_count: 0
    .symbol:         _ZL28rocblas_dot_batched_4_kernelIiLi64ELi4ELb1EddPKPKdEviT5_lT_lS4_lS5_liPT4_.kd
    .uniform_work_group_size: 1
    .uses_dynamic_stack: false
    .vgpr_count:     16
    .vgpr_spill_count: 0
    .wavefront_size: 64
  - .args:
      - .offset:         0
        .size:           4
        .value_kind:     by_value
      - .actual_access:  read_only
        .address_space:  global
        .offset:         8
        .size:           8
        .value_kind:     global_buffer
      - .offset:         16
        .size:           8
        .value_kind:     by_value
      - .offset:         24
        .size:           8
        .value_kind:     by_value
      - .actual_access:  read_only
        .address_space:  global
        .offset:         32
        .size:           8
        .value_kind:     global_buffer
      - .offset:         40
        .size:           8
        .value_kind:     by_value
      - .offset:         48
        .size:           8
        .value_kind:     by_value
      - .offset:         56
        .size:           4
        .value_kind:     by_value
      - .actual_access:  read_only
        .address_space:  global
        .offset:         64
        .size:           8
        .value_kind:     global_buffer
      - .actual_access:  write_only
        .address_space:  global
        .offset:         72
        .size:           8
        .value_kind:     global_buffer
    .group_segment_fixed_size: 512
    .kernarg_segment_align: 8
    .kernarg_segment_size: 80
    .language:       OpenCL C
    .language_version:
      - 2
      - 0
    .max_flat_workgroup_size: 1024
    .name:           _ZL26rocblas_dot_kernel_inc1by2ILb1ELi1024ELi32ELb1EdPKPKddEviT4_llS4_lliPT5_PT3_
    .private_segment_fixed_size: 0
    .sgpr_count:     24
    .sgpr_spill_count: 0
    .symbol:         _ZL26rocblas_dot_kernel_inc1by2ILb1ELi1024ELi32ELb1EdPKPKddEviT4_llS4_lliPT5_PT3_.kd
    .uniform_work_group_size: 1
    .uses_dynamic_stack: false
    .vgpr_count:     12
    .vgpr_spill_count: 0
    .wavefront_size: 64
  - .args:
      - .offset:         0
        .size:           4
        .value_kind:     by_value
      - .actual_access:  read_only
        .address_space:  global
        .offset:         8
        .size:           8
        .value_kind:     global_buffer
      - .offset:         16
        .size:           8
        .value_kind:     by_value
      - .offset:         24
        .size:           4
        .value_kind:     by_value
      - .offset:         32
        .size:           8
        .value_kind:     by_value
      - .actual_access:  read_only
        .address_space:  global
        .offset:         40
        .size:           8
        .value_kind:     global_buffer
      - .offset:         48
        .size:           8
        .value_kind:     by_value
      - .offset:         56
        .size:           4
        .value_kind:     by_value
      - .offset:         64
        .size:           8
        .value_kind:     by_value
      - .offset:         72
        .size:           4
        .value_kind:     by_value
      - .actual_access:  read_only
        .address_space:  global
        .offset:         80
        .size:           8
        .value_kind:     global_buffer
      - .actual_access:  write_only
        .address_space:  global
        .offset:         88
        .size:           8
        .value_kind:     global_buffer
      - .offset:         96
        .size:           4
        .value_kind:     hidden_block_count_x
      - .offset:         100
        .size:           4
        .value_kind:     hidden_block_count_y
      - .offset:         104
        .size:           4
        .value_kind:     hidden_block_count_z
      - .offset:         108
        .size:           2
        .value_kind:     hidden_group_size_x
      - .offset:         110
        .size:           2
        .value_kind:     hidden_group_size_y
      - .offset:         112
        .size:           2
        .value_kind:     hidden_group_size_z
      - .offset:         114
        .size:           2
        .value_kind:     hidden_remainder_x
      - .offset:         116
        .size:           2
        .value_kind:     hidden_remainder_y
      - .offset:         118
        .size:           2
        .value_kind:     hidden_remainder_z
      - .offset:         136
        .size:           8
        .value_kind:     hidden_global_offset_x
      - .offset:         144
        .size:           8
        .value_kind:     hidden_global_offset_y
      - .offset:         152
        .size:           8
        .value_kind:     hidden_global_offset_z
      - .offset:         160
        .size:           2
        .value_kind:     hidden_grid_dims
    .group_segment_fixed_size: 512
    .kernarg_segment_align: 8
    .kernarg_segment_size: 352
    .language:       OpenCL C
    .language_version:
      - 2
      - 0
    .max_flat_workgroup_size: 1024
    .name:           _ZL18rocblas_dot_kernelIiLb1ELi1024ELi32ELb1EdPKPKddEviT5_lT_lS4_lS5_liPT6_PT4_
    .private_segment_fixed_size: 0
    .sgpr_count:     28
    .sgpr_spill_count: 0
    .symbol:         _ZL18rocblas_dot_kernelIiLb1ELi1024ELi32ELb1EdPKPKddEviT5_lT_lS4_lS5_liPT6_PT4_.kd
    .uniform_work_group_size: 1
    .uses_dynamic_stack: false
    .vgpr_count:     14
    .vgpr_spill_count: 0
    .wavefront_size: 64
  - .args:
      - .offset:         0
        .size:           4
        .value_kind:     by_value
      - .actual_access:  read_only
        .address_space:  global
        .offset:         8
        .size:           8
        .value_kind:     global_buffer
      - .offset:         16
        .size:           8
        .value_kind:     by_value
      - .offset:         24
        .size:           4
        .value_kind:     by_value
      - .offset:         32
        .size:           8
        .value_kind:     by_value
      - .offset:         40
        .size:           4
        .value_kind:     by_value
      - .actual_access:  read_only
        .address_space:  global
        .offset:         48
        .size:           8
        .value_kind:     global_buffer
      - .actual_access:  write_only
        .address_space:  global
        .offset:         56
        .size:           8
        .value_kind:     global_buffer
      - .offset:         64
        .size:           4
        .value_kind:     hidden_block_count_x
      - .offset:         68
        .size:           4
        .value_kind:     hidden_block_count_y
      - .offset:         72
        .size:           4
        .value_kind:     hidden_block_count_z
      - .offset:         76
        .size:           2
        .value_kind:     hidden_group_size_x
      - .offset:         78
        .size:           2
        .value_kind:     hidden_group_size_y
      - .offset:         80
        .size:           2
        .value_kind:     hidden_group_size_z
      - .offset:         82
        .size:           2
        .value_kind:     hidden_remainder_x
      - .offset:         84
        .size:           2
        .value_kind:     hidden_remainder_y
      - .offset:         86
        .size:           2
        .value_kind:     hidden_remainder_z
      - .offset:         104
        .size:           8
        .value_kind:     hidden_global_offset_x
      - .offset:         112
        .size:           8
        .value_kind:     hidden_global_offset_y
      - .offset:         120
        .size:           8
        .value_kind:     hidden_global_offset_z
      - .offset:         128
        .size:           2
        .value_kind:     hidden_grid_dims
    .group_segment_fixed_size: 512
    .kernarg_segment_align: 8
    .kernarg_segment_size: 320
    .language:       OpenCL C
    .language_version:
      - 2
      - 0
    .max_flat_workgroup_size: 1024
    .name:           _ZL24rocblas_dot_kernel_magsqIiLb1ELi1024ELi32ELb1EdPKPKddEviT5_lT_liPT6_PT4_
    .private_segment_fixed_size: 0
    .sgpr_count:     24
    .sgpr_spill_count: 0
    .symbol:         _ZL24rocblas_dot_kernel_magsqIiLb1ELi1024ELi32ELb1EdPKPKddEviT5_lT_liPT6_PT4_.kd
    .uniform_work_group_size: 1
    .uses_dynamic_stack: false
    .vgpr_count:     12
    .vgpr_spill_count: 0
    .wavefront_size: 64
  - .args:
      - .offset:         0
        .size:           4
        .value_kind:     by_value
      - .actual_access:  read_only
        .address_space:  global
        .offset:         8
        .size:           8
        .value_kind:     global_buffer
      - .offset:         16
        .size:           8
        .value_kind:     by_value
      - .offset:         24
        .size:           4
        .value_kind:     by_value
      - .offset:         32
        .size:           8
        .value_kind:     by_value
      - .actual_access:  read_only
        .address_space:  global
        .offset:         40
        .size:           8
        .value_kind:     global_buffer
      - .offset:         48
        .size:           8
        .value_kind:     by_value
      - .offset:         56
        .size:           4
        .value_kind:     by_value
      - .offset:         64
        .size:           8
        .value_kind:     by_value
      - .actual_access:  read_only
        .address_space:  global
        .offset:         72
        .size:           8
        .value_kind:     global_buffer
      - .actual_access:  read_only
        .address_space:  global
        .offset:         80
        .size:           8
        .value_kind:     global_buffer
    .group_segment_fixed_size: 0
    .kernarg_segment_align: 8
    .kernarg_segment_size: 88
    .language:       OpenCL C
    .language_version:
      - 2
      - 0
    .max_flat_workgroup_size: 1024
    .name:           _ZL38rocblas_dot_kernel_gfx942_float_doubleIiLi1024EdPKPKddEviT2_lT_lS4_lS5_lPT3_PT1_
    .private_segment_fixed_size: 0
    .sgpr_count:     4
    .sgpr_spill_count: 0
    .symbol:         _ZL38rocblas_dot_kernel_gfx942_float_doubleIiLi1024EdPKPKddEviT2_lT_lS4_lS5_lPT3_PT1_.kd
    .uniform_work_group_size: 1
    .uses_dynamic_stack: false
    .vgpr_count:     0
    .vgpr_spill_count: 0
    .wavefront_size: 64
  - .args:
      - .offset:         0
        .size:           4
        .value_kind:     by_value
      - .actual_access:  read_only
        .address_space:  global
        .offset:         8
        .size:           8
        .value_kind:     global_buffer
      - .offset:         16
        .size:           8
        .value_kind:     by_value
      - .offset:         24
        .size:           8
        .value_kind:     by_value
      - .actual_access:  read_only
        .address_space:  global
        .offset:         32
        .size:           8
        .value_kind:     global_buffer
      - .offset:         40
        .size:           8
        .value_kind:     by_value
      - .offset:         48
        .size:           8
        .value_kind:     by_value
      - .offset:         56
        .size:           4
        .value_kind:     by_value
      - .actual_access:  write_only
        .address_space:  global
        .offset:         64
        .size:           8
        .value_kind:     global_buffer
      - .actual_access:  write_only
        .address_space:  global
        .offset:         72
        .size:           8
        .value_kind:     global_buffer
      - .offset:         80
        .size:           4
        .value_kind:     hidden_block_count_x
      - .offset:         84
        .size:           4
        .value_kind:     hidden_block_count_y
      - .offset:         88
        .size:           4
        .value_kind:     hidden_block_count_z
      - .offset:         92
        .size:           2
        .value_kind:     hidden_group_size_x
      - .offset:         94
        .size:           2
        .value_kind:     hidden_group_size_y
      - .offset:         96
        .size:           2
        .value_kind:     hidden_group_size_z
      - .offset:         98
        .size:           2
        .value_kind:     hidden_remainder_x
      - .offset:         100
        .size:           2
        .value_kind:     hidden_remainder_y
      - .offset:         102
        .size:           2
        .value_kind:     hidden_remainder_z
      - .offset:         120
        .size:           8
        .value_kind:     hidden_global_offset_x
      - .offset:         128
        .size:           8
        .value_kind:     hidden_global_offset_y
      - .offset:         136
        .size:           8
        .value_kind:     hidden_global_offset_z
      - .offset:         144
        .size:           2
        .value_kind:     hidden_grid_dims
    .group_segment_fixed_size: 512
    .kernarg_segment_align: 8
    .kernarg_segment_size: 336
    .language:       OpenCL C
    .language_version:
      - 2
      - 0
    .max_flat_workgroup_size: 512
    .name:           _ZL23rocblas_dot_kernel_inc1ILb0ELi512ELi2ELb1EdPKPKddEviT4_llS4_lliPT5_PT3_
    .private_segment_fixed_size: 0
    .sgpr_count:     24
    .sgpr_spill_count: 0
    .symbol:         _ZL23rocblas_dot_kernel_inc1ILb0ELi512ELi2ELb1EdPKPKddEviT4_llS4_lliPT5_PT3_.kd
    .uniform_work_group_size: 1
    .uses_dynamic_stack: false
    .vgpr_count:     11
    .vgpr_spill_count: 0
    .wavefront_size: 64
  - .args:
      - .offset:         0
        .size:           4
        .value_kind:     by_value
      - .actual_access:  read_only
        .address_space:  global
        .offset:         8
        .size:           8
        .value_kind:     global_buffer
      - .offset:         16
        .size:           8
        .value_kind:     by_value
      - .offset:         24
        .size:           4
        .value_kind:     by_value
      - .offset:         32
        .size:           8
        .value_kind:     by_value
      - .actual_access:  read_only
        .address_space:  global
        .offset:         40
        .size:           8
        .value_kind:     global_buffer
      - .offset:         48
        .size:           8
        .value_kind:     by_value
      - .offset:         56
        .size:           4
        .value_kind:     by_value
      - .offset:         64
        .size:           8
        .value_kind:     by_value
      - .offset:         72
        .size:           4
        .value_kind:     by_value
      - .actual_access:  write_only
        .address_space:  global
        .offset:         80
        .size:           8
        .value_kind:     global_buffer
      - .actual_access:  write_only
        .address_space:  global
        .offset:         88
        .size:           8
        .value_kind:     global_buffer
      - .offset:         96
        .size:           4
        .value_kind:     hidden_block_count_x
      - .offset:         100
        .size:           4
        .value_kind:     hidden_block_count_y
      - .offset:         104
        .size:           4
        .value_kind:     hidden_block_count_z
      - .offset:         108
        .size:           2
        .value_kind:     hidden_group_size_x
      - .offset:         110
        .size:           2
        .value_kind:     hidden_group_size_y
      - .offset:         112
        .size:           2
        .value_kind:     hidden_group_size_z
      - .offset:         114
        .size:           2
        .value_kind:     hidden_remainder_x
      - .offset:         116
        .size:           2
        .value_kind:     hidden_remainder_y
      - .offset:         118
        .size:           2
        .value_kind:     hidden_remainder_z
      - .offset:         136
        .size:           8
        .value_kind:     hidden_global_offset_x
      - .offset:         144
        .size:           8
        .value_kind:     hidden_global_offset_y
      - .offset:         152
        .size:           8
        .value_kind:     hidden_global_offset_z
      - .offset:         160
        .size:           2
        .value_kind:     hidden_grid_dims
    .group_segment_fixed_size: 512
    .kernarg_segment_align: 8
    .kernarg_segment_size: 352
    .language:       OpenCL C
    .language_version:
      - 2
      - 0
    .max_flat_workgroup_size: 512
    .name:           _ZL18rocblas_dot_kernelIiLb0ELi512ELi2ELb1EdPKPKddEviT5_lT_lS4_lS5_liPT6_PT4_
    .private_segment_fixed_size: 0
    .sgpr_count:     28
    .sgpr_spill_count: 0
    .symbol:         _ZL18rocblas_dot_kernelIiLb0ELi512ELi2ELb1EdPKPKddEviT5_lT_lS4_lS5_liPT6_PT4_.kd
    .uniform_work_group_size: 1
    .uses_dynamic_stack: false
    .vgpr_count:     11
    .vgpr_spill_count: 0
    .wavefront_size: 64
  - .args:
      - .offset:         0
        .size:           4
        .value_kind:     by_value
      - .actual_access:  read_only
        .address_space:  global
        .offset:         8
        .size:           8
        .value_kind:     global_buffer
      - .offset:         16
        .size:           8
        .value_kind:     by_value
      - .offset:         24
        .size:           4
        .value_kind:     by_value
      - .offset:         32
        .size:           8
        .value_kind:     by_value
      - .offset:         40
        .size:           4
        .value_kind:     by_value
      - .actual_access:  write_only
        .address_space:  global
        .offset:         48
        .size:           8
        .value_kind:     global_buffer
      - .actual_access:  write_only
        .address_space:  global
        .offset:         56
        .size:           8
        .value_kind:     global_buffer
      - .offset:         64
        .size:           4
        .value_kind:     hidden_block_count_x
      - .offset:         68
        .size:           4
        .value_kind:     hidden_block_count_y
      - .offset:         72
        .size:           4
        .value_kind:     hidden_block_count_z
      - .offset:         76
        .size:           2
        .value_kind:     hidden_group_size_x
      - .offset:         78
        .size:           2
        .value_kind:     hidden_group_size_y
      - .offset:         80
        .size:           2
        .value_kind:     hidden_group_size_z
      - .offset:         82
        .size:           2
        .value_kind:     hidden_remainder_x
      - .offset:         84
        .size:           2
        .value_kind:     hidden_remainder_y
      - .offset:         86
        .size:           2
        .value_kind:     hidden_remainder_z
      - .offset:         104
        .size:           8
        .value_kind:     hidden_global_offset_x
      - .offset:         112
        .size:           8
        .value_kind:     hidden_global_offset_y
      - .offset:         120
        .size:           8
        .value_kind:     hidden_global_offset_z
      - .offset:         128
        .size:           2
        .value_kind:     hidden_grid_dims
    .group_segment_fixed_size: 512
    .kernarg_segment_align: 8
    .kernarg_segment_size: 320
    .language:       OpenCL C
    .language_version:
      - 2
      - 0
    .max_flat_workgroup_size: 512
    .name:           _ZL24rocblas_dot_kernel_magsqIiLb0ELi512ELi2ELb1EdPKPKddEviT5_lT_liPT6_PT4_
    .private_segment_fixed_size: 0
    .sgpr_count:     22
    .sgpr_spill_count: 0
    .symbol:         _ZL24rocblas_dot_kernel_magsqIiLb0ELi512ELi2ELb1EdPKPKddEviT5_lT_liPT6_PT4_.kd
    .uniform_work_group_size: 1
    .uses_dynamic_stack: false
    .vgpr_count:     11
    .vgpr_spill_count: 0
    .wavefront_size: 64
amdhsa.target:   amdgcn-amd-amdhsa--gfx906
amdhsa.version:
  - 1
  - 2
...

	.end_amdgpu_metadata
